;; amdgpu-corpus repo=pytorch/pytorch kind=compiled arch=gfx1030 opt=O3
	.amdgcn_target "amdgcn-amd-amdhsa--gfx1030"
	.amdhsa_code_object_version 6
	.section	.text.unlikely._ZN2at6native12_GLOBAL__N_128vectorized_layer_norm_kernelIddLb0EEEviT0_PKT_S6_S6_PS3_S7_PS4_,"axG",@progbits,_ZN2at6native12_GLOBAL__N_128vectorized_layer_norm_kernelIddLb0EEEviT0_PKT_S6_S6_PS3_S7_PS4_,comdat
	.globl	_ZN2at6native12_GLOBAL__N_128vectorized_layer_norm_kernelIddLb0EEEviT0_PKT_S6_S6_PS3_S7_PS4_ ; -- Begin function _ZN2at6native12_GLOBAL__N_128vectorized_layer_norm_kernelIddLb0EEEviT0_PKT_S6_S6_PS3_S7_PS4_
	.p2align	8
	.type	_ZN2at6native12_GLOBAL__N_128vectorized_layer_norm_kernelIddLb0EEEviT0_PKT_S6_S6_PS3_S7_PS4_,@function
_ZN2at6native12_GLOBAL__N_128vectorized_layer_norm_kernelIddLb0EEEviT0_PKT_S6_S6_PS3_S7_PS4_: ; @_ZN2at6native12_GLOBAL__N_128vectorized_layer_norm_kernelIddLb0EEEviT0_PKT_S6_S6_PS3_S7_PS4_
; %bb.0:
	s_trap 2
	.section	.rodata,"a",@progbits
	.p2align	6, 0x0
	.amdhsa_kernel _ZN2at6native12_GLOBAL__N_128vectorized_layer_norm_kernelIddLb0EEEviT0_PKT_S6_S6_PS3_S7_PS4_
		.amdhsa_group_segment_fixed_size 0
		.amdhsa_private_segment_fixed_size 0
		.amdhsa_kernarg_size 64
		.amdhsa_user_sgpr_count 6
		.amdhsa_user_sgpr_private_segment_buffer 1
		.amdhsa_user_sgpr_dispatch_ptr 0
		.amdhsa_user_sgpr_queue_ptr 0
		.amdhsa_user_sgpr_kernarg_segment_ptr 1
		.amdhsa_user_sgpr_dispatch_id 0
		.amdhsa_user_sgpr_flat_scratch_init 0
		.amdhsa_user_sgpr_private_segment_size 0
		.amdhsa_wavefront_size32 1
		.amdhsa_uses_dynamic_stack 0
		.amdhsa_system_sgpr_private_segment_wavefront_offset 0
		.amdhsa_system_sgpr_workgroup_id_x 1
		.amdhsa_system_sgpr_workgroup_id_y 0
		.amdhsa_system_sgpr_workgroup_id_z 0
		.amdhsa_system_sgpr_workgroup_info 0
		.amdhsa_system_vgpr_workitem_id 0
		.amdhsa_next_free_vgpr 1
		.amdhsa_next_free_sgpr 1
		.amdhsa_reserve_vcc 0
		.amdhsa_reserve_flat_scratch 0
		.amdhsa_float_round_mode_32 0
		.amdhsa_float_round_mode_16_64 0
		.amdhsa_float_denorm_mode_32 3
		.amdhsa_float_denorm_mode_16_64 3
		.amdhsa_dx10_clamp 1
		.amdhsa_ieee_mode 1
		.amdhsa_fp16_overflow 0
		.amdhsa_workgroup_processor_mode 1
		.amdhsa_memory_ordered 1
		.amdhsa_forward_progress 1
		.amdhsa_shared_vgpr_count 0
		.amdhsa_exception_fp_ieee_invalid_op 0
		.amdhsa_exception_fp_denorm_src 0
		.amdhsa_exception_fp_ieee_div_zero 0
		.amdhsa_exception_fp_ieee_overflow 0
		.amdhsa_exception_fp_ieee_underflow 0
		.amdhsa_exception_fp_ieee_inexact 0
		.amdhsa_exception_int_div_zero 0
	.end_amdhsa_kernel
	.section	.text.unlikely._ZN2at6native12_GLOBAL__N_128vectorized_layer_norm_kernelIddLb0EEEviT0_PKT_S6_S6_PS3_S7_PS4_,"axG",@progbits,_ZN2at6native12_GLOBAL__N_128vectorized_layer_norm_kernelIddLb0EEEviT0_PKT_S6_S6_PS3_S7_PS4_,comdat
.Lfunc_end0:
	.size	_ZN2at6native12_GLOBAL__N_128vectorized_layer_norm_kernelIddLb0EEEviT0_PKT_S6_S6_PS3_S7_PS4_, .Lfunc_end0-_ZN2at6native12_GLOBAL__N_128vectorized_layer_norm_kernelIddLb0EEEviT0_PKT_S6_S6_PS3_S7_PS4_
                                        ; -- End function
	.set _ZN2at6native12_GLOBAL__N_128vectorized_layer_norm_kernelIddLb0EEEviT0_PKT_S6_S6_PS3_S7_PS4_.num_vgpr, 0
	.set _ZN2at6native12_GLOBAL__N_128vectorized_layer_norm_kernelIddLb0EEEviT0_PKT_S6_S6_PS3_S7_PS4_.num_agpr, 0
	.set _ZN2at6native12_GLOBAL__N_128vectorized_layer_norm_kernelIddLb0EEEviT0_PKT_S6_S6_PS3_S7_PS4_.numbered_sgpr, 0
	.set _ZN2at6native12_GLOBAL__N_128vectorized_layer_norm_kernelIddLb0EEEviT0_PKT_S6_S6_PS3_S7_PS4_.num_named_barrier, 0
	.set _ZN2at6native12_GLOBAL__N_128vectorized_layer_norm_kernelIddLb0EEEviT0_PKT_S6_S6_PS3_S7_PS4_.private_seg_size, 0
	.set _ZN2at6native12_GLOBAL__N_128vectorized_layer_norm_kernelIddLb0EEEviT0_PKT_S6_S6_PS3_S7_PS4_.uses_vcc, 0
	.set _ZN2at6native12_GLOBAL__N_128vectorized_layer_norm_kernelIddLb0EEEviT0_PKT_S6_S6_PS3_S7_PS4_.uses_flat_scratch, 0
	.set _ZN2at6native12_GLOBAL__N_128vectorized_layer_norm_kernelIddLb0EEEviT0_PKT_S6_S6_PS3_S7_PS4_.has_dyn_sized_stack, 0
	.set _ZN2at6native12_GLOBAL__N_128vectorized_layer_norm_kernelIddLb0EEEviT0_PKT_S6_S6_PS3_S7_PS4_.has_recursion, 0
	.set _ZN2at6native12_GLOBAL__N_128vectorized_layer_norm_kernelIddLb0EEEviT0_PKT_S6_S6_PS3_S7_PS4_.has_indirect_call, 0
	.section	.AMDGPU.csdata,"",@progbits
; Kernel info:
; codeLenInByte = 4
; TotalNumSgprs: 0
; NumVgprs: 0
; ScratchSize: 0
; MemoryBound: 0
; FloatMode: 240
; IeeeMode: 1
; LDSByteSize: 0 bytes/workgroup (compile time only)
; SGPRBlocks: 0
; VGPRBlocks: 0
; NumSGPRsForWavesPerEU: 1
; NumVGPRsForWavesPerEU: 1
; Occupancy: 16
; WaveLimiterHint : 0
; COMPUTE_PGM_RSRC2:SCRATCH_EN: 0
; COMPUTE_PGM_RSRC2:USER_SGPR: 6
; COMPUTE_PGM_RSRC2:TRAP_HANDLER: 0
; COMPUTE_PGM_RSRC2:TGID_X_EN: 1
; COMPUTE_PGM_RSRC2:TGID_Y_EN: 0
; COMPUTE_PGM_RSRC2:TGID_Z_EN: 0
; COMPUTE_PGM_RSRC2:TIDIG_COMP_CNT: 0
	.section	.text._ZN2at6native12_GLOBAL__N_124RowwiseMomentsCUDAKernelIddLb0EEEvlT0_PKT_PS3_S7_,"axG",@progbits,_ZN2at6native12_GLOBAL__N_124RowwiseMomentsCUDAKernelIddLb0EEEvlT0_PKT_PS3_S7_,comdat
	.globl	_ZN2at6native12_GLOBAL__N_124RowwiseMomentsCUDAKernelIddLb0EEEvlT0_PKT_PS3_S7_ ; -- Begin function _ZN2at6native12_GLOBAL__N_124RowwiseMomentsCUDAKernelIddLb0EEEvlT0_PKT_PS3_S7_
	.p2align	8
	.type	_ZN2at6native12_GLOBAL__N_124RowwiseMomentsCUDAKernelIddLb0EEEvlT0_PKT_PS3_S7_,@function
_ZN2at6native12_GLOBAL__N_124RowwiseMomentsCUDAKernelIddLb0EEEvlT0_PKT_PS3_S7_: ; @_ZN2at6native12_GLOBAL__N_124RowwiseMomentsCUDAKernelIddLb0EEEvlT0_PKT_PS3_S7_
; %bb.0:
	s_clause 0x1
	s_load_dwordx8 s[8:15], s[4:5], 0x0
	s_load_dwordx2 s[2:3], s[4:5], 0x20
	v_mov_b32_e32 v14, 0
	v_mov_b32_e32 v6, 0
	;; [unrolled: 1-line block ×9, first 2 shown]
	s_mov_b32 s7, 0
	s_mov_b32 s1, exec_lo
	s_waitcnt lgkmcnt(0)
	v_cmpx_gt_i64_e64 s[8:9], v[0:1]
	s_cbranch_execz .LBB1_4
; %bb.1:
	s_load_dword s0, s[4:5], 0x34
	s_mul_i32 s17, s9, s6
	s_mul_hi_u32 s18, s8, s6
	s_mul_i32 s16, s8, s6
	s_add_i32 s17, s18, s17
	v_lshlrev_b32_e32 v6, 3, v0
	s_lshl_b64 s[18:19], s[16:17], 3
	v_mov_b32_e32 v2, 0
	v_mov_b32_e32 v4, 0
	;; [unrolled: 1-line block ×6, first 2 shown]
	s_waitcnt lgkmcnt(0)
	s_and_b32 s16, s0, 0xffff
	s_add_u32 s0, s12, s18
	s_addc_u32 s12, s13, s19
	v_add_co_u32 v8, s0, s0, v6
	v_add_co_ci_u32_e64 v9, null, s12, 0, s0
	s_lshl_b32 s17, s16, 3
	s_mov_b64 s[12:13], 0
	s_mov_b32 s18, s7
.LBB1_2:                                ; =>This Inner Loop Header: Depth=1
	global_load_dwordx2 v[12:13], v[8:9], off
	s_add_u32 s12, s12, 1
	s_addc_u32 s13, s13, 0
	v_cvt_f64_u32_e32 v[14:15], s12
	v_cvt_f64_u32_e32 v[6:7], s13
	v_add_co_u32 v8, s0, v8, s17
	v_add_co_ci_u32_e64 v9, null, 0, v9, s0
	v_ldexp_f64 v[6:7], v[6:7], 32
	v_add_f64 v[6:7], v[6:7], v[14:15]
	s_waitcnt vmcnt(0)
	v_add_f64 v[14:15], v[12:13], -v[4:5]
	v_div_scale_f64 v[16:17], null, v[6:7], v[6:7], v[14:15]
	v_div_scale_f64 v[22:23], vcc_lo, v[14:15], v[6:7], v[14:15]
	v_rcp_f64_e32 v[18:19], v[16:17]
	v_fma_f64 v[20:21], -v[16:17], v[18:19], 1.0
	v_fma_f64 v[18:19], v[18:19], v[20:21], v[18:19]
	v_fma_f64 v[20:21], -v[16:17], v[18:19], 1.0
	v_fma_f64 v[18:19], v[18:19], v[20:21], v[18:19]
	v_mul_f64 v[20:21], v[22:23], v[18:19]
	v_fma_f64 v[16:17], -v[16:17], v[20:21], v[22:23]
	v_div_fmas_f64 v[16:17], v[16:17], v[18:19], v[20:21]
	v_add_co_u32 v10, vcc_lo, v10, s16
	v_add_co_ci_u32_e64 v11, null, 0, v11, vcc_lo
	v_cmp_le_i64_e32 vcc_lo, s[8:9], v[10:11]
	s_or_b32 s18, vcc_lo, s18
	v_div_fixup_f64 v[16:17], v[16:17], v[6:7], v[14:15]
	v_add_f64 v[4:5], v[4:5], v[16:17]
	v_add_f64 v[12:13], v[12:13], -v[4:5]
	v_fma_f64 v[2:3], v[14:15], v[12:13], v[2:3]
	v_mov_b32_e32 v15, s13
	v_mov_b32_e32 v14, s12
	s_andn2_b32 exec_lo, exec_lo, s18
	s_cbranch_execnz .LBB1_2
; %bb.3:
	s_or_b32 exec_lo, exec_lo, s18
.LBB1_4:
	s_or_b32 exec_lo, exec_lo, s1
	v_mbcnt_lo_u32_b32 v23, -1, 0
	s_mov_b32 s0, exec_lo
	v_lshl_or_b32 v20, v23, 2, 64
	ds_bpermute_b32 v10, v20, v4
	ds_bpermute_b32 v11, v20, v5
	;; [unrolled: 1-line block ×8, first 2 shown]
	v_cmpx_neq_f64_e32 0, v[6:7]
	s_cbranch_execz .LBB1_8
; %bb.5:
	s_mov_b32 s1, exec_lo
	s_waitcnt lgkmcnt(0)
	v_cmpx_neq_f64_e32 0, v[12:13]
	s_cbranch_execz .LBB1_7
; %bb.6:
	v_add_f64 v[16:17], v[6:7], v[12:13]
	v_add_f64 v[10:11], v[10:11], -v[4:5]
	v_add_f64 v[1:2], v[2:3], v[8:9]
	v_div_scale_f64 v[14:15], null, v[16:17], v[16:17], v[12:13]
	v_div_scale_f64 v[24:25], vcc_lo, v[12:13], v[16:17], v[12:13]
	v_rcp_f64_e32 v[18:19], v[14:15]
	v_fma_f64 v[21:22], -v[14:15], v[18:19], 1.0
	v_fma_f64 v[18:19], v[18:19], v[21:22], v[18:19]
	v_fma_f64 v[21:22], -v[14:15], v[18:19], 1.0
	v_fma_f64 v[18:19], v[18:19], v[21:22], v[18:19]
	v_mul_f64 v[21:22], v[24:25], v[18:19]
	v_fma_f64 v[14:15], -v[14:15], v[21:22], v[24:25]
	v_div_fmas_f64 v[14:15], v[14:15], v[18:19], v[21:22]
	v_mul_f64 v[18:19], v[10:11], v[10:11]
	v_div_fixup_f64 v[8:9], v[14:15], v[16:17], v[12:13]
	v_mul_f64 v[6:7], v[6:7], v[18:19]
	v_mov_b32_e32 v14, -1
	v_mov_b32_e32 v15, -1
	v_fma_f64 v[4:5], v[10:11], v[8:9], v[4:5]
	v_fma_f64 v[2:3], v[6:7], v[8:9], v[1:2]
	v_mov_b32_e32 v6, v16
	v_mov_b32_e32 v7, v17
.LBB1_7:
	s_or_b32 exec_lo, exec_lo, s1
	v_mov_b32_e32 v13, v7
	v_mov_b32_e32 v17, v15
	;; [unrolled: 1-line block ×8, first 2 shown]
.LBB1_8:
	s_or_b32 exec_lo, exec_lo, s0
	v_cmp_gt_u32_e32 vcc_lo, 24, v23
	s_mov_b32 s0, exec_lo
	v_cndmask_b32_e64 v1, 0, 8, vcc_lo
	v_add_lshl_u32 v21, v1, v23, 2
	s_waitcnt lgkmcnt(7)
	ds_bpermute_b32 v5, v21, v10
	s_waitcnt lgkmcnt(7)
	ds_bpermute_b32 v6, v21, v11
	;; [unrolled: 2-line block ×8, first 2 shown]
	v_cmpx_neq_f64_e32 0, v[12:13]
	s_cbranch_execz .LBB1_12
; %bb.9:
	s_mov_b32 s1, exec_lo
	s_waitcnt lgkmcnt(0)
	v_cmpx_neq_f64_e32 0, v[14:15]
	s_cbranch_execz .LBB1_11
; %bb.10:
	v_add_f64 v[3:4], v[12:13], v[14:15]
	v_add_f64 v[5:6], v[5:6], -v[10:11]
	v_add_f64 v[1:2], v[8:9], v[1:2]
	v_div_scale_f64 v[16:17], null, v[3:4], v[3:4], v[14:15]
	v_div_scale_f64 v[26:27], vcc_lo, v[14:15], v[3:4], v[14:15]
	v_rcp_f64_e32 v[18:19], v[16:17]
	v_fma_f64 v[24:25], -v[16:17], v[18:19], 1.0
	v_fma_f64 v[18:19], v[18:19], v[24:25], v[18:19]
	v_fma_f64 v[24:25], -v[16:17], v[18:19], 1.0
	v_fma_f64 v[18:19], v[18:19], v[24:25], v[18:19]
	v_mul_f64 v[24:25], v[26:27], v[18:19]
	v_fma_f64 v[16:17], -v[16:17], v[24:25], v[26:27]
	v_div_fmas_f64 v[16:17], v[16:17], v[18:19], v[24:25]
	v_mul_f64 v[18:19], v[5:6], v[5:6]
	v_div_fixup_f64 v[7:8], v[16:17], v[3:4], v[14:15]
	v_mul_f64 v[12:13], v[12:13], v[18:19]
	v_mov_b32_e32 v16, -1
	v_mov_b32_e32 v17, -1
	v_fma_f64 v[10:11], v[5:6], v[7:8], v[10:11]
	v_fma_f64 v[8:9], v[12:13], v[7:8], v[1:2]
	v_mov_b32_e32 v13, v4
	v_mov_b32_e32 v12, v3
.LBB1_11:
	s_or_b32 exec_lo, exec_lo, s1
	v_mov_b32_e32 v15, v13
	v_mov_b32_e32 v19, v17
	;; [unrolled: 1-line block ×8, first 2 shown]
.LBB1_12:
	s_or_b32 exec_lo, exec_lo, s0
	v_cmp_gt_u32_e32 vcc_lo, 28, v23
	s_mov_b32 s0, exec_lo
	v_cndmask_b32_e64 v3, 0, 4, vcc_lo
	v_add_lshl_u32 v22, v3, v23, 2
	s_waitcnt lgkmcnt(7)
	ds_bpermute_b32 v7, v22, v5
	s_waitcnt lgkmcnt(7)
	ds_bpermute_b32 v8, v22, v6
	;; [unrolled: 2-line block ×8, first 2 shown]
	v_cmpx_neq_f64_e32 0, v[14:15]
	s_cbranch_execz .LBB1_16
; %bb.13:
	s_mov_b32 s1, exec_lo
	s_waitcnt lgkmcnt(0)
	v_cmpx_neq_f64_e32 0, v[9:10]
	s_cbranch_execz .LBB1_15
; %bb.14:
	v_add_f64 v[11:12], v[14:15], v[9:10]
	v_add_f64 v[7:8], v[7:8], -v[5:6]
	v_add_f64 v[1:2], v[1:2], v[3:4]
	v_div_scale_f64 v[16:17], null, v[11:12], v[11:12], v[9:10]
	v_div_scale_f64 v[26:27], vcc_lo, v[9:10], v[11:12], v[9:10]
	v_rcp_f64_e32 v[18:19], v[16:17]
	v_fma_f64 v[24:25], -v[16:17], v[18:19], 1.0
	v_fma_f64 v[18:19], v[18:19], v[24:25], v[18:19]
	v_fma_f64 v[24:25], -v[16:17], v[18:19], 1.0
	v_fma_f64 v[18:19], v[18:19], v[24:25], v[18:19]
	v_mul_f64 v[24:25], v[26:27], v[18:19]
	v_fma_f64 v[16:17], -v[16:17], v[24:25], v[26:27]
	v_div_fmas_f64 v[16:17], v[16:17], v[18:19], v[24:25]
	v_mul_f64 v[18:19], v[7:8], v[7:8]
	v_div_fixup_f64 v[3:4], v[16:17], v[11:12], v[9:10]
	v_mul_f64 v[9:10], v[14:15], v[18:19]
	v_mov_b32_e32 v18, -1
	v_mov_b32_e32 v15, v12
	v_mov_b32_e32 v19, -1
	v_mov_b32_e32 v14, v11
	v_fma_f64 v[5:6], v[7:8], v[3:4], v[5:6]
	v_fma_f64 v[1:2], v[9:10], v[3:4], v[1:2]
.LBB1_15:
	s_or_b32 exec_lo, exec_lo, s1
	v_mov_b32_e32 v9, v14
	v_mov_b32_e32 v16, v18
	;; [unrolled: 1-line block ×8, first 2 shown]
.LBB1_16:
	s_or_b32 exec_lo, exec_lo, s0
	v_cmp_gt_u32_e32 vcc_lo, 30, v23
	s_mov_b32 s0, exec_lo
	v_cndmask_b32_e64 v1, 0, 2, vcc_lo
	v_add_lshl_u32 v18, v1, v23, 2
	s_waitcnt lgkmcnt(7)
	ds_bpermute_b32 v5, v18, v7
	s_waitcnt lgkmcnt(7)
	ds_bpermute_b32 v6, v18, v8
	;; [unrolled: 2-line block ×8, first 2 shown]
	v_cmpx_neq_f64_e32 0, v[9:10]
	s_cbranch_execz .LBB1_20
; %bb.17:
	s_mov_b32 s1, exec_lo
	s_waitcnt lgkmcnt(0)
	v_cmpx_neq_f64_e32 0, v[11:12]
	s_cbranch_execz .LBB1_19
; %bb.18:
	v_add_f64 v[13:14], v[9:10], v[11:12]
	v_add_f64 v[5:6], v[5:6], -v[7:8]
	v_add_f64 v[1:2], v[3:4], v[1:2]
	v_div_scale_f64 v[15:16], null, v[13:14], v[13:14], v[11:12]
	v_div_scale_f64 v[28:29], vcc_lo, v[11:12], v[13:14], v[11:12]
	v_rcp_f64_e32 v[24:25], v[15:16]
	v_fma_f64 v[26:27], -v[15:16], v[24:25], 1.0
	v_fma_f64 v[24:25], v[24:25], v[26:27], v[24:25]
	v_fma_f64 v[26:27], -v[15:16], v[24:25], 1.0
	v_fma_f64 v[24:25], v[24:25], v[26:27], v[24:25]
	v_mul_f64 v[26:27], v[28:29], v[24:25]
	v_fma_f64 v[15:16], -v[15:16], v[26:27], v[28:29]
	v_div_fmas_f64 v[15:16], v[15:16], v[24:25], v[26:27]
	v_mul_f64 v[24:25], v[5:6], v[5:6]
	v_div_fixup_f64 v[3:4], v[15:16], v[13:14], v[11:12]
	v_mul_f64 v[9:10], v[9:10], v[24:25]
	v_mov_b32_e32 v16, -1
	v_mov_b32_e32 v17, -1
	v_fma_f64 v[7:8], v[5:6], v[3:4], v[7:8]
	v_fma_f64 v[3:4], v[9:10], v[3:4], v[1:2]
	v_mov_b32_e32 v9, v13
	v_mov_b32_e32 v10, v14
.LBB1_19:
	s_or_b32 exec_lo, exec_lo, s1
	v_mov_b32_e32 v12, v10
	v_mov_b32_e32 v13, v16
	;; [unrolled: 1-line block ×8, first 2 shown]
.LBB1_20:
	s_or_b32 exec_lo, exec_lo, s0
	v_cmp_ne_u32_e32 vcc_lo, 31, v23
	s_mov_b32 s0, exec_lo
	v_add_co_ci_u32_e64 v3, null, 0, v23, vcc_lo
	v_lshlrev_b32_e32 v17, 2, v3
	s_waitcnt lgkmcnt(7)
	ds_bpermute_b32 v9, v17, v5
	s_waitcnt lgkmcnt(7)
	ds_bpermute_b32 v10, v17, v6
	;; [unrolled: 2-line block ×8, first 2 shown]
	v_cmpx_neq_f64_e32 0, v[11:12]
	s_cbranch_execz .LBB1_24
; %bb.21:
	s_mov_b32 s1, exec_lo
	s_waitcnt lgkmcnt(0)
	v_cmpx_neq_f64_e32 0, v[3:4]
	s_cbranch_execz .LBB1_23
; %bb.22:
	v_add_f64 v[15:16], v[11:12], v[3:4]
	v_add_f64 v[9:10], v[9:10], -v[5:6]
	v_add_f64 v[1:2], v[1:2], v[7:8]
	v_div_scale_f64 v[13:14], null, v[15:16], v[15:16], v[3:4]
	v_div_scale_f64 v[27:28], vcc_lo, v[3:4], v[15:16], v[3:4]
	v_rcp_f64_e32 v[23:24], v[13:14]
	v_fma_f64 v[25:26], -v[13:14], v[23:24], 1.0
	v_fma_f64 v[23:24], v[23:24], v[25:26], v[23:24]
	v_fma_f64 v[25:26], -v[13:14], v[23:24], 1.0
	v_fma_f64 v[23:24], v[23:24], v[25:26], v[23:24]
	v_mul_f64 v[25:26], v[27:28], v[23:24]
	v_fma_f64 v[13:14], -v[13:14], v[25:26], v[27:28]
	v_div_fmas_f64 v[13:14], v[13:14], v[23:24], v[25:26]
	v_mul_f64 v[23:24], v[9:10], v[9:10]
	v_div_fixup_f64 v[3:4], v[13:14], v[15:16], v[3:4]
	v_mul_f64 v[7:8], v[11:12], v[23:24]
	v_mov_b32_e32 v13, -1
	v_mov_b32_e32 v11, v15
	v_mov_b32_e32 v14, -1
	v_mov_b32_e32 v12, v16
	v_fma_f64 v[5:6], v[9:10], v[3:4], v[5:6]
	v_fma_f64 v[1:2], v[7:8], v[3:4], v[1:2]
.LBB1_23:
	s_or_b32 exec_lo, exec_lo, s1
	v_mov_b32_e32 v3, v11
	v_mov_b32_e32 v16, v14
	;; [unrolled: 1-line block ×8, first 2 shown]
.LBB1_24:
	s_or_b32 exec_lo, exec_lo, s0
	v_and_b32_e32 v5, 31, v0
	s_mov_b32 s0, exec_lo
	s_waitcnt lgkmcnt(0)
	s_barrier
	buffer_gl0_inv
	v_cmpx_eq_u32_e32 0, v5
	s_cbranch_execz .LBB1_26
; %bb.25:
	ds_write2_b64 v0, v[9:10], v[7:8] offset1:1
	ds_write2_b64 v0, v[15:16], v[3:4] offset0:2 offset1:3
.LBB1_26:
	s_or_b32 exec_lo, exec_lo, s0
	s_waitcnt lgkmcnt(0)
	s_barrier
	buffer_gl0_inv
	s_load_dword s0, s[4:5], 0x34
	v_mov_b32_e32 v3, 0
	v_mov_b32_e32 v1, 0
	;; [unrolled: 1-line block ×4, first 2 shown]
	v_lshlrev_b32_e32 v7, 5, v5
	s_waitcnt lgkmcnt(0)
	s_bfe_u32 s0, s0, 0xb0005
	v_cmp_gt_u32_e32 vcc_lo, s0, v0
	s_and_saveexec_b32 s0, vcc_lo
; %bb.27:
	ds_read_b64 v[1:2], v7
; %bb.28:
	s_or_b32 exec_lo, exec_lo, s0
	s_and_saveexec_b32 s0, vcc_lo
; %bb.29:
	ds_read_b64 v[3:4], v7 offset:8
; %bb.30:
	s_or_b32 exec_lo, exec_lo, s0
	v_mov_b32_e32 v5, 0
	v_mov_b32_e32 v6, 0
	s_and_saveexec_b32 s0, vcc_lo
; %bb.31:
	ds_read_b64 v[5:6], v7 offset:24
; %bb.32:
	s_or_b32 exec_lo, exec_lo, s0
	s_mov_b32 s0, exec_lo
	v_cmpx_gt_u32_e32 32, v0
	s_cbranch_execz .LBB1_54
; %bb.33:
	s_waitcnt lgkmcnt(0)
	ds_bpermute_b32 v7, v20, v1
	ds_bpermute_b32 v8, v20, v2
	ds_bpermute_b32 v9, v20, v3
	ds_bpermute_b32 v10, v20, v4
	ds_bpermute_b32 v11, v20, v5
	ds_bpermute_b32 v12, v20, v6
	s_mov_b32 s1, exec_lo
	v_cmpx_neq_f64_e32 0, v[5:6]
	s_cbranch_execz .LBB1_37
; %bb.34:
	s_mov_b32 s4, exec_lo
	s_waitcnt lgkmcnt(0)
	v_cmpx_neq_f64_e32 0, v[11:12]
	s_cbranch_execz .LBB1_36
; %bb.35:
	v_add_f64 v[13:14], v[5:6], v[11:12]
	v_add_f64 v[7:8], v[7:8], -v[1:2]
	v_add_f64 v[3:4], v[3:4], v[9:10]
	v_div_scale_f64 v[15:16], null, v[13:14], v[13:14], v[11:12]
	v_div_scale_f64 v[25:26], vcc_lo, v[11:12], v[13:14], v[11:12]
	v_rcp_f64_e32 v[19:20], v[15:16]
	v_fma_f64 v[23:24], -v[15:16], v[19:20], 1.0
	v_fma_f64 v[19:20], v[19:20], v[23:24], v[19:20]
	v_fma_f64 v[23:24], -v[15:16], v[19:20], 1.0
	v_fma_f64 v[19:20], v[19:20], v[23:24], v[19:20]
	v_mul_f64 v[23:24], v[25:26], v[19:20]
	v_fma_f64 v[15:16], -v[15:16], v[23:24], v[25:26]
	v_div_fmas_f64 v[15:16], v[15:16], v[19:20], v[23:24]
	v_mul_f64 v[19:20], v[7:8], v[7:8]
	v_div_fixup_f64 v[9:10], v[15:16], v[13:14], v[11:12]
	v_mul_f64 v[5:6], v[5:6], v[19:20]
	v_fma_f64 v[1:2], v[7:8], v[9:10], v[1:2]
	v_fma_f64 v[3:4], v[5:6], v[9:10], v[3:4]
	v_mov_b32_e32 v5, v13
	v_mov_b32_e32 v6, v14
.LBB1_36:
	s_or_b32 exec_lo, exec_lo, s4
	v_mov_b32_e32 v12, v6
	v_mov_b32_e32 v10, v4
	;; [unrolled: 1-line block ×6, first 2 shown]
.LBB1_37:
	s_or_b32 exec_lo, exec_lo, s1
	s_waitcnt lgkmcnt(5)
	ds_bpermute_b32 v1, v21, v7
	s_waitcnt lgkmcnt(5)
	ds_bpermute_b32 v2, v21, v8
	;; [unrolled: 2-line block ×6, first 2 shown]
	s_mov_b32 s1, exec_lo
	v_cmpx_neq_f64_e32 0, v[11:12]
	s_cbranch_execz .LBB1_41
; %bb.38:
	s_mov_b32 s4, exec_lo
	s_waitcnt lgkmcnt(0)
	v_cmpx_neq_f64_e32 0, v[13:14]
	s_cbranch_execz .LBB1_40
; %bb.39:
	v_add_f64 v[3:4], v[11:12], v[13:14]
	v_add_f64 v[1:2], v[1:2], -v[7:8]
	v_add_f64 v[5:6], v[9:10], v[5:6]
	v_div_scale_f64 v[15:16], null, v[3:4], v[3:4], v[13:14]
	v_div_scale_f64 v[25:26], vcc_lo, v[13:14], v[3:4], v[13:14]
	v_rcp_f64_e32 v[19:20], v[15:16]
	v_fma_f64 v[23:24], -v[15:16], v[19:20], 1.0
	v_fma_f64 v[19:20], v[19:20], v[23:24], v[19:20]
	v_fma_f64 v[23:24], -v[15:16], v[19:20], 1.0
	v_fma_f64 v[19:20], v[19:20], v[23:24], v[19:20]
	v_mul_f64 v[23:24], v[25:26], v[19:20]
	v_fma_f64 v[15:16], -v[15:16], v[23:24], v[25:26]
	v_div_fmas_f64 v[15:16], v[15:16], v[19:20], v[23:24]
	v_mul_f64 v[19:20], v[1:2], v[1:2]
	v_div_fixup_f64 v[9:10], v[15:16], v[3:4], v[13:14]
	v_mul_f64 v[11:12], v[11:12], v[19:20]
	v_fma_f64 v[7:8], v[1:2], v[9:10], v[7:8]
	v_fma_f64 v[9:10], v[11:12], v[9:10], v[5:6]
	v_mov_b32_e32 v12, v4
	v_mov_b32_e32 v11, v3
.LBB1_40:
	s_or_b32 exec_lo, exec_lo, s4
	v_mov_b32_e32 v14, v12
	v_mov_b32_e32 v5, v9
	;; [unrolled: 1-line block ×6, first 2 shown]
.LBB1_41:
	s_or_b32 exec_lo, exec_lo, s1
	s_waitcnt lgkmcnt(5)
	ds_bpermute_b32 v3, v22, v1
	s_waitcnt lgkmcnt(5)
	ds_bpermute_b32 v4, v22, v2
	s_waitcnt lgkmcnt(5)
	ds_bpermute_b32 v9, v22, v5
	s_waitcnt lgkmcnt(5)
	ds_bpermute_b32 v10, v22, v6
	s_waitcnt lgkmcnt(5)
	ds_bpermute_b32 v15, v22, v13
	s_waitcnt lgkmcnt(5)
	ds_bpermute_b32 v16, v22, v14
	s_mov_b32 s1, exec_lo
	v_cmpx_neq_f64_e32 0, v[13:14]
	s_cbranch_execz .LBB1_45
; %bb.42:
	s_mov_b32 s4, exec_lo
	s_waitcnt lgkmcnt(0)
	v_cmpx_neq_f64_e32 0, v[15:16]
	s_cbranch_execz .LBB1_44
; %bb.43:
	v_add_f64 v[7:8], v[13:14], v[15:16]
	v_add_f64 v[3:4], v[3:4], -v[1:2]
	v_add_f64 v[5:6], v[5:6], v[9:10]
	v_div_scale_f64 v[11:12], null, v[7:8], v[7:8], v[15:16]
	v_div_scale_f64 v[23:24], vcc_lo, v[15:16], v[7:8], v[15:16]
	v_rcp_f64_e32 v[19:20], v[11:12]
	v_fma_f64 v[21:22], -v[11:12], v[19:20], 1.0
	v_fma_f64 v[19:20], v[19:20], v[21:22], v[19:20]
	v_fma_f64 v[21:22], -v[11:12], v[19:20], 1.0
	v_fma_f64 v[19:20], v[19:20], v[21:22], v[19:20]
	v_mul_f64 v[21:22], v[23:24], v[19:20]
	v_fma_f64 v[11:12], -v[11:12], v[21:22], v[23:24]
	v_div_fmas_f64 v[11:12], v[11:12], v[19:20], v[21:22]
	v_mul_f64 v[19:20], v[3:4], v[3:4]
	v_div_fixup_f64 v[9:10], v[11:12], v[7:8], v[15:16]
	v_mul_f64 v[11:12], v[13:14], v[19:20]
	v_mov_b32_e32 v14, v8
	v_mov_b32_e32 v13, v7
	v_fma_f64 v[1:2], v[3:4], v[9:10], v[1:2]
	v_fma_f64 v[5:6], v[11:12], v[9:10], v[5:6]
.LBB1_44:
	s_or_b32 exec_lo, exec_lo, s4
	v_mov_b32_e32 v16, v14
	v_mov_b32_e32 v10, v6
	v_mov_b32_e32 v4, v2
	v_mov_b32_e32 v15, v13
	v_mov_b32_e32 v9, v5
	v_mov_b32_e32 v3, v1
.LBB1_45:
	s_or_b32 exec_lo, exec_lo, s1
	s_waitcnt lgkmcnt(5)
	ds_bpermute_b32 v7, v18, v3
	s_waitcnt lgkmcnt(5)
	ds_bpermute_b32 v8, v18, v4
	s_waitcnt lgkmcnt(5)
	ds_bpermute_b32 v11, v18, v9
	s_waitcnt lgkmcnt(5)
	ds_bpermute_b32 v12, v18, v10
	s_waitcnt lgkmcnt(5)
	ds_bpermute_b32 v13, v18, v15
	s_waitcnt lgkmcnt(5)
	ds_bpermute_b32 v14, v18, v16
	s_mov_b32 s1, exec_lo
	v_cmpx_neq_f64_e32 0, v[15:16]
	s_cbranch_execz .LBB1_49
; %bb.46:
	s_mov_b32 s4, exec_lo
	s_waitcnt lgkmcnt(0)
	v_cmpx_neq_f64_e32 0, v[13:14]
	s_cbranch_execz .LBB1_48
; %bb.47:
	v_add_f64 v[1:2], v[15:16], v[13:14]
	v_add_f64 v[7:8], v[7:8], -v[3:4]
	v_add_f64 v[9:10], v[9:10], v[11:12]
	v_div_scale_f64 v[5:6], null, v[1:2], v[1:2], v[13:14]
	v_div_scale_f64 v[22:23], vcc_lo, v[13:14], v[1:2], v[13:14]
	v_rcp_f64_e32 v[18:19], v[5:6]
	v_fma_f64 v[20:21], -v[5:6], v[18:19], 1.0
	v_fma_f64 v[18:19], v[18:19], v[20:21], v[18:19]
	v_fma_f64 v[20:21], -v[5:6], v[18:19], 1.0
	v_fma_f64 v[18:19], v[18:19], v[20:21], v[18:19]
	v_mul_f64 v[20:21], v[22:23], v[18:19]
	v_fma_f64 v[5:6], -v[5:6], v[20:21], v[22:23]
	v_div_fmas_f64 v[5:6], v[5:6], v[18:19], v[20:21]
	v_mul_f64 v[18:19], v[7:8], v[7:8]
	v_div_fixup_f64 v[5:6], v[5:6], v[1:2], v[13:14]
	v_mul_f64 v[11:12], v[15:16], v[18:19]
	v_mov_b32_e32 v16, v2
	v_mov_b32_e32 v15, v1
	v_fma_f64 v[3:4], v[7:8], v[5:6], v[3:4]
	v_fma_f64 v[9:10], v[11:12], v[5:6], v[9:10]
.LBB1_48:
	s_or_b32 exec_lo, exec_lo, s4
	v_mov_b32_e32 v13, v15
	v_mov_b32_e32 v12, v10
	v_mov_b32_e32 v8, v4
	v_mov_b32_e32 v14, v16
	v_mov_b32_e32 v11, v9
	v_mov_b32_e32 v7, v3
.LBB1_49:
	;; [unrolled: 51-line block ×3, first 2 shown]
	s_or_b32 exec_lo, exec_lo, s1
.LBB1_54:
	s_or_b32 exec_lo, exec_lo, s0
	s_mov_b32 s0, exec_lo
	v_cmpx_eq_u32_e32 0, v0
	s_cbranch_execz .LBB1_56
; %bb.55:
	s_waitcnt lgkmcnt(0)
	v_max_f64 v[5:6], v[5:6], v[5:6]
	s_lshl_b64 s[0:1], s[6:7], 3
	v_mov_b32_e32 v0, 0
	s_add_u32 s4, s14, s0
	s_addc_u32 s5, s15, s1
	s_add_u32 s0, s2, s0
	s_addc_u32 s1, s3, s1
	v_max_f64 v[5:6], v[5:6], 0
	v_div_scale_f64 v[7:8], null, v[5:6], v[5:6], v[3:4]
	v_div_scale_f64 v[13:14], vcc_lo, v[3:4], v[5:6], v[3:4]
	v_rcp_f64_e32 v[9:10], v[7:8]
	v_fma_f64 v[11:12], -v[7:8], v[9:10], 1.0
	v_fma_f64 v[9:10], v[9:10], v[11:12], v[9:10]
	v_fma_f64 v[11:12], -v[7:8], v[9:10], 1.0
	v_fma_f64 v[9:10], v[9:10], v[11:12], v[9:10]
	v_mul_f64 v[11:12], v[13:14], v[9:10]
	v_fma_f64 v[7:8], -v[7:8], v[11:12], v[13:14]
	v_div_fmas_f64 v[7:8], v[7:8], v[9:10], v[11:12]
	v_div_fixup_f64 v[3:4], v[7:8], v[5:6], v[3:4]
	v_add_f64 v[3:4], s[10:11], v[3:4]
	v_rsq_f64_e32 v[5:6], v[3:4]
	v_mul_f64 v[3:4], v[5:6], -v[3:4]
	v_cmp_class_f64_e64 vcc_lo, v[5:6], 0x180
	v_fma_f64 v[3:4], v[3:4], v[5:6], 1.0
	v_mul_f64 v[7:8], v[5:6], v[3:4]
	v_fma_f64 v[3:4], 0x3fd80000, v[3:4], 0.5
	v_fma_f64 v[3:4], v[7:8], v[3:4], v[5:6]
	v_cndmask_b32_e32 v4, v6, v4, vcc_lo
	v_cndmask_b32_e32 v3, v5, v3, vcc_lo
	global_store_dwordx2 v0, v[1:2], s[4:5]
	global_store_dwordx2 v0, v[3:4], s[0:1]
.LBB1_56:
	s_endpgm
	.section	.rodata,"a",@progbits
	.p2align	6, 0x0
	.amdhsa_kernel _ZN2at6native12_GLOBAL__N_124RowwiseMomentsCUDAKernelIddLb0EEEvlT0_PKT_PS3_S7_
		.amdhsa_group_segment_fixed_size 1024
		.amdhsa_private_segment_fixed_size 0
		.amdhsa_kernarg_size 296
		.amdhsa_user_sgpr_count 6
		.amdhsa_user_sgpr_private_segment_buffer 1
		.amdhsa_user_sgpr_dispatch_ptr 0
		.amdhsa_user_sgpr_queue_ptr 0
		.amdhsa_user_sgpr_kernarg_segment_ptr 1
		.amdhsa_user_sgpr_dispatch_id 0
		.amdhsa_user_sgpr_flat_scratch_init 0
		.amdhsa_user_sgpr_private_segment_size 0
		.amdhsa_wavefront_size32 1
		.amdhsa_uses_dynamic_stack 0
		.amdhsa_system_sgpr_private_segment_wavefront_offset 0
		.amdhsa_system_sgpr_workgroup_id_x 1
		.amdhsa_system_sgpr_workgroup_id_y 0
		.amdhsa_system_sgpr_workgroup_id_z 0
		.amdhsa_system_sgpr_workgroup_info 0
		.amdhsa_system_vgpr_workitem_id 0
		.amdhsa_next_free_vgpr 30
		.amdhsa_next_free_sgpr 20
		.amdhsa_reserve_vcc 1
		.amdhsa_reserve_flat_scratch 0
		.amdhsa_float_round_mode_32 0
		.amdhsa_float_round_mode_16_64 0
		.amdhsa_float_denorm_mode_32 3
		.amdhsa_float_denorm_mode_16_64 3
		.amdhsa_dx10_clamp 1
		.amdhsa_ieee_mode 1
		.amdhsa_fp16_overflow 0
		.amdhsa_workgroup_processor_mode 1
		.amdhsa_memory_ordered 1
		.amdhsa_forward_progress 1
		.amdhsa_shared_vgpr_count 0
		.amdhsa_exception_fp_ieee_invalid_op 0
		.amdhsa_exception_fp_denorm_src 0
		.amdhsa_exception_fp_ieee_div_zero 0
		.amdhsa_exception_fp_ieee_overflow 0
		.amdhsa_exception_fp_ieee_underflow 0
		.amdhsa_exception_fp_ieee_inexact 0
		.amdhsa_exception_int_div_zero 0
	.end_amdhsa_kernel
	.section	.text._ZN2at6native12_GLOBAL__N_124RowwiseMomentsCUDAKernelIddLb0EEEvlT0_PKT_PS3_S7_,"axG",@progbits,_ZN2at6native12_GLOBAL__N_124RowwiseMomentsCUDAKernelIddLb0EEEvlT0_PKT_PS3_S7_,comdat
.Lfunc_end1:
	.size	_ZN2at6native12_GLOBAL__N_124RowwiseMomentsCUDAKernelIddLb0EEEvlT0_PKT_PS3_S7_, .Lfunc_end1-_ZN2at6native12_GLOBAL__N_124RowwiseMomentsCUDAKernelIddLb0EEEvlT0_PKT_PS3_S7_
                                        ; -- End function
	.set _ZN2at6native12_GLOBAL__N_124RowwiseMomentsCUDAKernelIddLb0EEEvlT0_PKT_PS3_S7_.num_vgpr, 30
	.set _ZN2at6native12_GLOBAL__N_124RowwiseMomentsCUDAKernelIddLb0EEEvlT0_PKT_PS3_S7_.num_agpr, 0
	.set _ZN2at6native12_GLOBAL__N_124RowwiseMomentsCUDAKernelIddLb0EEEvlT0_PKT_PS3_S7_.numbered_sgpr, 20
	.set _ZN2at6native12_GLOBAL__N_124RowwiseMomentsCUDAKernelIddLb0EEEvlT0_PKT_PS3_S7_.num_named_barrier, 0
	.set _ZN2at6native12_GLOBAL__N_124RowwiseMomentsCUDAKernelIddLb0EEEvlT0_PKT_PS3_S7_.private_seg_size, 0
	.set _ZN2at6native12_GLOBAL__N_124RowwiseMomentsCUDAKernelIddLb0EEEvlT0_PKT_PS3_S7_.uses_vcc, 1
	.set _ZN2at6native12_GLOBAL__N_124RowwiseMomentsCUDAKernelIddLb0EEEvlT0_PKT_PS3_S7_.uses_flat_scratch, 0
	.set _ZN2at6native12_GLOBAL__N_124RowwiseMomentsCUDAKernelIddLb0EEEvlT0_PKT_PS3_S7_.has_dyn_sized_stack, 0
	.set _ZN2at6native12_GLOBAL__N_124RowwiseMomentsCUDAKernelIddLb0EEEvlT0_PKT_PS3_S7_.has_recursion, 0
	.set _ZN2at6native12_GLOBAL__N_124RowwiseMomentsCUDAKernelIddLb0EEEvlT0_PKT_PS3_S7_.has_indirect_call, 0
	.section	.AMDGPU.csdata,"",@progbits
; Kernel info:
; codeLenInByte = 3868
; TotalNumSgprs: 22
; NumVgprs: 30
; ScratchSize: 0
; MemoryBound: 0
; FloatMode: 240
; IeeeMode: 1
; LDSByteSize: 1024 bytes/workgroup (compile time only)
; SGPRBlocks: 0
; VGPRBlocks: 3
; NumSGPRsForWavesPerEU: 22
; NumVGPRsForWavesPerEU: 30
; Occupancy: 16
; WaveLimiterHint : 0
; COMPUTE_PGM_RSRC2:SCRATCH_EN: 0
; COMPUTE_PGM_RSRC2:USER_SGPR: 6
; COMPUTE_PGM_RSRC2:TRAP_HANDLER: 0
; COMPUTE_PGM_RSRC2:TGID_X_EN: 1
; COMPUTE_PGM_RSRC2:TGID_Y_EN: 0
; COMPUTE_PGM_RSRC2:TGID_Z_EN: 0
; COMPUTE_PGM_RSRC2:TIDIG_COMP_CNT: 0
	.section	.text._ZN2at6native12_GLOBAL__N_126LayerNormForwardCUDAKernelIddLb0EEEvlPKT_PKT0_S8_S5_S5_PS3_,"axG",@progbits,_ZN2at6native12_GLOBAL__N_126LayerNormForwardCUDAKernelIddLb0EEEvlPKT_PKT0_S8_S5_S5_PS3_,comdat
	.globl	_ZN2at6native12_GLOBAL__N_126LayerNormForwardCUDAKernelIddLb0EEEvlPKT_PKT0_S8_S5_S5_PS3_ ; -- Begin function _ZN2at6native12_GLOBAL__N_126LayerNormForwardCUDAKernelIddLb0EEEvlPKT_PKT0_S8_S5_S5_PS3_
	.p2align	8
	.type	_ZN2at6native12_GLOBAL__N_126LayerNormForwardCUDAKernelIddLb0EEEvlPKT_PKT0_S8_S5_S5_PS3_,@function
_ZN2at6native12_GLOBAL__N_126LayerNormForwardCUDAKernelIddLb0EEEvlPKT_PKT0_S8_S5_S5_PS3_: ; @_ZN2at6native12_GLOBAL__N_126LayerNormForwardCUDAKernelIddLb0EEEvlPKT_PKT0_S8_S5_S5_PS3_
; %bb.0:
	s_load_dwordx8 s[8:15], s[4:5], 0x0
	v_mov_b32_e32 v1, 0
	s_mov_b32 s0, exec_lo
	s_waitcnt lgkmcnt(0)
	v_cmpx_gt_i64_e64 s[8:9], v[0:1]
	s_cbranch_execz .LBB2_8
; %bb.1:
	s_clause 0x1
	s_load_dwordx8 s[16:23], s[4:5], 0x20
	s_load_dword s0, s[4:5], 0x44
	s_mov_b32 s7, 0
	s_waitcnt lgkmcnt(0)
	s_mul_i32 s23, s9, s6
	s_mul_hi_u32 s25, s8, s6
	s_mul_i32 s24, s8, s6
	v_mov_b32_e32 v3, v1
	v_lshlrev_b32_e32 v8, 3, v0
	v_mov_b32_e32 v9, v1
	v_mov_b32_e32 v2, v0
	s_cmp_lg_u64 s[16:17], 0
	s_cselect_b32 s1, -1, 0
	s_cmp_lg_u64 s[18:19], 0
	s_cselect_b32 s22, -1, 0
	s_lshl_b64 s[4:5], s[6:7], 3
	s_add_u32 s2, s12, s4
	s_addc_u32 s3, s13, s5
	s_add_u32 s4, s14, s4
	s_addc_u32 s5, s15, s5
	s_add_i32 s25, s25, s23
	s_and_b32 s6, s0, 0xffff
	s_lshl_b64 s[14:15], s[24:25], 3
	s_add_u32 s10, s10, s14
	s_addc_u32 s11, s11, s15
	s_lshl_b32 s12, s6, 3
	s_add_u32 s13, s20, s14
	s_addc_u32 s14, s21, s15
	s_branch .LBB2_4
.LBB2_2:                                ;   in Loop: Header=BB2_4 Depth=1
	v_add_co_u32 v6, vcc_lo, s18, v8
	v_add_co_ci_u32_e64 v7, null, s19, v9, vcc_lo
	global_load_dwordx2 v[6:7], v[6:7], off
.LBB2_3:                                ;   in Loop: Header=BB2_4 Depth=1
	v_add_co_u32 v10, vcc_lo, s10, v8
	v_add_co_ci_u32_e64 v11, null, s11, v9, vcc_lo
	v_add_co_u32 v2, vcc_lo, v2, s6
	v_add_co_ci_u32_e64 v3, null, 0, v3, vcc_lo
	global_load_dwordx2 v[10:11], v[10:11], off
	s_clause 0x1
	global_load_dwordx2 v[12:13], v1, s[2:3]
	global_load_dwordx2 v[14:15], v1, s[4:5]
	s_waitcnt vmcnt(1)
	v_add_f64 v[10:11], v[10:11], -v[12:13]
	s_waitcnt vmcnt(0)
	v_mul_f64 v[10:11], v[10:11], v[14:15]
	v_fma_f64 v[4:5], v[4:5], v[10:11], v[6:7]
	v_add_co_u32 v6, vcc_lo, s13, v8
	v_add_co_ci_u32_e64 v7, null, s14, v9, vcc_lo
	v_cmp_le_i64_e32 vcc_lo, s[8:9], v[2:3]
	v_add_co_u32 v8, s0, v8, s12
	v_add_co_ci_u32_e64 v9, null, 0, v9, s0
	s_or_b32 s7, vcc_lo, s7
	global_store_dwordx2 v[6:7], v[4:5], off
	s_andn2_b32 exec_lo, exec_lo, s7
	s_cbranch_execz .LBB2_8
.LBB2_4:                                ; =>This Inner Loop Header: Depth=1
	s_andn2_b32 vcc_lo, exec_lo, s1
	s_cbranch_vccnz .LBB2_6
; %bb.5:                                ;   in Loop: Header=BB2_4 Depth=1
	v_add_co_u32 v4, vcc_lo, s16, v8
	v_add_co_ci_u32_e64 v5, null, s17, v9, vcc_lo
	global_load_dwordx2 v[4:5], v[4:5], off
	s_andn2_b32 vcc_lo, exec_lo, s22
	s_cbranch_vccz .LBB2_2
	s_branch .LBB2_7
.LBB2_6:                                ;   in Loop: Header=BB2_4 Depth=1
	v_mov_b32_e32 v4, 0
	v_mov_b32_e32 v5, 0x3ff00000
	s_andn2_b32 vcc_lo, exec_lo, s22
	s_cbranch_vccz .LBB2_2
.LBB2_7:                                ;   in Loop: Header=BB2_4 Depth=1
	v_mov_b32_e32 v6, 0
	v_mov_b32_e32 v7, 0
	s_branch .LBB2_3
.LBB2_8:
	s_endpgm
	.section	.rodata,"a",@progbits
	.p2align	6, 0x0
	.amdhsa_kernel _ZN2at6native12_GLOBAL__N_126LayerNormForwardCUDAKernelIddLb0EEEvlPKT_PKT0_S8_S5_S5_PS3_
		.amdhsa_group_segment_fixed_size 0
		.amdhsa_private_segment_fixed_size 0
		.amdhsa_kernarg_size 312
		.amdhsa_user_sgpr_count 6
		.amdhsa_user_sgpr_private_segment_buffer 1
		.amdhsa_user_sgpr_dispatch_ptr 0
		.amdhsa_user_sgpr_queue_ptr 0
		.amdhsa_user_sgpr_kernarg_segment_ptr 1
		.amdhsa_user_sgpr_dispatch_id 0
		.amdhsa_user_sgpr_flat_scratch_init 0
		.amdhsa_user_sgpr_private_segment_size 0
		.amdhsa_wavefront_size32 1
		.amdhsa_uses_dynamic_stack 0
		.amdhsa_system_sgpr_private_segment_wavefront_offset 0
		.amdhsa_system_sgpr_workgroup_id_x 1
		.amdhsa_system_sgpr_workgroup_id_y 0
		.amdhsa_system_sgpr_workgroup_id_z 0
		.amdhsa_system_sgpr_workgroup_info 0
		.amdhsa_system_vgpr_workitem_id 0
		.amdhsa_next_free_vgpr 16
		.amdhsa_next_free_sgpr 26
		.amdhsa_reserve_vcc 1
		.amdhsa_reserve_flat_scratch 0
		.amdhsa_float_round_mode_32 0
		.amdhsa_float_round_mode_16_64 0
		.amdhsa_float_denorm_mode_32 3
		.amdhsa_float_denorm_mode_16_64 3
		.amdhsa_dx10_clamp 1
		.amdhsa_ieee_mode 1
		.amdhsa_fp16_overflow 0
		.amdhsa_workgroup_processor_mode 1
		.amdhsa_memory_ordered 1
		.amdhsa_forward_progress 1
		.amdhsa_shared_vgpr_count 0
		.amdhsa_exception_fp_ieee_invalid_op 0
		.amdhsa_exception_fp_denorm_src 0
		.amdhsa_exception_fp_ieee_div_zero 0
		.amdhsa_exception_fp_ieee_overflow 0
		.amdhsa_exception_fp_ieee_underflow 0
		.amdhsa_exception_fp_ieee_inexact 0
		.amdhsa_exception_int_div_zero 0
	.end_amdhsa_kernel
	.section	.text._ZN2at6native12_GLOBAL__N_126LayerNormForwardCUDAKernelIddLb0EEEvlPKT_PKT0_S8_S5_S5_PS3_,"axG",@progbits,_ZN2at6native12_GLOBAL__N_126LayerNormForwardCUDAKernelIddLb0EEEvlPKT_PKT0_S8_S5_S5_PS3_,comdat
.Lfunc_end2:
	.size	_ZN2at6native12_GLOBAL__N_126LayerNormForwardCUDAKernelIddLb0EEEvlPKT_PKT0_S8_S5_S5_PS3_, .Lfunc_end2-_ZN2at6native12_GLOBAL__N_126LayerNormForwardCUDAKernelIddLb0EEEvlPKT_PKT0_S8_S5_S5_PS3_
                                        ; -- End function
	.set _ZN2at6native12_GLOBAL__N_126LayerNormForwardCUDAKernelIddLb0EEEvlPKT_PKT0_S8_S5_S5_PS3_.num_vgpr, 16
	.set _ZN2at6native12_GLOBAL__N_126LayerNormForwardCUDAKernelIddLb0EEEvlPKT_PKT0_S8_S5_S5_PS3_.num_agpr, 0
	.set _ZN2at6native12_GLOBAL__N_126LayerNormForwardCUDAKernelIddLb0EEEvlPKT_PKT0_S8_S5_S5_PS3_.numbered_sgpr, 26
	.set _ZN2at6native12_GLOBAL__N_126LayerNormForwardCUDAKernelIddLb0EEEvlPKT_PKT0_S8_S5_S5_PS3_.num_named_barrier, 0
	.set _ZN2at6native12_GLOBAL__N_126LayerNormForwardCUDAKernelIddLb0EEEvlPKT_PKT0_S8_S5_S5_PS3_.private_seg_size, 0
	.set _ZN2at6native12_GLOBAL__N_126LayerNormForwardCUDAKernelIddLb0EEEvlPKT_PKT0_S8_S5_S5_PS3_.uses_vcc, 1
	.set _ZN2at6native12_GLOBAL__N_126LayerNormForwardCUDAKernelIddLb0EEEvlPKT_PKT0_S8_S5_S5_PS3_.uses_flat_scratch, 0
	.set _ZN2at6native12_GLOBAL__N_126LayerNormForwardCUDAKernelIddLb0EEEvlPKT_PKT0_S8_S5_S5_PS3_.has_dyn_sized_stack, 0
	.set _ZN2at6native12_GLOBAL__N_126LayerNormForwardCUDAKernelIddLb0EEEvlPKT_PKT0_S8_S5_S5_PS3_.has_recursion, 0
	.set _ZN2at6native12_GLOBAL__N_126LayerNormForwardCUDAKernelIddLb0EEEvlPKT_PKT0_S8_S5_S5_PS3_.has_indirect_call, 0
	.section	.AMDGPU.csdata,"",@progbits
; Kernel info:
; codeLenInByte = 416
; TotalNumSgprs: 28
; NumVgprs: 16
; ScratchSize: 0
; MemoryBound: 0
; FloatMode: 240
; IeeeMode: 1
; LDSByteSize: 0 bytes/workgroup (compile time only)
; SGPRBlocks: 0
; VGPRBlocks: 1
; NumSGPRsForWavesPerEU: 28
; NumVGPRsForWavesPerEU: 16
; Occupancy: 16
; WaveLimiterHint : 0
; COMPUTE_PGM_RSRC2:SCRATCH_EN: 0
; COMPUTE_PGM_RSRC2:USER_SGPR: 6
; COMPUTE_PGM_RSRC2:TRAP_HANDLER: 0
; COMPUTE_PGM_RSRC2:TGID_X_EN: 1
; COMPUTE_PGM_RSRC2:TGID_Y_EN: 0
; COMPUTE_PGM_RSRC2:TGID_Z_EN: 0
; COMPUTE_PGM_RSRC2:TIDIG_COMP_CNT: 0
	.section	.text._ZN2at6native12_GLOBAL__N_128vectorized_layer_norm_kernelIffLb0EEEviT0_PKT_S6_S6_PS3_S7_PS4_,"axG",@progbits,_ZN2at6native12_GLOBAL__N_128vectorized_layer_norm_kernelIffLb0EEEviT0_PKT_S6_S6_PS3_S7_PS4_,comdat
	.globl	_ZN2at6native12_GLOBAL__N_128vectorized_layer_norm_kernelIffLb0EEEviT0_PKT_S6_S6_PS3_S7_PS4_ ; -- Begin function _ZN2at6native12_GLOBAL__N_128vectorized_layer_norm_kernelIffLb0EEEviT0_PKT_S6_S6_PS3_S7_PS4_
	.p2align	8
	.type	_ZN2at6native12_GLOBAL__N_128vectorized_layer_norm_kernelIffLb0EEEviT0_PKT_S6_S6_PS3_S7_PS4_,@function
_ZN2at6native12_GLOBAL__N_128vectorized_layer_norm_kernelIffLb0EEEviT0_PKT_S6_S6_PS3_S7_PS4_: ; @_ZN2at6native12_GLOBAL__N_128vectorized_layer_norm_kernelIffLb0EEEviT0_PKT_S6_S6_PS3_S7_PS4_
; %bb.0:
	s_clause 0x1
	s_load_dwordx4 s[16:19], s[4:5], 0x0
	s_load_dword s1, s[4:5], 0x44
	v_mov_b32_e32 v6, 0
	v_mov_b32_e32 v4, 0
	v_mov_b32_e32 v5, 0
	s_mov_b32 s7, 0
	s_waitcnt lgkmcnt(0)
	s_ashr_i32 s0, s16, 31
	s_and_b32 s3, s1, 0xffff
	s_mul_i32 s8, s0, s6
	s_lshr_b32 s0, s0, 30
	v_mul_u32_u24_e32 v2, s3, v1
	v_mad_u32_u24 v10, v1, s3, v0
	s_add_i32 s0, s16, s0
	s_mul_hi_u32 s2, s16, s6
	s_ashr_i32 s24, s0, 2
	v_add_lshl_u32 v11, v2, v0, 4
	v_cmp_gt_i32_e64 s0, s24, v10
	s_lshr_b32 s10, s1, 16
	s_add_i32 s23, s2, s8
	s_mul_i32 s22, s16, s6
	s_mul_i32 s20, s10, s3
	s_and_saveexec_b32 s11, s0
	s_cbranch_execz .LBB3_4
; %bb.1:
	s_lshl_b64 s[2:3], s[22:23], 2
	v_mov_b32_e32 v6, 0
	s_add_u32 s1, s18, s2
	s_addc_u32 s2, s19, s3
	v_add_co_u32 v2, s1, s1, v11
	v_add_co_ci_u32_e64 v3, null, s2, 0, s1
	v_mov_b32_e32 v7, v10
	v_add_co_u32 v2, vcc_lo, v2, 8
	v_add_co_ci_u32_e64 v3, null, 0, v3, vcc_lo
	v_mov_b32_e32 v4, 0
	v_mov_b32_e32 v5, 0
	s_ashr_i32 s21, s20, 31
	s_mov_b32 s12, s7
	s_lshl_b64 s[8:9], s[20:21], 4
.LBB3_2:                                ; =>This Inner Loop Header: Depth=1
	global_load_dwordx4 v[12:15], v[2:3], off offset:-8
	v_add_f32_e32 v8, 1.0, v6
	v_add_nc_u32_e32 v7, s20, v7
	v_div_scale_f32 v16, null, v8, v8, 1.0
	v_add_f32_e32 v9, 1.0, v8
	v_div_scale_f32 v17, vcc_lo, 1.0, v8, 1.0
	v_rcp_f32_e32 v19, v16
	v_div_scale_f32 v18, null, v9, v9, 1.0
	v_add_f32_e32 v20, 1.0, v9
	v_div_scale_f32 v21, s1, 1.0, v9, 1.0
	v_rcp_f32_e32 v22, v18
	v_div_scale_f32 v23, null, v20, v20, 1.0
	v_fma_f32 v25, -v16, v19, 1.0
	v_add_f32_e32 v6, 1.0, v20
	v_div_scale_f32 v24, s2, 1.0, v20, 1.0
	v_rcp_f32_e32 v26, v23
	v_fmac_f32_e32 v19, v25, v19
	v_fma_f32 v25, -v18, v22, 1.0
	v_div_scale_f32 v27, null, v6, v6, 1.0
	v_div_scale_f32 v28, s3, 1.0, v6, 1.0
	v_mul_f32_e32 v30, v17, v19
	v_fmac_f32_e32 v22, v25, v22
	v_rcp_f32_e32 v29, v27
	v_fma_f32 v25, -v23, v26, 1.0
	v_fma_f32 v31, -v16, v30, v17
	v_mul_f32_e32 v32, v21, v22
	v_fmac_f32_e32 v26, v25, v26
	v_fmac_f32_e32 v30, v31, v19
	v_fma_f32 v31, -v18, v32, v21
	v_fma_f32 v25, -v27, v29, 1.0
	v_mul_f32_e32 v33, v24, v26
	v_fma_f32 v16, -v16, v30, v17
	v_fmac_f32_e32 v32, v31, v22
	v_fmac_f32_e32 v29, v25, v29
	v_fma_f32 v17, -v23, v33, v24
	v_div_fmas_f32 v16, v16, v19, v30
	v_fma_f32 v18, -v18, v32, v21
	s_mov_b32 vcc_lo, s1
	v_mul_f32_e32 v25, v28, v29
	v_fmac_f32_e32 v33, v17, v26
	v_div_fixup_f32 v8, v16, v8, 1.0
	v_div_fmas_f32 v18, v18, v22, v32
	s_mov_b32 vcc_lo, s2
	v_fma_f32 v17, -v27, v25, v28
	v_fma_f32 v19, -v23, v33, v24
	v_cmp_le_i32_e64 s1, s24, v7
	v_fmac_f32_e32 v25, v17, v29
	v_div_fmas_f32 v17, v19, v26, v33
	s_mov_b32 vcc_lo, s3
	s_or_b32 s12, s1, s12
	v_div_fixup_f32 v17, v17, v20, 1.0
	s_waitcnt vmcnt(0)
	v_sub_f32_e32 v16, v12, v5
	v_fmac_f32_e32 v5, v8, v16
	v_div_fixup_f32 v8, v18, v9, 1.0
	v_sub_f32_e32 v9, v13, v5
	v_sub_f32_e32 v12, v12, v5
	v_fmac_f32_e32 v5, v8, v9
	v_fma_f32 v8, -v27, v25, v28
	v_fmac_f32_e32 v4, v16, v12
	v_sub_f32_e32 v18, v14, v5
	v_div_fmas_f32 v8, v8, v29, v25
	v_sub_f32_e32 v13, v13, v5
	v_add_co_u32 v2, vcc_lo, v2, s8
	v_fmac_f32_e32 v5, v17, v18
	v_div_fixup_f32 v8, v8, v6, 1.0
	v_fmac_f32_e32 v4, v9, v13
	v_add_co_ci_u32_e64 v3, null, s9, v3, vcc_lo
	v_sub_f32_e32 v12, v15, v5
	v_sub_f32_e32 v9, v14, v5
	v_fmac_f32_e32 v5, v8, v12
	v_fmac_f32_e32 v4, v18, v9
	v_sub_f32_e32 v8, v15, v5
	v_fmac_f32_e32 v4, v12, v8
	s_andn2_b32 exec_lo, exec_lo, s12
	s_cbranch_execnz .LBB3_2
; %bb.3:
	s_or_b32 exec_lo, exec_lo, s12
.LBB3_4:
	s_or_b32 exec_lo, exec_lo, s11
	v_mbcnt_lo_u32_b32 v2, -1, 0
	v_mov_b32_e32 v8, 0
	v_mov_b32_e32 v12, 0
	s_mov_b32 s1, exec_lo
	v_lshlrev_b32_e32 v3, 2, v2
	v_or_b32_e32 v3, 64, v3
	ds_bpermute_b32 v13, v3, v6
	ds_bpermute_b32 v9, v3, v5
	;; [unrolled: 1-line block ×3, first 2 shown]
	v_mov_b32_e32 v3, 0
	s_waitcnt lgkmcnt(2)
	v_add_f32_e32 v7, v6, v13
	v_cmpx_lt_f32_e32 0, v7
	s_cbranch_execz .LBB3_6
; %bb.5:
	v_div_scale_f32 v8, null, v7, v7, 1.0
	v_div_scale_f32 v16, vcc_lo, 1.0, v7, 1.0
	v_rcp_f32_e32 v12, v8
	v_fma_f32 v15, -v8, v12, 1.0
	v_fmac_f32_e32 v12, v15, v12
	v_mul_f32_e32 v15, v16, v12
	v_fma_f32 v17, -v8, v15, v16
	v_fmac_f32_e32 v15, v17, v12
	v_fma_f32 v8, -v8, v15, v16
	v_div_fmas_f32 v8, v8, v12, v15
	v_div_fixup_f32 v12, v8, v7, 1.0
	s_waitcnt lgkmcnt(1)
	v_sub_f32_e32 v8, v5, v9
	v_mul_f32_e32 v6, v6, v12
	v_mul_f32_e32 v15, v8, v8
	s_waitcnt lgkmcnt(0)
	v_add_f32_e32 v8, v4, v14
	v_mul_f32_e32 v4, v12, v13
	v_mul_f32_e32 v12, v5, v6
	;; [unrolled: 1-line block ×3, first 2 shown]
	v_fmac_f32_e32 v12, v4, v9
	v_fmac_f32_e32 v8, v5, v6
.LBB3_6:
	s_or_b32 exec_lo, exec_lo, s1
	v_cmp_gt_u32_e32 vcc_lo, 24, v2
	s_waitcnt lgkmcnt(1)
	v_mov_b32_e32 v9, 0
	s_mov_b32 s1, exec_lo
	v_cndmask_b32_e64 v4, 0, 8, vcc_lo
	v_add_lshl_u32 v4, v4, v2, 2
	ds_bpermute_b32 v6, v4, v7
	ds_bpermute_b32 v5, v4, v12
	ds_bpermute_b32 v13, v4, v8
	s_waitcnt lgkmcnt(2)
	v_add_f32_e32 v4, v7, v6
	v_cmpx_lt_f32_e32 0, v4
	s_cbranch_execz .LBB3_8
; %bb.7:
	v_div_scale_f32 v3, null, v4, v4, 1.0
	v_div_scale_f32 v15, vcc_lo, 1.0, v4, 1.0
	v_rcp_f32_e32 v9, v3
	v_fma_f32 v14, -v3, v9, 1.0
	v_fmac_f32_e32 v9, v14, v9
	v_mul_f32_e32 v14, v15, v9
	v_fma_f32 v16, -v3, v14, v15
	v_fmac_f32_e32 v14, v16, v9
	v_fma_f32 v3, -v3, v14, v15
	v_div_fmas_f32 v3, v3, v9, v14
	v_div_fixup_f32 v9, v3, v4, 1.0
	s_waitcnt lgkmcnt(1)
	v_sub_f32_e32 v3, v12, v5
	v_mul_f32_e32 v7, v7, v9
	v_mul_f32_e32 v14, v3, v3
	s_waitcnt lgkmcnt(0)
	v_add_f32_e32 v3, v8, v13
	v_mul_f32_e32 v8, v9, v6
	v_mul_f32_e32 v9, v12, v7
	v_mul_f32_e32 v6, v14, v6
	v_fmac_f32_e32 v9, v8, v5
	v_fmac_f32_e32 v3, v6, v7
.LBB3_8:
	s_or_b32 exec_lo, exec_lo, s1
	v_cmp_gt_u32_e32 vcc_lo, 28, v2
	v_mov_b32_e32 v8, 0
	v_mov_b32_e32 v12, 0
	s_mov_b32 s1, exec_lo
	s_waitcnt lgkmcnt(1)
	v_cndmask_b32_e64 v5, 0, 4, vcc_lo
	v_add_lshl_u32 v5, v5, v2, 2
	s_waitcnt lgkmcnt(0)
	ds_bpermute_b32 v13, v5, v4
	ds_bpermute_b32 v7, v5, v9
	;; [unrolled: 1-line block ×3, first 2 shown]
	v_mov_b32_e32 v5, 0
	s_waitcnt lgkmcnt(2)
	v_add_f32_e32 v6, v4, v13
	v_cmpx_lt_f32_e32 0, v6
	s_cbranch_execz .LBB3_10
; %bb.9:
	v_div_scale_f32 v8, null, v6, v6, 1.0
	v_div_scale_f32 v16, vcc_lo, 1.0, v6, 1.0
	v_rcp_f32_e32 v12, v8
	v_fma_f32 v15, -v8, v12, 1.0
	v_fmac_f32_e32 v12, v15, v12
	v_mul_f32_e32 v15, v16, v12
	v_fma_f32 v17, -v8, v15, v16
	v_fmac_f32_e32 v15, v17, v12
	v_fma_f32 v8, -v8, v15, v16
	v_div_fmas_f32 v8, v8, v12, v15
	v_div_fixup_f32 v12, v8, v6, 1.0
	s_waitcnt lgkmcnt(1)
	v_sub_f32_e32 v8, v9, v7
	v_mul_f32_e32 v4, v4, v12
	v_mul_f32_e32 v15, v8, v8
	s_waitcnt lgkmcnt(0)
	v_add_f32_e32 v8, v3, v14
	v_mul_f32_e32 v3, v12, v13
	v_mul_f32_e32 v12, v9, v4
	;; [unrolled: 1-line block ×3, first 2 shown]
	v_fmac_f32_e32 v12, v3, v7
	v_fmac_f32_e32 v8, v9, v4
.LBB3_10:
	s_or_b32 exec_lo, exec_lo, s1
	v_cmp_gt_u32_e32 vcc_lo, 30, v2
	v_mov_b32_e32 v9, 0
	s_mov_b32 s1, exec_lo
	v_cndmask_b32_e64 v3, 0, 2, vcc_lo
	s_waitcnt lgkmcnt(1)
	v_add_lshl_u32 v7, v3, v2, 2
	ds_bpermute_b32 v4, v7, v6
	ds_bpermute_b32 v3, v7, v12
	;; [unrolled: 1-line block ×3, first 2 shown]
	s_waitcnt lgkmcnt(2)
	v_add_f32_e32 v7, v6, v4
	v_cmpx_lt_f32_e32 0, v7
	s_cbranch_execz .LBB3_12
; %bb.11:
	v_div_scale_f32 v5, null, v7, v7, 1.0
	v_div_scale_f32 v15, vcc_lo, 1.0, v7, 1.0
	v_rcp_f32_e32 v9, v5
	v_fma_f32 v14, -v5, v9, 1.0
	v_fmac_f32_e32 v9, v14, v9
	v_mul_f32_e32 v14, v15, v9
	v_fma_f32 v16, -v5, v14, v15
	v_fmac_f32_e32 v14, v16, v9
	v_fma_f32 v5, -v5, v14, v15
	v_div_fmas_f32 v5, v5, v9, v14
	v_div_fixup_f32 v9, v5, v7, 1.0
	s_waitcnt lgkmcnt(1)
	v_sub_f32_e32 v5, v12, v3
	v_mul_f32_e32 v6, v6, v9
	v_mul_f32_e32 v14, v5, v5
	s_waitcnt lgkmcnt(0)
	v_add_f32_e32 v5, v8, v13
	v_mul_f32_e32 v8, v9, v4
	v_mul_f32_e32 v9, v12, v6
	;; [unrolled: 1-line block ×3, first 2 shown]
	v_fmac_f32_e32 v9, v8, v3
	v_fmac_f32_e32 v5, v4, v6
.LBB3_12:
	s_or_b32 exec_lo, exec_lo, s1
	v_cmp_ne_u32_e32 vcc_lo, 31, v2
	v_mov_b32_e32 v4, 0
	s_mov_b32 s1, exec_lo
	v_add_co_ci_u32_e64 v2, null, 0, v2, vcc_lo
	v_lshlrev_b32_e32 v2, 2, v2
	ds_bpermute_b32 v8, v2, v7
	ds_bpermute_b32 v6, v2, v9
	;; [unrolled: 1-line block ×3, first 2 shown]
	v_mov_b32_e32 v2, 0
	s_waitcnt lgkmcnt(2)
	v_add_f32_e32 v3, v7, v8
	v_cmpx_lt_f32_e32 0, v3
	s_cbranch_execz .LBB3_14
; %bb.13:
	v_div_scale_f32 v2, null, v3, v3, 1.0
	v_div_scale_f32 v14, vcc_lo, 1.0, v3, 1.0
	v_rcp_f32_e32 v4, v2
	v_fma_f32 v13, -v2, v4, 1.0
	v_fmac_f32_e32 v4, v13, v4
	v_mul_f32_e32 v13, v14, v4
	v_fma_f32 v15, -v2, v13, v14
	v_fmac_f32_e32 v13, v15, v4
	v_fma_f32 v2, -v2, v13, v14
	v_div_fmas_f32 v2, v2, v4, v13
	s_waitcnt lgkmcnt(1)
	v_sub_f32_e32 v4, v9, v6
	v_div_fixup_f32 v2, v2, v3, 1.0
	v_mul_f32_e32 v13, v4, v4
	s_waitcnt lgkmcnt(0)
	v_add_f32_e32 v4, v5, v12
	v_mul_f32_e32 v7, v7, v2
	v_mul_f32_e32 v5, v2, v8
	;; [unrolled: 1-line block ×4, first 2 shown]
	v_fmac_f32_e32 v4, v8, v7
	v_fmac_f32_e32 v2, v5, v6
.LBB3_14:
	s_or_b32 exec_lo, exec_lo, s1
	s_cmp_lt_u32 s10, 2
	s_cbranch_scc0 .LBB3_16
; %bb.15:
	v_mov_b32_e32 v5, 0
	v_cvt_f32_i32_e32 v7, s16
	s_waitcnt lgkmcnt(1)
	ds_bpermute_b32 v6, v5, v4
	s_waitcnt lgkmcnt(0)
	v_div_scale_f32 v9, null, v7, v7, v6
	v_div_scale_f32 v13, vcc_lo, v6, v7, v6
	v_rcp_f32_e32 v12, v9
	v_fma_f32 v8, -v9, v12, 1.0
	v_fmac_f32_e32 v12, v8, v12
	ds_bpermute_b32 v8, v5, v2
	v_mul_f32_e32 v14, v13, v12
	v_fma_f32 v15, -v9, v14, v13
	v_fmac_f32_e32 v14, v15, v12
	v_fma_f32 v5, -v9, v14, v13
	v_div_fmas_f32 v5, v5, v12, v14
	v_div_fixup_f32 v9, v5, v7, v6
	s_cbranch_execz .LBB3_17
	s_branch .LBB3_29
.LBB3_16:
                                        ; implicit-def: $vgpr9
.LBB3_17:
	s_waitcnt lgkmcnt(1)
	v_lshlrev_b32_e32 v6, 3, v1
	s_lshl_b32 s1, s10, 2
	s_add_i32 s3, s1, 0
	v_cmp_eq_u32_e64 s1, 0, v0
	v_lshl_add_u32 v5, v1, 2, s3
	v_add_nc_u32_e32 v6, 0, v6
.LBB3_18:                               ; =>This Inner Loop Header: Depth=1
	s_lshr_b32 s8, s10, 1
	s_and_b32 s2, s10, 0xfffe
	v_cmp_le_u32_e32 vcc_lo, s8, v1
	v_cmp_gt_u32_e64 s2, s2, v1
	s_and_b32 s9, s1, vcc_lo
	s_and_b32 s9, s9, s2
	s_and_saveexec_b32 s2, s9
	s_cbranch_execz .LBB3_20
; %bb.19:                               ;   in Loop: Header=BB3_18 Depth=1
	v_subrev_nc_u32_e32 v7, s8, v1
	s_waitcnt lgkmcnt(0)
	v_lshl_add_u32 v8, v7, 3, 0
	v_lshl_add_u32 v7, v7, 2, s3
	ds_write2_b32 v8, v2, v4 offset1:1
	ds_write_b32 v7, v3
.LBB3_20:                               ;   in Loop: Header=BB3_18 Depth=1
	s_or_b32 exec_lo, exec_lo, s2
	v_cmp_gt_u32_e32 vcc_lo, s8, v1
	s_waitcnt lgkmcnt(0)
	s_barrier
	buffer_gl0_inv
	s_and_b32 s9, s1, vcc_lo
	s_and_saveexec_b32 s2, s9
	s_cbranch_execz .LBB3_24
; %bb.21:                               ;   in Loop: Header=BB3_18 Depth=1
	ds_read_b32 v8, v5
	v_mov_b32_e32 v9, 0
	v_mov_b32_e32 v12, 0
	s_mov_b32 s9, exec_lo
	s_waitcnt lgkmcnt(0)
	v_add_f32_e32 v7, v3, v8
	v_cmpx_lt_f32_e32 0, v7
	s_cbranch_execz .LBB3_23
; %bb.22:                               ;   in Loop: Header=BB3_18 Depth=1
	v_div_scale_f32 v9, null, v7, v7, 1.0
	v_div_scale_f32 v15, vcc_lo, 1.0, v7, 1.0
	v_rcp_f32_e32 v14, v9
	v_fma_f32 v12, -v9, v14, 1.0
	v_fmac_f32_e32 v14, v12, v14
	ds_read2_b32 v[12:13], v6 offset1:1
	v_mul_f32_e32 v16, v15, v14
	v_fma_f32 v17, -v9, v16, v15
	v_fmac_f32_e32 v16, v17, v14
	v_fma_f32 v9, -v9, v16, v15
	v_div_fmas_f32 v9, v9, v14, v16
	v_div_fixup_f32 v14, v9, v7, 1.0
	s_waitcnt lgkmcnt(0)
	v_sub_f32_e32 v9, v2, v12
	v_mul_f32_e32 v15, v8, v14
	v_mul_f32_e32 v16, v9, v9
	v_add_f32_e32 v9, v4, v13
	v_mul_f32_e32 v3, v3, v14
	v_mul_f32_e32 v12, v15, v12
	;; [unrolled: 1-line block ×3, first 2 shown]
	v_fmac_f32_e32 v12, v2, v3
	v_fmac_f32_e32 v9, v3, v4
.LBB3_23:                               ;   in Loop: Header=BB3_18 Depth=1
	s_or_b32 exec_lo, exec_lo, s9
	v_mov_b32_e32 v2, v12
	v_mov_b32_e32 v4, v9
	;; [unrolled: 1-line block ×3, first 2 shown]
.LBB3_24:                               ;   in Loop: Header=BB3_18 Depth=1
	s_or_b32 exec_lo, exec_lo, s2
	s_cmp_lt_u32 s10, 4
	s_barrier
	buffer_gl0_inv
	s_cbranch_scc1 .LBB3_26
; %bb.25:                               ;   in Loop: Header=BB3_18 Depth=1
	s_mov_b32 s10, s8
	s_branch .LBB3_18
.LBB3_26:
	v_or_b32_e32 v0, v0, v1
	s_mov_b32 s1, exec_lo
	v_cmpx_eq_u32_e32 0, v0
	s_cbranch_execz .LBB3_28
; %bb.27:
	v_cvt_f32_i32_e32 v0, s16
	v_div_scale_f32 v1, null, v0, v0, v4
	v_div_scale_f32 v6, vcc_lo, v4, v0, v4
	v_rcp_f32_e32 v3, v1
	v_fma_f32 v5, -v1, v3, 1.0
	v_fmac_f32_e32 v3, v5, v3
	v_mul_f32_e32 v5, v6, v3
	v_fma_f32 v7, -v1, v5, v6
	v_fmac_f32_e32 v5, v7, v3
	v_fma_f32 v1, -v1, v5, v6
	v_div_fmas_f32 v1, v1, v3, v5
	v_div_fixup_f32 v0, v1, v0, v4
	v_mov_b32_e32 v1, 0
	ds_write2_b32 v1, v2, v0 offset1:1
.LBB3_28:
	s_or_b32 exec_lo, exec_lo, s1
	v_mov_b32_e32 v0, 0
	s_waitcnt lgkmcnt(0)
	s_barrier
	buffer_gl0_inv
	ds_read2_b32 v[8:9], v0 offset1:1
.LBB3_29:
	s_waitcnt lgkmcnt(0)
	v_add_f32_e32 v0, s17, v9
	s_clause 0x1
	s_load_dwordx8 s[8:15], s[4:5], 0x10
	s_load_dwordx2 s[2:3], s[4:5], 0x30
	v_mul_f32_e32 v1, 0x4b800000, v0
	v_cmp_gt_f32_e32 vcc_lo, 0x800000, v0
	v_cndmask_b32_e32 v0, v0, v1, vcc_lo
	v_rsq_f32_e32 v0, v0
	v_mul_f32_e32 v1, 0x45800000, v0
	v_cndmask_b32_e32 v9, v0, v1, vcc_lo
	s_and_saveexec_b32 s4, s0
	s_cbranch_execz .LBB3_44
; %bb.30:
	s_waitcnt lgkmcnt(0)
	s_cmp_eq_u64 s[8:9], 0
	v_mov_b32_e32 v13, v10
	s_cselect_b32 s5, -1, 0
	s_cmp_eq_u64 s[10:11], 0
	s_cselect_b32 s25, -1, 0
	s_lshl_b64 s[0:1], s[22:23], 2
	v_cndmask_b32_e64 v12, 0, 1, s25
	s_add_u32 s2, s2, s0
	s_addc_u32 s3, s3, s1
	s_add_u32 s16, s18, s0
	s_addc_u32 s17, s19, s1
	s_ashr_i32 s21, s20, 31
	s_or_b32 s18, s5, s25
	s_lshl_b64 s[0:1], s[20:21], 4
	s_mov_b32 s19, 0
	s_branch .LBB3_32
.LBB3_31:                               ;   in Loop: Header=BB3_32 Depth=1
	v_add_nc_u32_e32 v13, s20, v13
	s_waitcnt vmcnt(0)
	v_add_co_u32 v0, s21, s2, v11
	s_add_u32 s2, s2, s0
	v_add_co_ci_u32_e64 v1, null, s3, 0, s21
	s_addc_u32 s3, s3, s1
	s_add_u32 s16, s16, s0
	s_addc_u32 s17, s17, s1
	v_cmp_le_i32_e32 vcc_lo, s24, v13
	s_add_u32 s10, s10, s0
	s_addc_u32 s11, s11, s1
	s_add_u32 s8, s8, s0
	s_addc_u32 s9, s9, s1
	s_or_b32 s19, vcc_lo, s19
	global_store_dwordx4 v[0:1], v[4:7], off
	s_andn2_b32 exec_lo, exec_lo, s19
	s_cbranch_execz .LBB3_44
.LBB3_32:                               ; =>This Inner Loop Header: Depth=1
	v_add_co_u32 v0, s21, s16, v11
	v_add_co_ci_u32_e64 v1, null, s17, 0, s21
	s_and_b32 vcc_lo, exec_lo, s18
	s_mov_b32 s21, -1
                                        ; implicit-def: $vgpr4
	global_load_dwordx4 v[0:3], v[0:1], off
	s_cbranch_vccz .LBB3_42
; %bb.33:                               ;   in Loop: Header=BB3_32 Depth=1
	s_and_b32 vcc_lo, exec_lo, s5
                                        ; implicit-def: $vgpr4
	s_cbranch_vccz .LBB3_39
; %bb.34:                               ;   in Loop: Header=BB3_32 Depth=1
	v_cmp_ne_u32_e32 vcc_lo, 1, v12
                                        ; implicit-def: $vgpr4
	s_cbranch_vccnz .LBB3_36
; %bb.35:                               ;   in Loop: Header=BB3_32 Depth=1
	s_waitcnt vmcnt(0)
	v_sub_f32_e32 v4, v0, v8
	v_sub_f32_e32 v5, v1, v8
	v_sub_f32_e32 v6, v2, v8
	v_sub_f32_e32 v7, v3, v8
	s_mov_b32 s21, 0
	v_mul_f32_e32 v4, v9, v4
	v_mul_f32_e32 v5, v9, v5
	;; [unrolled: 1-line block ×4, first 2 shown]
.LBB3_36:                               ;   in Loop: Header=BB3_32 Depth=1
	s_andn2_b32 vcc_lo, exec_lo, s21
	s_cbranch_vccnz .LBB3_38
; %bb.37:                               ;   in Loop: Header=BB3_32 Depth=1
	v_add_co_u32 v4, s21, s10, v11
	v_add_co_ci_u32_e64 v5, null, s11, 0, s21
	s_waitcnt vmcnt(0)
	v_sub_f32_e32 v14, v0, v8
	v_sub_f32_e32 v15, v1, v8
	;; [unrolled: 1-line block ×3, first 2 shown]
	global_load_dwordx4 v[4:7], v[4:5], off
	v_sub_f32_e32 v17, v3, v8
	s_waitcnt vmcnt(0)
	v_fma_f32 v4, v9, v14, v4
	v_fma_f32 v5, v9, v15, v5
	;; [unrolled: 1-line block ×3, first 2 shown]
	v_fmac_f32_e32 v7, v9, v17
.LBB3_38:                               ;   in Loop: Header=BB3_32 Depth=1
	s_mov_b32 s21, 0
.LBB3_39:                               ;   in Loop: Header=BB3_32 Depth=1
	s_andn2_b32 vcc_lo, exec_lo, s21
	s_cbranch_vccnz .LBB3_41
; %bb.40:                               ;   in Loop: Header=BB3_32 Depth=1
	v_add_co_u32 v4, s21, s8, v11
	v_add_co_ci_u32_e64 v5, null, s9, 0, s21
	s_waitcnt vmcnt(0)
	v_sub_f32_e32 v14, v0, v8
	v_sub_f32_e32 v15, v1, v8
	;; [unrolled: 1-line block ×3, first 2 shown]
	global_load_dwordx4 v[4:7], v[4:5], off
	v_sub_f32_e32 v17, v3, v8
	v_mul_f32_e32 v14, v9, v14
	v_mul_f32_e32 v15, v9, v15
	;; [unrolled: 1-line block ×4, first 2 shown]
	s_waitcnt vmcnt(0)
	v_mul_f32_e32 v4, v14, v4
	v_mul_f32_e32 v5, v15, v5
	;; [unrolled: 1-line block ×4, first 2 shown]
.LBB3_41:                               ;   in Loop: Header=BB3_32 Depth=1
	s_mov_b32 s21, 0
.LBB3_42:                               ;   in Loop: Header=BB3_32 Depth=1
	s_andn2_b32 vcc_lo, exec_lo, s21
	s_cbranch_vccnz .LBB3_31
; %bb.43:                               ;   in Loop: Header=BB3_32 Depth=1
	v_add_co_u32 v4, s21, s8, v11
	v_add_co_ci_u32_e64 v5, null, s9, 0, s21
	v_add_co_u32 v6, s21, s10, v11
	v_add_co_ci_u32_e64 v7, null, s11, 0, s21
	global_load_dwordx4 v[14:17], v[4:5], off
	global_load_dwordx4 v[4:7], v[6:7], off
	s_waitcnt vmcnt(2)
	v_sub_f32_e32 v0, v0, v8
	v_sub_f32_e32 v1, v1, v8
	;; [unrolled: 1-line block ×4, first 2 shown]
	v_mul_f32_e32 v0, v9, v0
	v_mul_f32_e32 v1, v9, v1
	;; [unrolled: 1-line block ×4, first 2 shown]
	s_waitcnt vmcnt(0)
	v_fma_f32 v4, v0, v14, v4
	v_fma_f32 v5, v1, v15, v5
	;; [unrolled: 1-line block ×3, first 2 shown]
	v_fmac_f32_e32 v7, v3, v17
	s_branch .LBB3_31
.LBB3_44:
	s_or_b32 exec_lo, exec_lo, s4
	s_mov_b32 s0, exec_lo
	v_cmpx_eq_u32_e32 0, v10
	s_cbranch_execz .LBB3_46
; %bb.45:
	s_lshl_b64 s[0:1], s[6:7], 2
	v_mov_b32_e32 v0, 0
	s_waitcnt lgkmcnt(0)
	s_add_u32 s2, s12, s0
	s_addc_u32 s3, s13, s1
	s_add_u32 s0, s14, s0
	s_addc_u32 s1, s15, s1
	global_store_dword v0, v8, s[2:3]
	global_store_dword v0, v9, s[0:1]
.LBB3_46:
	s_endpgm
	.section	.rodata,"a",@progbits
	.p2align	6, 0x0
	.amdhsa_kernel _ZN2at6native12_GLOBAL__N_128vectorized_layer_norm_kernelIffLb0EEEviT0_PKT_S6_S6_PS3_S7_PS4_
		.amdhsa_group_segment_fixed_size 0
		.amdhsa_private_segment_fixed_size 0
		.amdhsa_kernarg_size 312
		.amdhsa_user_sgpr_count 6
		.amdhsa_user_sgpr_private_segment_buffer 1
		.amdhsa_user_sgpr_dispatch_ptr 0
		.amdhsa_user_sgpr_queue_ptr 0
		.amdhsa_user_sgpr_kernarg_segment_ptr 1
		.amdhsa_user_sgpr_dispatch_id 0
		.amdhsa_user_sgpr_flat_scratch_init 0
		.amdhsa_user_sgpr_private_segment_size 0
		.amdhsa_wavefront_size32 1
		.amdhsa_uses_dynamic_stack 0
		.amdhsa_system_sgpr_private_segment_wavefront_offset 0
		.amdhsa_system_sgpr_workgroup_id_x 1
		.amdhsa_system_sgpr_workgroup_id_y 0
		.amdhsa_system_sgpr_workgroup_id_z 0
		.amdhsa_system_sgpr_workgroup_info 0
		.amdhsa_system_vgpr_workitem_id 1
		.amdhsa_next_free_vgpr 34
		.amdhsa_next_free_sgpr 26
		.amdhsa_reserve_vcc 1
		.amdhsa_reserve_flat_scratch 0
		.amdhsa_float_round_mode_32 0
		.amdhsa_float_round_mode_16_64 0
		.amdhsa_float_denorm_mode_32 3
		.amdhsa_float_denorm_mode_16_64 3
		.amdhsa_dx10_clamp 1
		.amdhsa_ieee_mode 1
		.amdhsa_fp16_overflow 0
		.amdhsa_workgroup_processor_mode 1
		.amdhsa_memory_ordered 1
		.amdhsa_forward_progress 1
		.amdhsa_shared_vgpr_count 0
		.amdhsa_exception_fp_ieee_invalid_op 0
		.amdhsa_exception_fp_denorm_src 0
		.amdhsa_exception_fp_ieee_div_zero 0
		.amdhsa_exception_fp_ieee_overflow 0
		.amdhsa_exception_fp_ieee_underflow 0
		.amdhsa_exception_fp_ieee_inexact 0
		.amdhsa_exception_int_div_zero 0
	.end_amdhsa_kernel
	.section	.text._ZN2at6native12_GLOBAL__N_128vectorized_layer_norm_kernelIffLb0EEEviT0_PKT_S6_S6_PS3_S7_PS4_,"axG",@progbits,_ZN2at6native12_GLOBAL__N_128vectorized_layer_norm_kernelIffLb0EEEviT0_PKT_S6_S6_PS3_S7_PS4_,comdat
.Lfunc_end3:
	.size	_ZN2at6native12_GLOBAL__N_128vectorized_layer_norm_kernelIffLb0EEEviT0_PKT_S6_S6_PS3_S7_PS4_, .Lfunc_end3-_ZN2at6native12_GLOBAL__N_128vectorized_layer_norm_kernelIffLb0EEEviT0_PKT_S6_S6_PS3_S7_PS4_
                                        ; -- End function
	.set _ZN2at6native12_GLOBAL__N_128vectorized_layer_norm_kernelIffLb0EEEviT0_PKT_S6_S6_PS3_S7_PS4_.num_vgpr, 34
	.set _ZN2at6native12_GLOBAL__N_128vectorized_layer_norm_kernelIffLb0EEEviT0_PKT_S6_S6_PS3_S7_PS4_.num_agpr, 0
	.set _ZN2at6native12_GLOBAL__N_128vectorized_layer_norm_kernelIffLb0EEEviT0_PKT_S6_S6_PS3_S7_PS4_.numbered_sgpr, 26
	.set _ZN2at6native12_GLOBAL__N_128vectorized_layer_norm_kernelIffLb0EEEviT0_PKT_S6_S6_PS3_S7_PS4_.num_named_barrier, 0
	.set _ZN2at6native12_GLOBAL__N_128vectorized_layer_norm_kernelIffLb0EEEviT0_PKT_S6_S6_PS3_S7_PS4_.private_seg_size, 0
	.set _ZN2at6native12_GLOBAL__N_128vectorized_layer_norm_kernelIffLb0EEEviT0_PKT_S6_S6_PS3_S7_PS4_.uses_vcc, 1
	.set _ZN2at6native12_GLOBAL__N_128vectorized_layer_norm_kernelIffLb0EEEviT0_PKT_S6_S6_PS3_S7_PS4_.uses_flat_scratch, 0
	.set _ZN2at6native12_GLOBAL__N_128vectorized_layer_norm_kernelIffLb0EEEviT0_PKT_S6_S6_PS3_S7_PS4_.has_dyn_sized_stack, 0
	.set _ZN2at6native12_GLOBAL__N_128vectorized_layer_norm_kernelIffLb0EEEviT0_PKT_S6_S6_PS3_S7_PS4_.has_recursion, 0
	.set _ZN2at6native12_GLOBAL__N_128vectorized_layer_norm_kernelIffLb0EEEviT0_PKT_S6_S6_PS3_S7_PS4_.has_indirect_call, 0
	.section	.AMDGPU.csdata,"",@progbits
; Kernel info:
; codeLenInByte = 2904
; TotalNumSgprs: 28
; NumVgprs: 34
; ScratchSize: 0
; MemoryBound: 0
; FloatMode: 240
; IeeeMode: 1
; LDSByteSize: 0 bytes/workgroup (compile time only)
; SGPRBlocks: 0
; VGPRBlocks: 4
; NumSGPRsForWavesPerEU: 28
; NumVGPRsForWavesPerEU: 34
; Occupancy: 16
; WaveLimiterHint : 0
; COMPUTE_PGM_RSRC2:SCRATCH_EN: 0
; COMPUTE_PGM_RSRC2:USER_SGPR: 6
; COMPUTE_PGM_RSRC2:TRAP_HANDLER: 0
; COMPUTE_PGM_RSRC2:TGID_X_EN: 1
; COMPUTE_PGM_RSRC2:TGID_Y_EN: 0
; COMPUTE_PGM_RSRC2:TGID_Z_EN: 0
; COMPUTE_PGM_RSRC2:TIDIG_COMP_CNT: 1
	.section	.text._ZN2at6native12_GLOBAL__N_124RowwiseMomentsCUDAKernelIffLb0EEEvlT0_PKT_PS3_S7_,"axG",@progbits,_ZN2at6native12_GLOBAL__N_124RowwiseMomentsCUDAKernelIffLb0EEEvlT0_PKT_PS3_S7_,comdat
	.globl	_ZN2at6native12_GLOBAL__N_124RowwiseMomentsCUDAKernelIffLb0EEEvlT0_PKT_PS3_S7_ ; -- Begin function _ZN2at6native12_GLOBAL__N_124RowwiseMomentsCUDAKernelIffLb0EEEvlT0_PKT_PS3_S7_
	.p2align	8
	.type	_ZN2at6native12_GLOBAL__N_124RowwiseMomentsCUDAKernelIffLb0EEEvlT0_PKT_PS3_S7_,@function
_ZN2at6native12_GLOBAL__N_124RowwiseMomentsCUDAKernelIffLb0EEEvlT0_PKT_PS3_S7_: ; @_ZN2at6native12_GLOBAL__N_124RowwiseMomentsCUDAKernelIffLb0EEEvlT0_PKT_PS3_S7_
; %bb.0:
	s_clause 0x2
	s_load_dwordx2 s[10:11], s[4:5], 0x0
	s_load_dwordx4 s[0:3], s[4:5], 0x10
	s_load_dwordx2 s[8:9], s[4:5], 0x20
	v_mov_b32_e32 v1, 0
	v_mov_b32_e32 v2, 0
	;; [unrolled: 1-line block ×3, first 2 shown]
	s_mov_b32 s7, 0
	s_mov_b32 s14, exec_lo
	v_mov_b32_e32 v8, v1
	v_mov_b32_e32 v9, v1
	s_waitcnt lgkmcnt(0)
	v_cmpx_gt_i64_e64 s[10:11], v[0:1]
	s_cbranch_execz .LBB4_4
; %bb.1:
	s_load_dword s15, s[4:5], 0x34
	s_mul_i32 s13, s11, s6
	s_mul_hi_u32 s16, s10, s6
	s_mul_i32 s12, s10, s6
	s_add_i32 s13, s16, s13
	v_lshlrev_b32_e32 v2, 2, v0
	s_lshl_b64 s[12:13], s[12:13], 2
	v_mov_b32_e32 v5, v1
	v_mov_b32_e32 v8, 0
	;; [unrolled: 1-line block ×4, first 2 shown]
	s_mov_b32 s16, s7
	s_waitcnt lgkmcnt(0)
	s_and_b32 s15, s15, 0xffff
	s_add_u32 s0, s0, s12
	s_addc_u32 s1, s1, s13
	v_add_co_u32 v6, s0, s0, v2
	v_add_co_ci_u32_e64 v7, null, s1, 0, s0
	s_lshl_b32 s1, s15, 2
	s_mov_b64 s[12:13], 0
.LBB4_2:                                ; =>This Inner Loop Header: Depth=1
	global_load_dword v2, v[6:7], off
	s_add_u32 s12, s12, 1
	s_addc_u32 s13, s13, 0
	s_flbit_i32_b32 s0, s13
	s_min_u32 s0, s0, 32
	s_lshl_b64 s[18:19], s[12:13], s0
	s_sub_i32 s0, 32, s0
	s_min_u32 s17, s18, 1
	s_or_b32 s17, s19, s17
	v_cvt_f32_u32_e32 v1, s17
	v_ldexp_f32 v1, v1, s0
	s_waitcnt vmcnt(0)
	v_sub_f32_e32 v10, v2, v9
	v_div_scale_f32 v3, null, v1, v1, v10
	v_div_scale_f32 v13, vcc_lo, v10, v1, v10
	v_rcp_f32_e32 v11, v3
	v_fma_f32 v12, -v3, v11, 1.0
	v_fmac_f32_e32 v11, v12, v11
	v_mul_f32_e32 v12, v13, v11
	v_fma_f32 v14, -v3, v12, v13
	v_fmac_f32_e32 v12, v14, v11
	v_fma_f32 v3, -v3, v12, v13
	v_div_fmas_f32 v3, v3, v11, v12
	v_add_co_u32 v4, vcc_lo, v4, s15
	v_add_co_ci_u32_e64 v5, null, 0, v5, vcc_lo
	v_div_fixup_f32 v3, v3, v1, v10
	v_add_co_u32 v6, vcc_lo, v6, s1
	v_cmp_le_i64_e64 s0, s[10:11], v[4:5]
	v_add_co_ci_u32_e64 v7, null, 0, v7, vcc_lo
	v_add_f32_e32 v9, v9, v3
	s_or_b32 s16, s0, s16
	v_sub_f32_e32 v11, v2, v9
	v_mov_b32_e32 v2, s12
	v_mov_b32_e32 v3, s13
	v_fmac_f32_e32 v8, v10, v11
	s_andn2_b32 exec_lo, exec_lo, s16
	s_cbranch_execnz .LBB4_2
; %bb.3:
	s_or_b32 exec_lo, exec_lo, s16
.LBB4_4:
	s_or_b32 exec_lo, exec_lo, s14
	v_mbcnt_lo_u32_b32 v11, -1, 0
	s_mov_b32 s0, exec_lo
	v_lshl_or_b32 v7, v11, 2, 64
	ds_bpermute_b32 v12, v7, v9
	ds_bpermute_b32 v6, v7, v8
	ds_bpermute_b32 v4, v7, v2
	ds_bpermute_b32 v5, v7, v3
	ds_bpermute_b32 v14, v7, v1
	v_cmpx_neq_f32_e32 0, v1
	s_cbranch_execz .LBB4_8
; %bb.5:
	s_mov_b32 s1, exec_lo
	s_waitcnt lgkmcnt(0)
	v_cmpx_neq_f32_e32 0, v14
	s_cbranch_execz .LBB4_7
; %bb.6:
	v_add_f32_e32 v4, v1, v14
	v_add_f32_e32 v8, v8, v6
	v_div_scale_f32 v2, null, v4, v4, v14
	v_div_scale_f32 v10, vcc_lo, v14, v4, v14
	v_rcp_f32_e32 v3, v2
	v_fma_f32 v5, -v2, v3, 1.0
	v_fmac_f32_e32 v3, v5, v3
	v_mul_f32_e32 v5, v10, v3
	v_fma_f32 v13, -v2, v5, v10
	v_fmac_f32_e32 v5, v13, v3
	v_fma_f32 v2, -v2, v5, v10
	v_sub_f32_e32 v10, v12, v9
	v_div_fmas_f32 v2, v2, v3, v5
	v_mul_f32_e32 v3, v10, v10
	v_div_fixup_f32 v5, v2, v4, v14
	v_mul_f32_e32 v1, v1, v3
	v_mov_b32_e32 v2, -1
	v_mov_b32_e32 v3, -1
	v_fmac_f32_e32 v9, v10, v5
	v_fmac_f32_e32 v8, v1, v5
	v_mov_b32_e32 v1, v4
.LBB4_7:
	s_or_b32 exec_lo, exec_lo, s1
	v_mov_b32_e32 v5, v3
	v_mov_b32_e32 v14, v1
	v_mov_b32_e32 v4, v2
	v_mov_b32_e32 v6, v8
	v_mov_b32_e32 v12, v9
.LBB4_8:
	s_or_b32 exec_lo, exec_lo, s0
	v_cmp_gt_u32_e32 vcc_lo, 24, v11
	s_mov_b32 s0, exec_lo
	v_cndmask_b32_e64 v1, 0, 8, vcc_lo
	v_add_lshl_u32 v8, v1, v11, 2
	s_waitcnt lgkmcnt(4)
	ds_bpermute_b32 v13, v8, v12
	s_waitcnt lgkmcnt(4)
	ds_bpermute_b32 v10, v8, v6
	;; [unrolled: 2-line block ×5, first 2 shown]
	v_cmpx_neq_f32_e32 0, v14
	s_cbranch_execz .LBB4_12
; %bb.9:
	s_mov_b32 s1, exec_lo
	s_waitcnt lgkmcnt(0)
	v_cmpx_neq_f32_e32 0, v15
	s_cbranch_execz .LBB4_11
; %bb.10:
	v_add_f32_e32 v1, v14, v15
	v_add_f32_e32 v6, v6, v10
	v_div_scale_f32 v2, null, v1, v1, v15
	v_div_scale_f32 v5, vcc_lo, v15, v1, v15
	v_rcp_f32_e32 v3, v2
	v_fma_f32 v4, -v2, v3, 1.0
	v_fmac_f32_e32 v3, v4, v3
	v_mul_f32_e32 v4, v5, v3
	v_fma_f32 v9, -v2, v4, v5
	v_fmac_f32_e32 v4, v9, v3
	v_sub_f32_e32 v9, v13, v12
	v_fma_f32 v2, -v2, v4, v5
	v_div_fmas_f32 v2, v2, v3, v4
	v_mul_f32_e32 v3, v9, v9
	v_mov_b32_e32 v4, -1
	v_mov_b32_e32 v5, -1
	v_div_fixup_f32 v2, v2, v1, v15
	v_mul_f32_e32 v3, v14, v3
	v_mov_b32_e32 v14, v1
	v_fmac_f32_e32 v12, v9, v2
	v_fmac_f32_e32 v6, v3, v2
.LBB4_11:
	s_or_b32 exec_lo, exec_lo, s1
	v_mov_b32_e32 v1, v4
	v_mov_b32_e32 v15, v14
	;; [unrolled: 1-line block ×5, first 2 shown]
.LBB4_12:
	s_or_b32 exec_lo, exec_lo, s0
	v_cmp_gt_u32_e32 vcc_lo, 28, v11
	s_mov_b32 s0, exec_lo
	v_cndmask_b32_e64 v3, 0, 4, vcc_lo
	v_add_lshl_u32 v9, v3, v11, 2
	s_waitcnt lgkmcnt(4)
	ds_bpermute_b32 v14, v9, v13
	s_waitcnt lgkmcnt(4)
	ds_bpermute_b32 v12, v9, v10
	s_waitcnt lgkmcnt(4)
	ds_bpermute_b32 v3, v9, v1
	s_waitcnt lgkmcnt(4)
	ds_bpermute_b32 v4, v9, v2
	s_waitcnt lgkmcnt(4)
	ds_bpermute_b32 v16, v9, v15
	v_cmpx_neq_f32_e32 0, v15
	s_cbranch_execz .LBB4_16
; %bb.13:
	s_mov_b32 s1, exec_lo
	s_waitcnt lgkmcnt(0)
	v_cmpx_neq_f32_e32 0, v16
	s_cbranch_execz .LBB4_15
; %bb.14:
	v_add_f32_e32 v3, v15, v16
	v_add_f32_e32 v10, v10, v12
	v_div_scale_f32 v1, null, v3, v3, v16
	v_div_scale_f32 v5, vcc_lo, v16, v3, v16
	v_rcp_f32_e32 v2, v1
	v_fma_f32 v4, -v1, v2, 1.0
	v_fmac_f32_e32 v2, v4, v2
	v_mul_f32_e32 v4, v5, v2
	v_fma_f32 v6, -v1, v4, v5
	v_fmac_f32_e32 v4, v6, v2
	v_fma_f32 v1, -v1, v4, v5
	v_sub_f32_e32 v5, v14, v13
	v_div_fmas_f32 v1, v1, v2, v4
	v_mul_f32_e32 v2, v5, v5
	v_div_fixup_f32 v4, v1, v3, v16
	v_mul_f32_e32 v6, v15, v2
	v_mov_b32_e32 v1, -1
	v_mov_b32_e32 v2, -1
	v_mov_b32_e32 v15, v3
	v_fmac_f32_e32 v13, v5, v4
	v_fmac_f32_e32 v10, v6, v4
.LBB4_15:
	s_or_b32 exec_lo, exec_lo, s1
	v_mov_b32_e32 v4, v2
	v_mov_b32_e32 v16, v15
	;; [unrolled: 1-line block ×5, first 2 shown]
.LBB4_16:
	s_or_b32 exec_lo, exec_lo, s0
	v_cmp_gt_u32_e32 vcc_lo, 30, v11
	s_mov_b32 s0, exec_lo
	v_cndmask_b32_e64 v1, 0, 2, vcc_lo
	v_add_lshl_u32 v10, v1, v11, 2
	s_waitcnt lgkmcnt(4)
	ds_bpermute_b32 v15, v10, v14
	s_waitcnt lgkmcnt(4)
	ds_bpermute_b32 v13, v10, v12
	;; [unrolled: 2-line block ×5, first 2 shown]
	v_cmpx_neq_f32_e32 0, v16
	s_cbranch_execz .LBB4_20
; %bb.17:
	s_mov_b32 s1, exec_lo
	s_waitcnt lgkmcnt(0)
	v_cmpx_neq_f32_e32 0, v17
	s_cbranch_execz .LBB4_19
; %bb.18:
	v_add_f32_e32 v1, v16, v17
	v_add_f32_e32 v12, v12, v13
	v_div_scale_f32 v2, null, v1, v1, v17
	v_div_scale_f32 v5, vcc_lo, v17, v1, v17
	v_rcp_f32_e32 v3, v2
	v_fma_f32 v4, -v2, v3, 1.0
	v_fmac_f32_e32 v3, v4, v3
	v_mul_f32_e32 v4, v5, v3
	v_fma_f32 v6, -v2, v4, v5
	v_fmac_f32_e32 v4, v6, v3
	v_fma_f32 v2, -v2, v4, v5
	v_sub_f32_e32 v5, v15, v14
	v_div_fmas_f32 v2, v2, v3, v4
	v_mul_f32_e32 v3, v5, v5
	v_div_fixup_f32 v2, v2, v1, v17
	v_mul_f32_e32 v6, v16, v3
	v_mov_b32_e32 v3, -1
	v_mov_b32_e32 v4, -1
	v_mov_b32_e32 v16, v1
	v_fmac_f32_e32 v14, v5, v2
	v_fmac_f32_e32 v12, v6, v2
.LBB4_19:
	s_or_b32 exec_lo, exec_lo, s1
	v_mov_b32_e32 v6, v4
	v_mov_b32_e32 v17, v16
	;; [unrolled: 1-line block ×5, first 2 shown]
.LBB4_20:
	s_or_b32 exec_lo, exec_lo, s0
	v_cmp_ne_u32_e32 vcc_lo, 31, v11
	s_mov_b32 s0, exec_lo
	v_add_co_ci_u32_e64 v1, null, 0, v11, vcc_lo
	v_lshlrev_b32_e32 v11, 2, v1
	s_waitcnt lgkmcnt(4)
	ds_bpermute_b32 v1, v11, v15
	s_waitcnt lgkmcnt(4)
	ds_bpermute_b32 v2, v11, v13
	;; [unrolled: 2-line block ×5, first 2 shown]
	v_cmpx_neq_f32_e32 0, v17
	s_cbranch_execz .LBB4_24
; %bb.21:
	s_mov_b32 s1, exec_lo
	s_waitcnt lgkmcnt(0)
	v_cmpx_neq_f32_e32 0, v12
	s_cbranch_execz .LBB4_23
; %bb.22:
	v_add_f32_e32 v3, v17, v12
	v_sub_f32_e32 v1, v1, v15
	v_add_f32_e32 v13, v13, v2
	v_div_scale_f32 v4, null, v3, v3, v12
	v_div_scale_f32 v14, vcc_lo, v12, v3, v12
	v_rcp_f32_e32 v5, v4
	v_fma_f32 v6, -v4, v5, 1.0
	v_fmac_f32_e32 v5, v6, v5
	v_mul_f32_e32 v6, v14, v5
	v_fma_f32 v16, -v4, v6, v14
	v_fmac_f32_e32 v6, v16, v5
	v_fma_f32 v4, -v4, v6, v14
	v_div_fmas_f32 v4, v4, v5, v6
	v_mul_f32_e32 v5, v1, v1
	v_div_fixup_f32 v2, v4, v3, v12
	v_mul_f32_e32 v4, v17, v5
	v_mov_b32_e32 v5, -1
	v_mov_b32_e32 v6, -1
	v_mov_b32_e32 v17, v3
	v_fmac_f32_e32 v15, v1, v2
	v_fmac_f32_e32 v13, v4, v2
.LBB4_23:
	s_or_b32 exec_lo, exec_lo, s1
	v_mov_b32_e32 v3, v5
	v_mov_b32_e32 v12, v17
	;; [unrolled: 1-line block ×5, first 2 shown]
.LBB4_24:
	s_or_b32 exec_lo, exec_lo, s0
	v_and_b32_e32 v5, 31, v0
	s_mov_b32 s0, exec_lo
	s_waitcnt lgkmcnt(0)
	s_barrier
	buffer_gl0_inv
	v_cmpx_eq_u32_e32 0, v5
	s_cbranch_execz .LBB4_26
; %bb.25:
	v_lshrrev_b32_e32 v6, 5, v0
	v_mul_u32_u24_e32 v6, 24, v6
	ds_write2_b64 v6, v[1:2], v[3:4] offset1:1
	ds_write_b32 v6, v12 offset:16
.LBB4_26:
	s_or_b32 exec_lo, exec_lo, s0
	s_waitcnt lgkmcnt(0)
	s_barrier
	buffer_gl0_inv
	s_load_dword s0, s[4:5], 0x34
	v_mul_u32_u24_e32 v4, 24, v5
	v_mov_b32_e32 v2, 0
	v_mov_b32_e32 v1, 0
	s_waitcnt lgkmcnt(0)
	s_bfe_u32 s0, s0, 0xb0005
	v_cmp_gt_u32_e32 vcc_lo, s0, v0
	s_and_saveexec_b32 s0, vcc_lo
	s_cbranch_execnz .LBB4_55
; %bb.27:
	s_or_b32 exec_lo, exec_lo, s0
	s_and_saveexec_b32 s0, vcc_lo
	s_cbranch_execnz .LBB4_56
.LBB4_28:
	s_or_b32 exec_lo, exec_lo, s0
	v_mov_b32_e32 v3, 0
	s_and_saveexec_b32 s0, vcc_lo
.LBB4_29:
	ds_read_b32 v3, v4 offset:16
.LBB4_30:
	s_or_b32 exec_lo, exec_lo, s0
	s_mov_b32 s0, exec_lo
	v_cmpx_gt_u32_e32 32, v0
	s_cbranch_execz .LBB4_52
; %bb.31:
	s_waitcnt lgkmcnt(0)
	ds_bpermute_b32 v6, v7, v1
	ds_bpermute_b32 v4, v7, v2
	;; [unrolled: 1-line block ×3, first 2 shown]
	s_mov_b32 s1, exec_lo
	v_cmpx_neq_f32_e32 0, v3
	s_cbranch_execz .LBB4_35
; %bb.32:
	s_mov_b32 s10, exec_lo
	s_waitcnt lgkmcnt(0)
	v_cmpx_neq_f32_e32 0, v5
	s_cbranch_execz .LBB4_34
; %bb.33:
	v_add_f32_e32 v7, v3, v5
	v_sub_f32_e32 v6, v6, v1
	v_add_f32_e32 v2, v2, v4
	v_div_scale_f32 v12, null, v7, v7, v5
	v_div_scale_f32 v15, vcc_lo, v5, v7, v5
	v_rcp_f32_e32 v13, v12
	v_fma_f32 v14, -v12, v13, 1.0
	v_fmac_f32_e32 v13, v14, v13
	v_mul_f32_e32 v14, v15, v13
	v_fma_f32 v16, -v12, v14, v15
	v_fmac_f32_e32 v14, v16, v13
	v_fma_f32 v12, -v12, v14, v15
	v_div_fmas_f32 v12, v12, v13, v14
	v_mul_f32_e32 v13, v6, v6
	v_div_fixup_f32 v4, v12, v7, v5
	v_mul_f32_e32 v3, v3, v13
	v_fmac_f32_e32 v1, v6, v4
	v_fmac_f32_e32 v2, v3, v4
	v_mov_b32_e32 v3, v7
.LBB4_34:
	s_or_b32 exec_lo, exec_lo, s10
	v_mov_b32_e32 v5, v3
	v_mov_b32_e32 v4, v2
	;; [unrolled: 1-line block ×3, first 2 shown]
.LBB4_35:
	s_or_b32 exec_lo, exec_lo, s1
	s_waitcnt lgkmcnt(2)
	ds_bpermute_b32 v7, v8, v6
	s_waitcnt lgkmcnt(2)
	ds_bpermute_b32 v1, v8, v4
	;; [unrolled: 2-line block ×3, first 2 shown]
	s_mov_b32 s1, exec_lo
	v_cmpx_neq_f32_e32 0, v5
	s_cbranch_execz .LBB4_39
; %bb.36:
	s_mov_b32 s10, exec_lo
	s_waitcnt lgkmcnt(0)
	v_cmpx_neq_f32_e32 0, v3
	s_cbranch_execz .LBB4_38
; %bb.37:
	v_add_f32_e32 v2, v5, v3
	v_sub_f32_e32 v7, v7, v6
	v_add_f32_e32 v4, v4, v1
	v_div_scale_f32 v8, null, v2, v2, v3
	v_div_scale_f32 v14, vcc_lo, v3, v2, v3
	v_rcp_f32_e32 v12, v8
	v_fma_f32 v13, -v8, v12, 1.0
	v_fmac_f32_e32 v12, v13, v12
	v_mul_f32_e32 v13, v14, v12
	v_fma_f32 v15, -v8, v13, v14
	v_fmac_f32_e32 v13, v15, v12
	v_fma_f32 v8, -v8, v13, v14
	v_div_fmas_f32 v8, v8, v12, v13
	v_mul_f32_e32 v12, v7, v7
	v_div_fixup_f32 v1, v8, v2, v3
	v_mul_f32_e32 v3, v5, v12
	v_mov_b32_e32 v5, v2
	v_fmac_f32_e32 v6, v7, v1
	v_fmac_f32_e32 v4, v3, v1
.LBB4_38:
	s_or_b32 exec_lo, exec_lo, s10
	v_mov_b32_e32 v3, v5
	v_mov_b32_e32 v1, v4
	;; [unrolled: 1-line block ×3, first 2 shown]
.LBB4_39:
	s_or_b32 exec_lo, exec_lo, s1
	s_waitcnt lgkmcnt(2)
	ds_bpermute_b32 v8, v9, v7
	s_waitcnt lgkmcnt(2)
	ds_bpermute_b32 v2, v9, v1
	;; [unrolled: 2-line block ×3, first 2 shown]
	s_mov_b32 s1, exec_lo
	v_cmpx_neq_f32_e32 0, v3
	s_cbranch_execz .LBB4_43
; %bb.40:
	s_mov_b32 s10, exec_lo
	s_waitcnt lgkmcnt(0)
	v_cmpx_neq_f32_e32 0, v6
	s_cbranch_execz .LBB4_42
; %bb.41:
	v_add_f32_e32 v4, v3, v6
	v_sub_f32_e32 v8, v8, v7
	v_add_f32_e32 v1, v1, v2
	v_div_scale_f32 v5, null, v4, v4, v6
	v_div_scale_f32 v13, vcc_lo, v6, v4, v6
	v_rcp_f32_e32 v9, v5
	v_fma_f32 v12, -v5, v9, 1.0
	v_fmac_f32_e32 v9, v12, v9
	v_mul_f32_e32 v12, v13, v9
	v_fma_f32 v14, -v5, v12, v13
	v_fmac_f32_e32 v12, v14, v9
	v_fma_f32 v5, -v5, v12, v13
	v_div_fmas_f32 v5, v5, v9, v12
	v_mul_f32_e32 v9, v8, v8
	v_div_fixup_f32 v2, v5, v4, v6
	v_mul_f32_e32 v3, v3, v9
	v_fmac_f32_e32 v7, v8, v2
	v_fmac_f32_e32 v1, v3, v2
	v_mov_b32_e32 v3, v4
.LBB4_42:
	s_or_b32 exec_lo, exec_lo, s10
	v_mov_b32_e32 v6, v3
	v_mov_b32_e32 v2, v1
	;; [unrolled: 1-line block ×3, first 2 shown]
.LBB4_43:
	s_or_b32 exec_lo, exec_lo, s1
	s_waitcnt lgkmcnt(2)
	ds_bpermute_b32 v7, v10, v8
	s_waitcnt lgkmcnt(2)
	ds_bpermute_b32 v4, v10, v2
	;; [unrolled: 2-line block ×3, first 2 shown]
	s_mov_b32 s1, exec_lo
	v_cmpx_neq_f32_e32 0, v6
	s_cbranch_execz .LBB4_47
; %bb.44:
	s_mov_b32 s10, exec_lo
	s_waitcnt lgkmcnt(0)
	v_cmpx_neq_f32_e32 0, v5
	s_cbranch_execz .LBB4_46
; %bb.45:
	v_add_f32_e32 v1, v6, v5
	v_sub_f32_e32 v7, v7, v8
	v_add_f32_e32 v2, v2, v4
	v_div_scale_f32 v3, null, v1, v1, v5
	v_div_scale_f32 v12, vcc_lo, v5, v1, v5
	v_rcp_f32_e32 v9, v3
	v_fma_f32 v10, -v3, v9, 1.0
	v_fmac_f32_e32 v9, v10, v9
	v_mul_f32_e32 v10, v12, v9
	v_fma_f32 v13, -v3, v10, v12
	v_fmac_f32_e32 v10, v13, v9
	v_fma_f32 v3, -v3, v10, v12
	v_div_fmas_f32 v3, v3, v9, v10
	v_mul_f32_e32 v9, v7, v7
	v_div_fixup_f32 v3, v3, v1, v5
	v_mul_f32_e32 v4, v6, v9
	v_mov_b32_e32 v6, v1
	v_fmac_f32_e32 v8, v7, v3
	v_fmac_f32_e32 v2, v4, v3
.LBB4_46:
	s_or_b32 exec_lo, exec_lo, s10
	v_mov_b32_e32 v5, v6
	v_mov_b32_e32 v4, v2
	;; [unrolled: 1-line block ×3, first 2 shown]
.LBB4_47:
	s_or_b32 exec_lo, exec_lo, s1
	s_waitcnt lgkmcnt(2)
	ds_bpermute_b32 v1, v11, v7
	s_waitcnt lgkmcnt(2)
	ds_bpermute_b32 v2, v11, v4
	;; [unrolled: 2-line block ×3, first 2 shown]
	s_mov_b32 s1, exec_lo
	v_cmpx_neq_f32_e32 0, v5
	s_cbranch_execz .LBB4_51
; %bb.48:
	s_mov_b32 s10, exec_lo
	s_waitcnt lgkmcnt(0)
	v_cmpx_neq_f32_e32 0, v3
	s_cbranch_execz .LBB4_50
; %bb.49:
	v_add_f32_e32 v6, v5, v3
	v_sub_f32_e32 v1, v1, v7
	v_add_f32_e32 v4, v4, v2
	v_div_scale_f32 v8, null, v6, v6, v3
	v_div_scale_f32 v11, vcc_lo, v3, v6, v3
	v_rcp_f32_e32 v9, v8
	v_fma_f32 v10, -v8, v9, 1.0
	v_fmac_f32_e32 v9, v10, v9
	v_mul_f32_e32 v10, v11, v9
	v_fma_f32 v12, -v8, v10, v11
	v_fmac_f32_e32 v10, v12, v9
	v_fma_f32 v8, -v8, v10, v11
	v_div_fmas_f32 v8, v8, v9, v10
	v_mul_f32_e32 v9, v1, v1
	v_div_fixup_f32 v2, v8, v6, v3
	v_mul_f32_e32 v3, v5, v9
	v_mov_b32_e32 v5, v6
	v_fmac_f32_e32 v7, v1, v2
	v_fmac_f32_e32 v4, v3, v2
.LBB4_50:
	s_or_b32 exec_lo, exec_lo, s10
	v_mov_b32_e32 v3, v5
	v_mov_b32_e32 v2, v4
	;; [unrolled: 1-line block ×3, first 2 shown]
.LBB4_51:
	s_or_b32 exec_lo, exec_lo, s1
.LBB4_52:
	s_or_b32 exec_lo, exec_lo, s0
	s_mov_b32 s0, exec_lo
	v_cmpx_eq_u32_e32 0, v0
	s_cbranch_execz .LBB4_54
; %bb.53:
	s_waitcnt lgkmcnt(0)
	v_max_f32_e32 v0, v3, v3
	s_load_dword s0, s[4:5], 0x8
	v_max_f32_e32 v0, 0, v0
	v_div_scale_f32 v3, null, v0, v0, v2
	v_rcp_f32_e32 v4, v3
	v_fma_f32 v5, -v3, v4, 1.0
	v_fmac_f32_e32 v4, v5, v4
	v_div_scale_f32 v5, vcc_lo, v2, v0, v2
	v_mul_f32_e32 v6, v5, v4
	v_fma_f32 v7, -v3, v6, v5
	v_fmac_f32_e32 v6, v7, v4
	v_fma_f32 v3, -v3, v6, v5
	v_div_fmas_f32 v3, v3, v4, v6
	v_div_fixup_f32 v0, v3, v0, v2
	v_mov_b32_e32 v3, 0
	s_waitcnt lgkmcnt(0)
	v_add_f32_e32 v0, s0, v0
	s_lshl_b64 s[0:1], s[6:7], 2
	s_add_u32 s2, s2, s0
	s_addc_u32 s3, s3, s1
	v_mul_f32_e32 v2, 0x4b800000, v0
	v_cmp_gt_f32_e32 vcc_lo, 0x800000, v0
	s_add_u32 s0, s8, s0
	s_addc_u32 s1, s9, s1
	v_cndmask_b32_e32 v0, v0, v2, vcc_lo
	v_rsq_f32_e32 v0, v0
	v_mul_f32_e32 v2, 0x45800000, v0
	v_cndmask_b32_e32 v0, v0, v2, vcc_lo
	global_store_dword v3, v1, s[2:3]
	global_store_dword v3, v0, s[0:1]
.LBB4_54:
	s_endpgm
.LBB4_55:
	ds_read_b32 v1, v4
	s_or_b32 exec_lo, exec_lo, s0
	s_and_saveexec_b32 s0, vcc_lo
	s_cbranch_execz .LBB4_28
.LBB4_56:
	ds_read_b32 v2, v4 offset:4
	s_or_b32 exec_lo, exec_lo, s0
	v_mov_b32_e32 v3, 0
	s_and_saveexec_b32 s0, vcc_lo
	s_cbranch_execnz .LBB4_29
	s_branch .LBB4_30
	.section	.rodata,"a",@progbits
	.p2align	6, 0x0
	.amdhsa_kernel _ZN2at6native12_GLOBAL__N_124RowwiseMomentsCUDAKernelIffLb0EEEvlT0_PKT_PS3_S7_
		.amdhsa_group_segment_fixed_size 768
		.amdhsa_private_segment_fixed_size 0
		.amdhsa_kernarg_size 296
		.amdhsa_user_sgpr_count 6
		.amdhsa_user_sgpr_private_segment_buffer 1
		.amdhsa_user_sgpr_dispatch_ptr 0
		.amdhsa_user_sgpr_queue_ptr 0
		.amdhsa_user_sgpr_kernarg_segment_ptr 1
		.amdhsa_user_sgpr_dispatch_id 0
		.amdhsa_user_sgpr_flat_scratch_init 0
		.amdhsa_user_sgpr_private_segment_size 0
		.amdhsa_wavefront_size32 1
		.amdhsa_uses_dynamic_stack 0
		.amdhsa_system_sgpr_private_segment_wavefront_offset 0
		.amdhsa_system_sgpr_workgroup_id_x 1
		.amdhsa_system_sgpr_workgroup_id_y 0
		.amdhsa_system_sgpr_workgroup_id_z 0
		.amdhsa_system_sgpr_workgroup_info 0
		.amdhsa_system_vgpr_workitem_id 0
		.amdhsa_next_free_vgpr 18
		.amdhsa_next_free_sgpr 20
		.amdhsa_reserve_vcc 1
		.amdhsa_reserve_flat_scratch 0
		.amdhsa_float_round_mode_32 0
		.amdhsa_float_round_mode_16_64 0
		.amdhsa_float_denorm_mode_32 3
		.amdhsa_float_denorm_mode_16_64 3
		.amdhsa_dx10_clamp 1
		.amdhsa_ieee_mode 1
		.amdhsa_fp16_overflow 0
		.amdhsa_workgroup_processor_mode 1
		.amdhsa_memory_ordered 1
		.amdhsa_forward_progress 1
		.amdhsa_shared_vgpr_count 0
		.amdhsa_exception_fp_ieee_invalid_op 0
		.amdhsa_exception_fp_denorm_src 0
		.amdhsa_exception_fp_ieee_div_zero 0
		.amdhsa_exception_fp_ieee_overflow 0
		.amdhsa_exception_fp_ieee_underflow 0
		.amdhsa_exception_fp_ieee_inexact 0
		.amdhsa_exception_int_div_zero 0
	.end_amdhsa_kernel
	.section	.text._ZN2at6native12_GLOBAL__N_124RowwiseMomentsCUDAKernelIffLb0EEEvlT0_PKT_PS3_S7_,"axG",@progbits,_ZN2at6native12_GLOBAL__N_124RowwiseMomentsCUDAKernelIffLb0EEEvlT0_PKT_PS3_S7_,comdat
.Lfunc_end4:
	.size	_ZN2at6native12_GLOBAL__N_124RowwiseMomentsCUDAKernelIffLb0EEEvlT0_PKT_PS3_S7_, .Lfunc_end4-_ZN2at6native12_GLOBAL__N_124RowwiseMomentsCUDAKernelIffLb0EEEvlT0_PKT_PS3_S7_
                                        ; -- End function
	.set _ZN2at6native12_GLOBAL__N_124RowwiseMomentsCUDAKernelIffLb0EEEvlT0_PKT_PS3_S7_.num_vgpr, 18
	.set _ZN2at6native12_GLOBAL__N_124RowwiseMomentsCUDAKernelIffLb0EEEvlT0_PKT_PS3_S7_.num_agpr, 0
	.set _ZN2at6native12_GLOBAL__N_124RowwiseMomentsCUDAKernelIffLb0EEEvlT0_PKT_PS3_S7_.numbered_sgpr, 20
	.set _ZN2at6native12_GLOBAL__N_124RowwiseMomentsCUDAKernelIffLb0EEEvlT0_PKT_PS3_S7_.num_named_barrier, 0
	.set _ZN2at6native12_GLOBAL__N_124RowwiseMomentsCUDAKernelIffLb0EEEvlT0_PKT_PS3_S7_.private_seg_size, 0
	.set _ZN2at6native12_GLOBAL__N_124RowwiseMomentsCUDAKernelIffLb0EEEvlT0_PKT_PS3_S7_.uses_vcc, 1
	.set _ZN2at6native12_GLOBAL__N_124RowwiseMomentsCUDAKernelIffLb0EEEvlT0_PKT_PS3_S7_.uses_flat_scratch, 0
	.set _ZN2at6native12_GLOBAL__N_124RowwiseMomentsCUDAKernelIffLb0EEEvlT0_PKT_PS3_S7_.has_dyn_sized_stack, 0
	.set _ZN2at6native12_GLOBAL__N_124RowwiseMomentsCUDAKernelIffLb0EEEvlT0_PKT_PS3_S7_.has_recursion, 0
	.set _ZN2at6native12_GLOBAL__N_124RowwiseMomentsCUDAKernelIffLb0EEEvlT0_PKT_PS3_S7_.has_indirect_call, 0
	.section	.AMDGPU.csdata,"",@progbits
; Kernel info:
; codeLenInByte = 2936
; TotalNumSgprs: 22
; NumVgprs: 18
; ScratchSize: 0
; MemoryBound: 0
; FloatMode: 240
; IeeeMode: 1
; LDSByteSize: 768 bytes/workgroup (compile time only)
; SGPRBlocks: 0
; VGPRBlocks: 2
; NumSGPRsForWavesPerEU: 22
; NumVGPRsForWavesPerEU: 18
; Occupancy: 16
; WaveLimiterHint : 0
; COMPUTE_PGM_RSRC2:SCRATCH_EN: 0
; COMPUTE_PGM_RSRC2:USER_SGPR: 6
; COMPUTE_PGM_RSRC2:TRAP_HANDLER: 0
; COMPUTE_PGM_RSRC2:TGID_X_EN: 1
; COMPUTE_PGM_RSRC2:TGID_Y_EN: 0
; COMPUTE_PGM_RSRC2:TGID_Z_EN: 0
; COMPUTE_PGM_RSRC2:TIDIG_COMP_CNT: 0
	.section	.text._ZN2at6native12_GLOBAL__N_126LayerNormForwardCUDAKernelIffLb0EEEvlPKT_PKT0_S8_S5_S5_PS3_,"axG",@progbits,_ZN2at6native12_GLOBAL__N_126LayerNormForwardCUDAKernelIffLb0EEEvlPKT_PKT0_S8_S5_S5_PS3_,comdat
	.globl	_ZN2at6native12_GLOBAL__N_126LayerNormForwardCUDAKernelIffLb0EEEvlPKT_PKT0_S8_S5_S5_PS3_ ; -- Begin function _ZN2at6native12_GLOBAL__N_126LayerNormForwardCUDAKernelIffLb0EEEvlPKT_PKT0_S8_S5_S5_PS3_
	.p2align	8
	.type	_ZN2at6native12_GLOBAL__N_126LayerNormForwardCUDAKernelIffLb0EEEvlPKT_PKT0_S8_S5_S5_PS3_,@function
_ZN2at6native12_GLOBAL__N_126LayerNormForwardCUDAKernelIffLb0EEEvlPKT_PKT0_S8_S5_S5_PS3_: ; @_ZN2at6native12_GLOBAL__N_126LayerNormForwardCUDAKernelIffLb0EEEvlPKT_PKT0_S8_S5_S5_PS3_
; %bb.0:
	s_load_dwordx8 s[8:15], s[4:5], 0x0
	v_mov_b32_e32 v1, 0
	s_mov_b32 s0, exec_lo
	s_waitcnt lgkmcnt(0)
	v_cmpx_gt_i64_e64 s[8:9], v[0:1]
	s_cbranch_execz .LBB5_8
; %bb.1:
	s_clause 0x1
	s_load_dwordx8 s[16:23], s[4:5], 0x20
	s_load_dword s0, s[4:5], 0x44
	s_mov_b32 s7, 0
	s_waitcnt lgkmcnt(0)
	s_mul_i32 s23, s9, s6
	s_mul_hi_u32 s25, s8, s6
	s_mul_i32 s24, s8, s6
	v_mov_b32_e32 v3, v1
	v_lshlrev_b32_e32 v4, 2, v0
	v_mov_b32_e32 v5, v1
	v_mov_b32_e32 v2, v0
	s_cmp_lg_u64 s[16:17], 0
	s_cselect_b32 s1, -1, 0
	s_cmp_lg_u64 s[18:19], 0
	s_cselect_b32 s22, -1, 0
	s_lshl_b64 s[4:5], s[6:7], 2
	s_add_u32 s2, s12, s4
	s_addc_u32 s3, s13, s5
	s_add_u32 s4, s14, s4
	s_addc_u32 s5, s15, s5
	s_add_i32 s25, s25, s23
	s_and_b32 s6, s0, 0xffff
	s_lshl_b64 s[14:15], s[24:25], 2
	s_add_u32 s10, s10, s14
	s_addc_u32 s11, s11, s15
	s_lshl_b32 s12, s6, 2
	s_add_u32 s13, s20, s14
	s_addc_u32 s14, s21, s15
	s_branch .LBB5_4
.LBB5_2:                                ;   in Loop: Header=BB5_4 Depth=1
	v_add_co_u32 v6, vcc_lo, s18, v4
	v_add_co_ci_u32_e64 v7, null, s19, v5, vcc_lo
	global_load_dword v6, v[6:7], off
.LBB5_3:                                ;   in Loop: Header=BB5_4 Depth=1
	v_add_co_u32 v7, vcc_lo, s10, v4
	v_add_co_ci_u32_e64 v8, null, s11, v5, vcc_lo
	v_add_co_u32 v2, vcc_lo, v2, s6
	v_add_co_ci_u32_e64 v3, null, 0, v3, vcc_lo
	global_load_dword v7, v[7:8], off
	s_clause 0x1
	global_load_dword v8, v1, s[2:3]
	global_load_dword v9, v1, s[4:5]
	s_waitcnt vmcnt(1)
	v_sub_f32_e32 v7, v7, v8
	s_waitcnt vmcnt(0)
	v_mul_f32_e32 v9, v7, v9
	v_add_co_u32 v7, vcc_lo, s13, v4
	v_add_co_ci_u32_e64 v8, null, s14, v5, vcc_lo
	v_cmp_le_i64_e32 vcc_lo, s[8:9], v[2:3]
	v_add_co_u32 v4, s0, v4, s12
	v_fmac_f32_e32 v6, v0, v9
	v_add_co_ci_u32_e64 v5, null, 0, v5, s0
	s_or_b32 s7, vcc_lo, s7
	global_store_dword v[7:8], v6, off
	s_andn2_b32 exec_lo, exec_lo, s7
	s_cbranch_execz .LBB5_8
.LBB5_4:                                ; =>This Inner Loop Header: Depth=1
	s_andn2_b32 vcc_lo, exec_lo, s1
	s_cbranch_vccnz .LBB5_6
; %bb.5:                                ;   in Loop: Header=BB5_4 Depth=1
	v_add_co_u32 v6, vcc_lo, s16, v4
	v_add_co_ci_u32_e64 v7, null, s17, v5, vcc_lo
	global_load_dword v0, v[6:7], off
	s_andn2_b32 vcc_lo, exec_lo, s22
	s_cbranch_vccz .LBB5_2
	s_branch .LBB5_7
.LBB5_6:                                ;   in Loop: Header=BB5_4 Depth=1
	v_mov_b32_e32 v0, 1.0
	s_andn2_b32 vcc_lo, exec_lo, s22
	s_cbranch_vccz .LBB5_2
.LBB5_7:                                ;   in Loop: Header=BB5_4 Depth=1
	v_mov_b32_e32 v6, 0
	s_branch .LBB5_3
.LBB5_8:
	s_endpgm
	.section	.rodata,"a",@progbits
	.p2align	6, 0x0
	.amdhsa_kernel _ZN2at6native12_GLOBAL__N_126LayerNormForwardCUDAKernelIffLb0EEEvlPKT_PKT0_S8_S5_S5_PS3_
		.amdhsa_group_segment_fixed_size 0
		.amdhsa_private_segment_fixed_size 0
		.amdhsa_kernarg_size 312
		.amdhsa_user_sgpr_count 6
		.amdhsa_user_sgpr_private_segment_buffer 1
		.amdhsa_user_sgpr_dispatch_ptr 0
		.amdhsa_user_sgpr_queue_ptr 0
		.amdhsa_user_sgpr_kernarg_segment_ptr 1
		.amdhsa_user_sgpr_dispatch_id 0
		.amdhsa_user_sgpr_flat_scratch_init 0
		.amdhsa_user_sgpr_private_segment_size 0
		.amdhsa_wavefront_size32 1
		.amdhsa_uses_dynamic_stack 0
		.amdhsa_system_sgpr_private_segment_wavefront_offset 0
		.amdhsa_system_sgpr_workgroup_id_x 1
		.amdhsa_system_sgpr_workgroup_id_y 0
		.amdhsa_system_sgpr_workgroup_id_z 0
		.amdhsa_system_sgpr_workgroup_info 0
		.amdhsa_system_vgpr_workitem_id 0
		.amdhsa_next_free_vgpr 10
		.amdhsa_next_free_sgpr 26
		.amdhsa_reserve_vcc 1
		.amdhsa_reserve_flat_scratch 0
		.amdhsa_float_round_mode_32 0
		.amdhsa_float_round_mode_16_64 0
		.amdhsa_float_denorm_mode_32 3
		.amdhsa_float_denorm_mode_16_64 3
		.amdhsa_dx10_clamp 1
		.amdhsa_ieee_mode 1
		.amdhsa_fp16_overflow 0
		.amdhsa_workgroup_processor_mode 1
		.amdhsa_memory_ordered 1
		.amdhsa_forward_progress 1
		.amdhsa_shared_vgpr_count 0
		.amdhsa_exception_fp_ieee_invalid_op 0
		.amdhsa_exception_fp_denorm_src 0
		.amdhsa_exception_fp_ieee_div_zero 0
		.amdhsa_exception_fp_ieee_overflow 0
		.amdhsa_exception_fp_ieee_underflow 0
		.amdhsa_exception_fp_ieee_inexact 0
		.amdhsa_exception_int_div_zero 0
	.end_amdhsa_kernel
	.section	.text._ZN2at6native12_GLOBAL__N_126LayerNormForwardCUDAKernelIffLb0EEEvlPKT_PKT0_S8_S5_S5_PS3_,"axG",@progbits,_ZN2at6native12_GLOBAL__N_126LayerNormForwardCUDAKernelIffLb0EEEvlPKT_PKT0_S8_S5_S5_PS3_,comdat
.Lfunc_end5:
	.size	_ZN2at6native12_GLOBAL__N_126LayerNormForwardCUDAKernelIffLb0EEEvlPKT_PKT0_S8_S5_S5_PS3_, .Lfunc_end5-_ZN2at6native12_GLOBAL__N_126LayerNormForwardCUDAKernelIffLb0EEEvlPKT_PKT0_S8_S5_S5_PS3_
                                        ; -- End function
	.set _ZN2at6native12_GLOBAL__N_126LayerNormForwardCUDAKernelIffLb0EEEvlPKT_PKT0_S8_S5_S5_PS3_.num_vgpr, 10
	.set _ZN2at6native12_GLOBAL__N_126LayerNormForwardCUDAKernelIffLb0EEEvlPKT_PKT0_S8_S5_S5_PS3_.num_agpr, 0
	.set _ZN2at6native12_GLOBAL__N_126LayerNormForwardCUDAKernelIffLb0EEEvlPKT_PKT0_S8_S5_S5_PS3_.numbered_sgpr, 26
	.set _ZN2at6native12_GLOBAL__N_126LayerNormForwardCUDAKernelIffLb0EEEvlPKT_PKT0_S8_S5_S5_PS3_.num_named_barrier, 0
	.set _ZN2at6native12_GLOBAL__N_126LayerNormForwardCUDAKernelIffLb0EEEvlPKT_PKT0_S8_S5_S5_PS3_.private_seg_size, 0
	.set _ZN2at6native12_GLOBAL__N_126LayerNormForwardCUDAKernelIffLb0EEEvlPKT_PKT0_S8_S5_S5_PS3_.uses_vcc, 1
	.set _ZN2at6native12_GLOBAL__N_126LayerNormForwardCUDAKernelIffLb0EEEvlPKT_PKT0_S8_S5_S5_PS3_.uses_flat_scratch, 0
	.set _ZN2at6native12_GLOBAL__N_126LayerNormForwardCUDAKernelIffLb0EEEvlPKT_PKT0_S8_S5_S5_PS3_.has_dyn_sized_stack, 0
	.set _ZN2at6native12_GLOBAL__N_126LayerNormForwardCUDAKernelIffLb0EEEvlPKT_PKT0_S8_S5_S5_PS3_.has_recursion, 0
	.set _ZN2at6native12_GLOBAL__N_126LayerNormForwardCUDAKernelIffLb0EEEvlPKT_PKT0_S8_S5_S5_PS3_.has_indirect_call, 0
	.section	.AMDGPU.csdata,"",@progbits
; Kernel info:
; codeLenInByte = 392
; TotalNumSgprs: 28
; NumVgprs: 10
; ScratchSize: 0
; MemoryBound: 0
; FloatMode: 240
; IeeeMode: 1
; LDSByteSize: 0 bytes/workgroup (compile time only)
; SGPRBlocks: 0
; VGPRBlocks: 1
; NumSGPRsForWavesPerEU: 28
; NumVGPRsForWavesPerEU: 10
; Occupancy: 16
; WaveLimiterHint : 0
; COMPUTE_PGM_RSRC2:SCRATCH_EN: 0
; COMPUTE_PGM_RSRC2:USER_SGPR: 6
; COMPUTE_PGM_RSRC2:TRAP_HANDLER: 0
; COMPUTE_PGM_RSRC2:TGID_X_EN: 1
; COMPUTE_PGM_RSRC2:TGID_Y_EN: 0
; COMPUTE_PGM_RSRC2:TGID_Z_EN: 0
; COMPUTE_PGM_RSRC2:TIDIG_COMP_CNT: 0
	.section	.text._ZN2at6native12_GLOBAL__N_128vectorized_layer_norm_kernelIN3c104HalfEfLb0EEEviT0_PKT_S8_S8_PS5_S9_PS6_,"axG",@progbits,_ZN2at6native12_GLOBAL__N_128vectorized_layer_norm_kernelIN3c104HalfEfLb0EEEviT0_PKT_S8_S8_PS5_S9_PS6_,comdat
	.globl	_ZN2at6native12_GLOBAL__N_128vectorized_layer_norm_kernelIN3c104HalfEfLb0EEEviT0_PKT_S8_S8_PS5_S9_PS6_ ; -- Begin function _ZN2at6native12_GLOBAL__N_128vectorized_layer_norm_kernelIN3c104HalfEfLb0EEEviT0_PKT_S8_S8_PS5_S9_PS6_
	.p2align	8
	.type	_ZN2at6native12_GLOBAL__N_128vectorized_layer_norm_kernelIN3c104HalfEfLb0EEEviT0_PKT_S8_S8_PS5_S9_PS6_,@function
_ZN2at6native12_GLOBAL__N_128vectorized_layer_norm_kernelIN3c104HalfEfLb0EEEviT0_PKT_S8_S8_PS5_S9_PS6_: ; @_ZN2at6native12_GLOBAL__N_128vectorized_layer_norm_kernelIN3c104HalfEfLb0EEEviT0_PKT_S8_S8_PS5_S9_PS6_
; %bb.0:
	s_clause 0x1
	s_load_dwordx4 s[16:19], s[4:5], 0x0
	s_load_dword s1, s[4:5], 0x44
	v_mov_b32_e32 v6, 0
	v_mov_b32_e32 v4, 0
	;; [unrolled: 1-line block ×3, first 2 shown]
	s_mov_b32 s7, 0
	s_waitcnt lgkmcnt(0)
	s_ashr_i32 s0, s16, 31
	s_and_b32 s3, s1, 0xffff
	s_mul_i32 s8, s0, s6
	s_lshr_b32 s0, s0, 30
	v_mul_u32_u24_e32 v2, s3, v1
	v_mad_u32_u24 v7, v1, s3, v0
	s_add_i32 s0, s16, s0
	s_mul_hi_u32 s2, s16, s6
	s_ashr_i32 s24, s0, 2
	v_add_lshl_u32 v8, v2, v0, 3
	v_cmp_gt_i32_e64 s0, s24, v7
	s_lshr_b32 s10, s1, 16
	s_add_i32 s23, s2, s8
	s_mul_i32 s22, s16, s6
	s_mul_i32 s20, s10, s3
	s_and_saveexec_b32 s11, s0
	s_cbranch_execz .LBB6_4
; %bb.1:
	s_lshl_b64 s[2:3], s[22:23], 1
	v_mov_b32_e32 v6, 0
	s_add_u32 s1, s18, s2
	s_addc_u32 s2, s19, s3
	v_add_co_u32 v2, s1, s1, v8
	v_add_co_ci_u32_e64 v3, null, s2, 0, s1
	v_mov_b32_e32 v9, v7
	v_add_co_u32 v2, vcc_lo, v2, 2
	v_add_co_ci_u32_e64 v3, null, 0, v3, vcc_lo
	v_mov_b32_e32 v4, 0
	v_mov_b32_e32 v5, 0
	s_ashr_i32 s21, s20, 31
	s_mov_b32 s12, s7
	s_lshl_b64 s[8:9], s[20:21], 3
.LBB6_2:                                ; =>This Inner Loop Header: Depth=1
	global_load_dwordx2 v[10:11], v[2:3], off offset:-2
	v_add_f32_e32 v12, 1.0, v6
	v_add_nc_u32_e32 v9, s20, v9
	v_add_f32_e32 v13, 1.0, v12
	v_div_scale_f32 v14, null, v12, v12, 1.0
	v_div_scale_f32 v15, vcc_lo, 1.0, v12, 1.0
	v_div_scale_f32 v16, null, v13, v13, 1.0
	v_rcp_f32_e32 v17, v14
	v_add_f32_e32 v18, 1.0, v13
	v_div_scale_f32 v19, s1, 1.0, v13, 1.0
	v_rcp_f32_e32 v20, v16
	v_div_scale_f32 v21, null, v18, v18, 1.0
	v_add_f32_e32 v6, 1.0, v18
	v_div_scale_f32 v22, s2, 1.0, v18, 1.0
	v_fma_f32 v23, -v14, v17, 1.0
	v_rcp_f32_e32 v24, v21
	v_div_scale_f32 v25, null, v6, v6, 1.0
	v_div_scale_f32 v26, s3, 1.0, v6, 1.0
	v_fmac_f32_e32 v17, v23, v17
	v_fma_f32 v23, -v16, v20, 1.0
	v_rcp_f32_e32 v27, v25
	v_mul_f32_e32 v28, v15, v17
	v_fmac_f32_e32 v20, v23, v20
	v_fma_f32 v23, -v21, v24, 1.0
	v_fma_f32 v29, -v14, v28, v15
	v_mul_f32_e32 v30, v19, v20
	v_fmac_f32_e32 v24, v23, v24
	v_fma_f32 v23, -v25, v27, 1.0
	v_fmac_f32_e32 v28, v29, v17
	v_fma_f32 v29, -v16, v30, v19
	v_mul_f32_e32 v31, v22, v24
	v_fmac_f32_e32 v27, v23, v27
	v_fma_f32 v14, -v14, v28, v15
	v_fmac_f32_e32 v30, v29, v20
	v_fma_f32 v15, -v21, v31, v22
	v_mul_f32_e32 v23, v26, v27
	v_div_fmas_f32 v14, v14, v17, v28
	s_mov_b32 vcc_lo, s1
	v_fmac_f32_e32 v31, v15, v24
	v_fma_f32 v15, -v16, v30, v19
	v_fma_f32 v16, -v25, v23, v26
	v_div_fixup_f32 v12, v14, v12, 1.0
	v_cmp_le_i32_e64 s1, s24, v9
	v_fma_f32 v14, -v21, v31, v22
	v_div_fmas_f32 v15, v15, v20, v30
	s_mov_b32 vcc_lo, s2
	v_fmac_f32_e32 v23, v16, v27
	s_or_b32 s12, s1, s12
	v_div_fmas_f32 v14, v14, v24, v31
	v_div_fixup_f32 v13, v15, v13, 1.0
	s_mov_b32 vcc_lo, s3
	v_fma_f32 v15, -v25, v23, v26
	v_div_fixup_f32 v14, v14, v18, 1.0
	v_div_fmas_f32 v15, v15, v27, v23
	v_add_co_u32 v2, vcc_lo, v2, s8
	v_add_co_ci_u32_e64 v3, null, s9, v3, vcc_lo
	v_div_fixup_f32 v15, v15, v6, 1.0
	s_waitcnt vmcnt(0)
	v_cvt_f32_f16_e32 v16, v10
	v_cvt_f32_f16_sdwa v10, v10 dst_sel:DWORD dst_unused:UNUSED_PAD src0_sel:WORD_1
	v_cvt_f32_f16_e32 v17, v11
	v_cvt_f32_f16_sdwa v11, v11 dst_sel:DWORD dst_unused:UNUSED_PAD src0_sel:WORD_1
	v_sub_f32_e32 v18, v16, v5
	v_fmac_f32_e32 v5, v12, v18
	v_sub_f32_e32 v12, v10, v5
	v_sub_f32_e32 v16, v16, v5
	v_fmac_f32_e32 v5, v13, v12
	v_fmac_f32_e32 v4, v18, v16
	v_sub_f32_e32 v13, v17, v5
	v_mov_b32_e32 v19, v5
	v_sub_f32_e32 v5, v10, v5
	v_fmac_f32_e32 v19, v14, v13
	v_fmac_f32_e32 v4, v12, v5
	v_sub_f32_e32 v10, v11, v19
	v_sub_f32_e32 v12, v17, v19
	v_fma_f32 v5, v15, v10, v19
	v_fmac_f32_e32 v4, v13, v12
	v_sub_f32_e32 v11, v11, v5
	v_fmac_f32_e32 v4, v10, v11
	s_andn2_b32 exec_lo, exec_lo, s12
	s_cbranch_execnz .LBB6_2
; %bb.3:
	s_or_b32 exec_lo, exec_lo, s12
.LBB6_4:
	s_or_b32 exec_lo, exec_lo, s11
	v_mbcnt_lo_u32_b32 v2, -1, 0
	v_mov_b32_e32 v10, 0
	v_mov_b32_e32 v11, 0
	s_mov_b32 s1, exec_lo
	v_lshlrev_b32_e32 v3, 2, v2
	v_or_b32_e32 v3, 64, v3
	ds_bpermute_b32 v13, v3, v6
	ds_bpermute_b32 v12, v3, v5
	;; [unrolled: 1-line block ×3, first 2 shown]
	v_mov_b32_e32 v3, 0
	s_waitcnt lgkmcnt(2)
	v_add_f32_e32 v9, v6, v13
	v_cmpx_lt_f32_e32 0, v9
	s_cbranch_execz .LBB6_6
; %bb.5:
	v_div_scale_f32 v10, null, v9, v9, 1.0
	v_div_scale_f32 v16, vcc_lo, 1.0, v9, 1.0
	v_rcp_f32_e32 v11, v10
	v_fma_f32 v15, -v10, v11, 1.0
	v_fmac_f32_e32 v11, v15, v11
	v_mul_f32_e32 v15, v16, v11
	v_fma_f32 v17, -v10, v15, v16
	v_fmac_f32_e32 v15, v17, v11
	v_fma_f32 v10, -v10, v15, v16
	v_div_fmas_f32 v10, v10, v11, v15
	v_div_fixup_f32 v11, v10, v9, 1.0
	s_waitcnt lgkmcnt(1)
	v_sub_f32_e32 v10, v5, v12
	v_mul_f32_e32 v6, v6, v11
	v_mul_f32_e32 v15, v10, v10
	s_waitcnt lgkmcnt(0)
	v_add_f32_e32 v10, v4, v14
	v_mul_f32_e32 v4, v11, v13
	v_mul_f32_e32 v11, v5, v6
	;; [unrolled: 1-line block ×3, first 2 shown]
	v_fmac_f32_e32 v11, v4, v12
	v_fmac_f32_e32 v10, v5, v6
.LBB6_6:
	s_or_b32 exec_lo, exec_lo, s1
	v_cmp_gt_u32_e32 vcc_lo, 24, v2
	v_mov_b32_e32 v6, 0
	s_mov_b32 s1, exec_lo
	v_cndmask_b32_e64 v4, 0, 8, vcc_lo
	v_add_lshl_u32 v4, v4, v2, 2
	s_waitcnt lgkmcnt(1)
	ds_bpermute_b32 v12, v4, v9
	ds_bpermute_b32 v5, v4, v11
	;; [unrolled: 1-line block ×3, first 2 shown]
	s_waitcnt lgkmcnt(2)
	v_add_f32_e32 v4, v9, v12
	v_cmpx_lt_f32_e32 0, v4
	s_cbranch_execz .LBB6_8
; %bb.7:
	v_div_scale_f32 v3, null, v4, v4, 1.0
	v_div_scale_f32 v15, vcc_lo, 1.0, v4, 1.0
	v_rcp_f32_e32 v6, v3
	v_fma_f32 v14, -v3, v6, 1.0
	v_fmac_f32_e32 v6, v14, v6
	v_mul_f32_e32 v14, v15, v6
	v_fma_f32 v16, -v3, v14, v15
	v_fmac_f32_e32 v14, v16, v6
	v_fma_f32 v3, -v3, v14, v15
	v_div_fmas_f32 v3, v3, v6, v14
	v_div_fixup_f32 v6, v3, v4, 1.0
	s_waitcnt lgkmcnt(1)
	v_sub_f32_e32 v3, v11, v5
	v_mul_f32_e32 v9, v9, v6
	v_mul_f32_e32 v14, v3, v3
	s_waitcnt lgkmcnt(0)
	v_add_f32_e32 v3, v10, v13
	v_mul_f32_e32 v10, v6, v12
	v_mul_f32_e32 v6, v11, v9
	;; [unrolled: 1-line block ×3, first 2 shown]
	v_fmac_f32_e32 v6, v10, v5
	v_fmac_f32_e32 v3, v11, v9
.LBB6_8:
	s_or_b32 exec_lo, exec_lo, s1
	v_cmp_gt_u32_e32 vcc_lo, 28, v2
	v_mov_b32_e32 v9, 0
	v_mov_b32_e32 v10, 0
	;; [unrolled: 1-line block ×3, first 2 shown]
	s_mov_b32 s1, exec_lo
	s_waitcnt lgkmcnt(1)
	v_cndmask_b32_e64 v5, 0, 4, vcc_lo
	v_add_lshl_u32 v5, v5, v2, 2
	s_waitcnt lgkmcnt(0)
	ds_bpermute_b32 v13, v5, v4
	ds_bpermute_b32 v11, v5, v6
	;; [unrolled: 1-line block ×3, first 2 shown]
	s_waitcnt lgkmcnt(2)
	v_add_f32_e32 v5, v4, v13
	v_cmpx_lt_f32_e32 0, v5
	s_cbranch_execz .LBB6_10
; %bb.9:
	v_div_scale_f32 v10, null, v5, v5, 1.0
	v_div_scale_f32 v16, vcc_lo, 1.0, v5, 1.0
	v_rcp_f32_e32 v12, v10
	v_fma_f32 v15, -v10, v12, 1.0
	v_fmac_f32_e32 v12, v15, v12
	v_mul_f32_e32 v15, v16, v12
	v_fma_f32 v17, -v10, v15, v16
	v_fmac_f32_e32 v15, v17, v12
	v_fma_f32 v10, -v10, v15, v16
	v_div_fmas_f32 v10, v10, v12, v15
	v_div_fixup_f32 v12, v10, v5, 1.0
	s_waitcnt lgkmcnt(1)
	v_sub_f32_e32 v10, v6, v11
	v_mul_f32_e32 v4, v4, v12
	v_mul_f32_e32 v15, v10, v10
	s_waitcnt lgkmcnt(0)
	v_add_f32_e32 v10, v3, v14
	v_mul_f32_e32 v3, v12, v13
	v_mul_f32_e32 v12, v6, v4
	;; [unrolled: 1-line block ×3, first 2 shown]
	v_fmac_f32_e32 v12, v3, v11
	v_fmac_f32_e32 v10, v6, v4
.LBB6_10:
	s_or_b32 exec_lo, exec_lo, s1
	v_cmp_gt_u32_e32 vcc_lo, 30, v2
	s_waitcnt lgkmcnt(1)
	v_mov_b32_e32 v11, 0
	s_mov_b32 s1, exec_lo
	v_cndmask_b32_e64 v3, 0, 2, vcc_lo
	v_add_lshl_u32 v3, v3, v2, 2
	ds_bpermute_b32 v6, v3, v5
	ds_bpermute_b32 v4, v3, v12
	;; [unrolled: 1-line block ×3, first 2 shown]
	s_waitcnt lgkmcnt(2)
	v_add_f32_e32 v3, v5, v6
	v_cmpx_lt_f32_e32 0, v3
	s_cbranch_execz .LBB6_12
; %bb.11:
	v_div_scale_f32 v9, null, v3, v3, 1.0
	v_div_scale_f32 v15, vcc_lo, 1.0, v3, 1.0
	v_rcp_f32_e32 v11, v9
	v_fma_f32 v14, -v9, v11, 1.0
	v_fmac_f32_e32 v11, v14, v11
	v_mul_f32_e32 v14, v15, v11
	v_fma_f32 v16, -v9, v14, v15
	v_fmac_f32_e32 v14, v16, v11
	v_fma_f32 v9, -v9, v14, v15
	v_div_fmas_f32 v9, v9, v11, v14
	v_div_fixup_f32 v11, v9, v3, 1.0
	s_waitcnt lgkmcnt(1)
	v_sub_f32_e32 v9, v12, v4
	v_mul_f32_e32 v5, v5, v11
	v_mul_f32_e32 v14, v9, v9
	s_waitcnt lgkmcnt(0)
	v_add_f32_e32 v9, v10, v13
	v_mul_f32_e32 v10, v11, v6
	v_mul_f32_e32 v11, v12, v5
	;; [unrolled: 1-line block ×3, first 2 shown]
	v_fmac_f32_e32 v11, v10, v4
	v_fmac_f32_e32 v9, v6, v5
.LBB6_12:
	s_or_b32 exec_lo, exec_lo, s1
	v_cmp_ne_u32_e32 vcc_lo, 31, v2
	v_mov_b32_e32 v6, 0
	s_mov_b32 s1, exec_lo
	v_add_co_ci_u32_e64 v2, null, 0, v2, vcc_lo
	s_waitcnt lgkmcnt(1)
	v_lshlrev_b32_e32 v4, 2, v2
	ds_bpermute_b32 v10, v4, v3
	ds_bpermute_b32 v2, v4, v11
	;; [unrolled: 1-line block ×3, first 2 shown]
	v_mov_b32_e32 v4, 0
	s_waitcnt lgkmcnt(2)
	v_add_f32_e32 v5, v3, v10
	v_cmpx_lt_f32_e32 0, v5
	s_cbranch_execz .LBB6_14
; %bb.13:
	v_div_scale_f32 v4, null, v5, v5, 1.0
	v_div_scale_f32 v14, vcc_lo, 1.0, v5, 1.0
	v_rcp_f32_e32 v6, v4
	v_fma_f32 v13, -v4, v6, 1.0
	v_fmac_f32_e32 v6, v13, v6
	v_mul_f32_e32 v13, v14, v6
	v_fma_f32 v15, -v4, v13, v14
	v_fmac_f32_e32 v13, v15, v6
	v_fma_f32 v4, -v4, v13, v14
	v_div_fmas_f32 v4, v4, v6, v13
	s_waitcnt lgkmcnt(1)
	v_sub_f32_e32 v6, v11, v2
	v_div_fixup_f32 v4, v4, v5, 1.0
	v_mul_f32_e32 v13, v6, v6
	s_waitcnt lgkmcnt(0)
	v_add_f32_e32 v6, v9, v12
	v_mul_f32_e32 v3, v3, v4
	v_mul_f32_e32 v9, v4, v10
	;; [unrolled: 1-line block ×4, first 2 shown]
	v_fmac_f32_e32 v6, v10, v3
	v_fmac_f32_e32 v4, v9, v2
.LBB6_14:
	s_or_b32 exec_lo, exec_lo, s1
	s_cmp_lt_u32 s10, 2
	s_cbranch_scc0 .LBB6_16
; %bb.15:
	s_waitcnt lgkmcnt(1)
	v_mov_b32_e32 v2, 0
	v_cvt_f32_i32_e32 v9, s16
	ds_bpermute_b32 v3, v2, v6
	ds_bpermute_b32 v2, v2, v4
	s_waitcnt lgkmcnt(1)
	v_div_scale_f32 v10, null, v9, v9, v3
	v_rcp_f32_e32 v11, v10
	v_fma_f32 v12, -v10, v11, 1.0
	v_fmac_f32_e32 v11, v12, v11
	v_div_scale_f32 v12, vcc_lo, v3, v9, v3
	v_mul_f32_e32 v13, v12, v11
	v_fma_f32 v14, -v10, v13, v12
	v_fmac_f32_e32 v13, v14, v11
	v_fma_f32 v10, -v10, v13, v12
	v_div_fmas_f32 v10, v10, v11, v13
	v_div_fixup_f32 v3, v10, v9, v3
	s_cbranch_execz .LBB6_17
	s_branch .LBB6_29
.LBB6_16:
                                        ; implicit-def: $vgpr3
.LBB6_17:
	v_lshlrev_b32_e32 v3, 3, v1
	s_lshl_b32 s1, s10, 2
	s_add_i32 s3, s1, 0
	v_cmp_eq_u32_e64 s1, 0, v0
	s_waitcnt lgkmcnt(0)
	v_lshl_add_u32 v2, v1, 2, s3
	v_add_nc_u32_e32 v3, 0, v3
.LBB6_18:                               ; =>This Inner Loop Header: Depth=1
	s_lshr_b32 s8, s10, 1
	s_and_b32 s2, s10, 0xfffe
	v_cmp_le_u32_e32 vcc_lo, s8, v1
	v_cmp_gt_u32_e64 s2, s2, v1
	s_and_b32 s9, s1, vcc_lo
	s_and_b32 s9, s9, s2
	s_and_saveexec_b32 s2, s9
	s_cbranch_execz .LBB6_20
; %bb.19:                               ;   in Loop: Header=BB6_18 Depth=1
	v_subrev_nc_u32_e32 v9, s8, v1
	v_lshl_add_u32 v10, v9, 3, 0
	v_lshl_add_u32 v9, v9, 2, s3
	ds_write2_b32 v10, v4, v6 offset1:1
	ds_write_b32 v9, v5
.LBB6_20:                               ;   in Loop: Header=BB6_18 Depth=1
	s_or_b32 exec_lo, exec_lo, s2
	v_cmp_gt_u32_e32 vcc_lo, s8, v1
	s_waitcnt lgkmcnt(0)
	s_barrier
	buffer_gl0_inv
	s_and_b32 s9, s1, vcc_lo
	s_and_saveexec_b32 s2, s9
	s_cbranch_execz .LBB6_24
; %bb.21:                               ;   in Loop: Header=BB6_18 Depth=1
	ds_read_b32 v10, v2
	v_mov_b32_e32 v11, 0
	v_mov_b32_e32 v12, 0
	s_mov_b32 s9, exec_lo
	s_waitcnt lgkmcnt(0)
	v_add_f32_e32 v9, v5, v10
	v_cmpx_lt_f32_e32 0, v9
	s_cbranch_execz .LBB6_23
; %bb.22:                               ;   in Loop: Header=BB6_18 Depth=1
	v_div_scale_f32 v11, null, v9, v9, 1.0
	v_div_scale_f32 v15, vcc_lo, 1.0, v9, 1.0
	v_rcp_f32_e32 v14, v11
	v_fma_f32 v12, -v11, v14, 1.0
	v_fmac_f32_e32 v14, v12, v14
	ds_read2_b32 v[12:13], v3 offset1:1
	v_mul_f32_e32 v16, v15, v14
	v_fma_f32 v17, -v11, v16, v15
	v_fmac_f32_e32 v16, v17, v14
	v_fma_f32 v11, -v11, v16, v15
	v_div_fmas_f32 v11, v11, v14, v16
	v_div_fixup_f32 v14, v11, v9, 1.0
	s_waitcnt lgkmcnt(0)
	v_sub_f32_e32 v11, v4, v12
	v_mul_f32_e32 v15, v10, v14
	v_mul_f32_e32 v16, v11, v11
	v_add_f32_e32 v11, v6, v13
	v_mul_f32_e32 v5, v5, v14
	v_mul_f32_e32 v12, v15, v12
	;; [unrolled: 1-line block ×3, first 2 shown]
	v_fmac_f32_e32 v12, v4, v5
	v_fmac_f32_e32 v11, v5, v6
.LBB6_23:                               ;   in Loop: Header=BB6_18 Depth=1
	s_or_b32 exec_lo, exec_lo, s9
	v_mov_b32_e32 v4, v12
	v_mov_b32_e32 v6, v11
	;; [unrolled: 1-line block ×3, first 2 shown]
.LBB6_24:                               ;   in Loop: Header=BB6_18 Depth=1
	s_or_b32 exec_lo, exec_lo, s2
	s_cmp_lt_u32 s10, 4
	s_barrier
	buffer_gl0_inv
	s_cbranch_scc1 .LBB6_26
; %bb.25:                               ;   in Loop: Header=BB6_18 Depth=1
	s_mov_b32 s10, s8
	s_branch .LBB6_18
.LBB6_26:
	v_or_b32_e32 v0, v0, v1
	s_mov_b32 s1, exec_lo
	v_cmpx_eq_u32_e32 0, v0
	s_cbranch_execz .LBB6_28
; %bb.27:
	v_cvt_f32_i32_e32 v0, s16
	v_div_scale_f32 v1, null, v0, v0, v6
	v_div_scale_f32 v5, vcc_lo, v6, v0, v6
	v_rcp_f32_e32 v2, v1
	v_fma_f32 v3, -v1, v2, 1.0
	v_fmac_f32_e32 v2, v3, v2
	v_mul_f32_e32 v3, v5, v2
	v_fma_f32 v9, -v1, v3, v5
	v_fmac_f32_e32 v3, v9, v2
	v_fma_f32 v1, -v1, v3, v5
	v_div_fmas_f32 v1, v1, v2, v3
	v_div_fixup_f32 v0, v1, v0, v6
	v_mov_b32_e32 v1, 0
	ds_write2_b32 v1, v4, v0 offset1:1
.LBB6_28:
	s_or_b32 exec_lo, exec_lo, s1
	v_mov_b32_e32 v0, 0
	s_waitcnt lgkmcnt(0)
	s_barrier
	buffer_gl0_inv
	ds_read2_b32 v[2:3], v0 offset1:1
.LBB6_29:
	s_waitcnt lgkmcnt(0)
	v_add_f32_e32 v0, s17, v3
	s_clause 0x1
	s_load_dwordx8 s[8:15], s[4:5], 0x10
	s_load_dwordx2 s[2:3], s[4:5], 0x30
	v_mul_f32_e32 v1, 0x4b800000, v0
	v_cmp_gt_f32_e32 vcc_lo, 0x800000, v0
	v_cndmask_b32_e32 v0, v0, v1, vcc_lo
	v_rsq_f32_e32 v0, v0
	v_mul_f32_e32 v1, 0x45800000, v0
	v_cndmask_b32_e32 v9, v0, v1, vcc_lo
	s_and_saveexec_b32 s1, s0
	s_cbranch_execz .LBB6_44
; %bb.30:
	s_waitcnt lgkmcnt(0)
	s_cmp_eq_u64 s[8:9], 0
	v_mov_b32_e32 v11, v9
	s_cselect_b32 s4, -1, 0
	s_cmp_eq_u64 s[10:11], 0
	v_mov_b32_e32 v12, v2
	s_cselect_b32 s0, -1, 0
	s_lshl_b64 s[22:23], s[22:23], 1
	v_cndmask_b32_e64 v10, 0, 1, s0
	s_add_u32 s5, s2, s22
	s_addc_u32 s16, s3, s23
	s_ashr_i32 s21, s20, 31
	s_or_b32 s17, s4, s0
	s_lshl_b64 s[2:3], s[20:21], 3
	s_add_u32 s0, s18, s22
	s_addc_u32 s19, s19, s23
	v_mov_b32_e32 v13, 0
	s_add_u32 s18, s0, 4
	v_mov_b32_e32 v14, v7
	s_addc_u32 s19, s19, 0
	s_add_u32 s8, s8, 4
	s_addc_u32 s9, s9, 0
	s_mov_b32 s21, 0
	s_branch .LBB6_32
.LBB6_31:                               ;   in Loop: Header=BB6_32 Depth=1
	v_add_nc_u32_e32 v14, s20, v14
	v_cvt_f16_f32_e32 v15, v4
	v_cvt_f16_f32_e32 v3, v3
	;; [unrolled: 1-line block ×4, first 2 shown]
	s_waitcnt vmcnt(0)
	v_add_co_u32 v0, vcc_lo, s5, v8
	v_add_co_ci_u32_e64 v1, null, s16, v13, vcc_lo
	v_cmp_le_i32_e32 vcc_lo, s24, v14
	v_add_co_u32 v8, s0, v8, s2
	v_pack_b32_f16 v4, v5, v4
	v_pack_b32_f16 v3, v3, v15
	v_add_co_ci_u32_e64 v13, null, s3, v13, s0
	s_or_b32 s21, vcc_lo, s21
	global_store_dwordx2 v[0:1], v[3:4], off
	s_andn2_b32 exec_lo, exec_lo, s21
	s_cbranch_execz .LBB6_44
.LBB6_32:                               ; =>This Inner Loop Header: Depth=1
	v_add_co_u32 v0, vcc_lo, s18, v8
	v_add_co_ci_u32_e64 v1, null, s19, v13, vcc_lo
	s_and_b32 vcc_lo, exec_lo, s17
	s_mov_b32 s0, -1
                                        ; implicit-def: $vgpr5_vgpr6
                                        ; implicit-def: $vgpr3_vgpr4
	global_load_dwordx2 v[0:1], v[0:1], off offset:-4
	s_cbranch_vccz .LBB6_42
; %bb.33:                               ;   in Loop: Header=BB6_32 Depth=1
	s_and_b32 vcc_lo, exec_lo, s4
                                        ; implicit-def: $vgpr5_vgpr6
                                        ; implicit-def: $vgpr3_vgpr4
	s_cbranch_vccz .LBB6_39
; %bb.34:                               ;   in Loop: Header=BB6_32 Depth=1
	v_cmp_ne_u32_e32 vcc_lo, 1, v10
                                        ; implicit-def: $vgpr5_vgpr6
                                        ; implicit-def: $vgpr3_vgpr4
	s_cbranch_vccnz .LBB6_36
; %bb.35:                               ;   in Loop: Header=BB6_32 Depth=1
	s_waitcnt vmcnt(0)
	v_cvt_f32_f16_e32 v3, v0
	v_cvt_f32_f16_sdwa v4, v0 dst_sel:DWORD dst_unused:UNUSED_PAD src0_sel:WORD_1
	v_cvt_f32_f16_e32 v5, v1
	v_cvt_f32_f16_sdwa v6, v1 dst_sel:DWORD dst_unused:UNUSED_PAD src0_sel:WORD_1
	s_mov_b32 s0, 0
	v_sub_f32_e32 v3, v3, v2
	v_sub_f32_e32 v4, v4, v12
	;; [unrolled: 1-line block ×4, first 2 shown]
	v_mul_f32_e32 v3, v9, v3
	v_mul_f32_e32 v4, v11, v4
	;; [unrolled: 1-line block ×4, first 2 shown]
.LBB6_36:                               ;   in Loop: Header=BB6_32 Depth=1
	s_andn2_b32 vcc_lo, exec_lo, s0
	s_cbranch_vccnz .LBB6_38
; %bb.37:                               ;   in Loop: Header=BB6_32 Depth=1
	v_add_co_u32 v3, vcc_lo, s10, v8
	v_add_co_ci_u32_e64 v4, null, s11, v13, vcc_lo
	s_waitcnt vmcnt(0)
	v_cvt_f32_f16_e32 v15, v1
	v_cvt_f32_f16_sdwa v16, v1 dst_sel:DWORD dst_unused:UNUSED_PAD src0_sel:WORD_1
	global_load_dwordx2 v[5:6], v[3:4], off
	v_cvt_f32_f16_e32 v3, v0
	v_cvt_f32_f16_sdwa v4, v0 dst_sel:DWORD dst_unused:UNUSED_PAD src0_sel:WORD_1
	v_sub_f32_e32 v15, v15, v2
	v_sub_f32_e32 v16, v16, v12
	;; [unrolled: 1-line block ×4, first 2 shown]
	s_waitcnt vmcnt(0)
	v_fma_mix_f32 v3, v9, v3, v5 op_sel_hi:[0,0,1]
	v_fma_mix_f32 v4, v11, v4, v5 op_sel:[0,0,1] op_sel_hi:[0,0,1]
	v_fma_mix_f32 v5, v9, v15, v6 op_sel_hi:[0,0,1]
	v_fma_mix_f32 v6, v11, v16, v6 op_sel:[0,0,1] op_sel_hi:[0,0,1]
.LBB6_38:                               ;   in Loop: Header=BB6_32 Depth=1
	s_mov_b32 s0, 0
.LBB6_39:                               ;   in Loop: Header=BB6_32 Depth=1
	s_andn2_b32 vcc_lo, exec_lo, s0
	s_cbranch_vccnz .LBB6_41
; %bb.40:                               ;   in Loop: Header=BB6_32 Depth=1
	v_add_co_u32 v3, vcc_lo, s8, v8
	v_add_co_ci_u32_e64 v4, null, s9, v13, vcc_lo
	s_waitcnt vmcnt(0)
	v_cvt_f32_f16_sdwa v5, v0 dst_sel:DWORD dst_unused:UNUSED_PAD src0_sel:WORD_1
	v_cvt_f32_f16_e32 v6, v0
	v_cvt_f32_f16_sdwa v15, v1 dst_sel:DWORD dst_unused:UNUSED_PAD src0_sel:WORD_1
	global_load_dwordx2 v[3:4], v[3:4], off offset:-4
	v_cvt_f32_f16_e32 v16, v1
	v_sub_f32_e32 v5, v5, v12
	v_sub_f32_e32 v6, v6, v2
	;; [unrolled: 1-line block ×4, first 2 shown]
	v_mul_f32_e32 v5, v11, v5
	v_mul_f32_e32 v6, v9, v6
	;; [unrolled: 1-line block ×4, first 2 shown]
	s_waitcnt vmcnt(0)
	v_cvt_f32_f16_e32 v17, v3
	v_cvt_f32_f16_sdwa v18, v3 dst_sel:DWORD dst_unused:UNUSED_PAD src0_sel:WORD_1
	v_cvt_f32_f16_e32 v19, v4
	v_cvt_f32_f16_sdwa v20, v4 dst_sel:DWORD dst_unused:UNUSED_PAD src0_sel:WORD_1
	v_mul_f32_e32 v3, v6, v17
	v_mul_f32_e32 v4, v5, v18
	;; [unrolled: 1-line block ×4, first 2 shown]
.LBB6_41:                               ;   in Loop: Header=BB6_32 Depth=1
	s_mov_b32 s0, 0
.LBB6_42:                               ;   in Loop: Header=BB6_32 Depth=1
	s_andn2_b32 vcc_lo, exec_lo, s0
	s_cbranch_vccnz .LBB6_31
; %bb.43:                               ;   in Loop: Header=BB6_32 Depth=1
	v_add_co_u32 v3, vcc_lo, s8, v8
	v_add_co_ci_u32_e64 v4, null, s9, v13, vcc_lo
	v_add_co_u32 v5, vcc_lo, s10, v8
	v_add_co_ci_u32_e64 v6, null, s11, v13, vcc_lo
	global_load_dwordx2 v[15:16], v[3:4], off offset:-4
	global_load_dwordx2 v[5:6], v[5:6], off
	s_waitcnt vmcnt(2)
	v_cvt_f32_f16_e32 v3, v0
	v_cvt_f32_f16_sdwa v0, v0 dst_sel:DWORD dst_unused:UNUSED_PAD src0_sel:WORD_1
	v_cvt_f32_f16_e32 v4, v1
	v_cvt_f32_f16_sdwa v1, v1 dst_sel:DWORD dst_unused:UNUSED_PAD src0_sel:WORD_1
	v_sub_f32_e32 v3, v3, v2
	v_sub_f32_e32 v0, v0, v12
	;; [unrolled: 1-line block ×4, first 2 shown]
	v_mul_f32_e32 v3, v9, v3
	v_mul_f32_e32 v0, v11, v0
	;; [unrolled: 1-line block ×4, first 2 shown]
	s_waitcnt vmcnt(0)
	v_fma_mix_f32 v3, v3, v15, v5 op_sel_hi:[0,1,1]
	v_fma_mix_f32 v4, v0, v15, v5 op_sel:[0,1,1] op_sel_hi:[0,1,1]
	v_fma_mix_f32 v5, v17, v16, v6 op_sel_hi:[0,1,1]
	v_fma_mix_f32 v6, v1, v16, v6 op_sel:[0,1,1] op_sel_hi:[0,1,1]
	s_branch .LBB6_31
.LBB6_44:
	s_or_b32 exec_lo, exec_lo, s1
	s_mov_b32 s0, exec_lo
	v_cmpx_eq_u32_e32 0, v7
	s_cbranch_execz .LBB6_46
; %bb.45:
	s_lshl_b64 s[0:1], s[6:7], 2
	v_mov_b32_e32 v0, 0
	s_waitcnt lgkmcnt(0)
	s_add_u32 s2, s12, s0
	s_addc_u32 s3, s13, s1
	s_add_u32 s0, s14, s0
	s_addc_u32 s1, s15, s1
	global_store_dword v0, v2, s[2:3]
	global_store_dword v0, v9, s[0:1]
.LBB6_46:
	s_endpgm
	.section	.rodata,"a",@progbits
	.p2align	6, 0x0
	.amdhsa_kernel _ZN2at6native12_GLOBAL__N_128vectorized_layer_norm_kernelIN3c104HalfEfLb0EEEviT0_PKT_S8_S8_PS5_S9_PS6_
		.amdhsa_group_segment_fixed_size 0
		.amdhsa_private_segment_fixed_size 0
		.amdhsa_kernarg_size 312
		.amdhsa_user_sgpr_count 6
		.amdhsa_user_sgpr_private_segment_buffer 1
		.amdhsa_user_sgpr_dispatch_ptr 0
		.amdhsa_user_sgpr_queue_ptr 0
		.amdhsa_user_sgpr_kernarg_segment_ptr 1
		.amdhsa_user_sgpr_dispatch_id 0
		.amdhsa_user_sgpr_flat_scratch_init 0
		.amdhsa_user_sgpr_private_segment_size 0
		.amdhsa_wavefront_size32 1
		.amdhsa_uses_dynamic_stack 0
		.amdhsa_system_sgpr_private_segment_wavefront_offset 0
		.amdhsa_system_sgpr_workgroup_id_x 1
		.amdhsa_system_sgpr_workgroup_id_y 0
		.amdhsa_system_sgpr_workgroup_id_z 0
		.amdhsa_system_sgpr_workgroup_info 0
		.amdhsa_system_vgpr_workitem_id 1
		.amdhsa_next_free_vgpr 32
		.amdhsa_next_free_sgpr 25
		.amdhsa_reserve_vcc 1
		.amdhsa_reserve_flat_scratch 0
		.amdhsa_float_round_mode_32 0
		.amdhsa_float_round_mode_16_64 0
		.amdhsa_float_denorm_mode_32 3
		.amdhsa_float_denorm_mode_16_64 3
		.amdhsa_dx10_clamp 1
		.amdhsa_ieee_mode 1
		.amdhsa_fp16_overflow 0
		.amdhsa_workgroup_processor_mode 1
		.amdhsa_memory_ordered 1
		.amdhsa_forward_progress 1
		.amdhsa_shared_vgpr_count 0
		.amdhsa_exception_fp_ieee_invalid_op 0
		.amdhsa_exception_fp_denorm_src 0
		.amdhsa_exception_fp_ieee_div_zero 0
		.amdhsa_exception_fp_ieee_overflow 0
		.amdhsa_exception_fp_ieee_underflow 0
		.amdhsa_exception_fp_ieee_inexact 0
		.amdhsa_exception_int_div_zero 0
	.end_amdhsa_kernel
	.section	.text._ZN2at6native12_GLOBAL__N_128vectorized_layer_norm_kernelIN3c104HalfEfLb0EEEviT0_PKT_S8_S8_PS5_S9_PS6_,"axG",@progbits,_ZN2at6native12_GLOBAL__N_128vectorized_layer_norm_kernelIN3c104HalfEfLb0EEEviT0_PKT_S8_S8_PS5_S9_PS6_,comdat
.Lfunc_end6:
	.size	_ZN2at6native12_GLOBAL__N_128vectorized_layer_norm_kernelIN3c104HalfEfLb0EEEviT0_PKT_S8_S8_PS5_S9_PS6_, .Lfunc_end6-_ZN2at6native12_GLOBAL__N_128vectorized_layer_norm_kernelIN3c104HalfEfLb0EEEviT0_PKT_S8_S8_PS5_S9_PS6_
                                        ; -- End function
	.set _ZN2at6native12_GLOBAL__N_128vectorized_layer_norm_kernelIN3c104HalfEfLb0EEEviT0_PKT_S8_S8_PS5_S9_PS6_.num_vgpr, 32
	.set _ZN2at6native12_GLOBAL__N_128vectorized_layer_norm_kernelIN3c104HalfEfLb0EEEviT0_PKT_S8_S8_PS5_S9_PS6_.num_agpr, 0
	.set _ZN2at6native12_GLOBAL__N_128vectorized_layer_norm_kernelIN3c104HalfEfLb0EEEviT0_PKT_S8_S8_PS5_S9_PS6_.numbered_sgpr, 25
	.set _ZN2at6native12_GLOBAL__N_128vectorized_layer_norm_kernelIN3c104HalfEfLb0EEEviT0_PKT_S8_S8_PS5_S9_PS6_.num_named_barrier, 0
	.set _ZN2at6native12_GLOBAL__N_128vectorized_layer_norm_kernelIN3c104HalfEfLb0EEEviT0_PKT_S8_S8_PS5_S9_PS6_.private_seg_size, 0
	.set _ZN2at6native12_GLOBAL__N_128vectorized_layer_norm_kernelIN3c104HalfEfLb0EEEviT0_PKT_S8_S8_PS5_S9_PS6_.uses_vcc, 1
	.set _ZN2at6native12_GLOBAL__N_128vectorized_layer_norm_kernelIN3c104HalfEfLb0EEEviT0_PKT_S8_S8_PS5_S9_PS6_.uses_flat_scratch, 0
	.set _ZN2at6native12_GLOBAL__N_128vectorized_layer_norm_kernelIN3c104HalfEfLb0EEEviT0_PKT_S8_S8_PS5_S9_PS6_.has_dyn_sized_stack, 0
	.set _ZN2at6native12_GLOBAL__N_128vectorized_layer_norm_kernelIN3c104HalfEfLb0EEEviT0_PKT_S8_S8_PS5_S9_PS6_.has_recursion, 0
	.set _ZN2at6native12_GLOBAL__N_128vectorized_layer_norm_kernelIN3c104HalfEfLb0EEEviT0_PKT_S8_S8_PS5_S9_PS6_.has_indirect_call, 0
	.section	.AMDGPU.csdata,"",@progbits
; Kernel info:
; codeLenInByte = 3108
; TotalNumSgprs: 27
; NumVgprs: 32
; ScratchSize: 0
; MemoryBound: 0
; FloatMode: 240
; IeeeMode: 1
; LDSByteSize: 0 bytes/workgroup (compile time only)
; SGPRBlocks: 0
; VGPRBlocks: 3
; NumSGPRsForWavesPerEU: 27
; NumVGPRsForWavesPerEU: 32
; Occupancy: 16
; WaveLimiterHint : 0
; COMPUTE_PGM_RSRC2:SCRATCH_EN: 0
; COMPUTE_PGM_RSRC2:USER_SGPR: 6
; COMPUTE_PGM_RSRC2:TRAP_HANDLER: 0
; COMPUTE_PGM_RSRC2:TGID_X_EN: 1
; COMPUTE_PGM_RSRC2:TGID_Y_EN: 0
; COMPUTE_PGM_RSRC2:TGID_Z_EN: 0
; COMPUTE_PGM_RSRC2:TIDIG_COMP_CNT: 1
	.section	.text._ZN2at6native12_GLOBAL__N_124RowwiseMomentsCUDAKernelIN3c104HalfEfLb0EEEvlT0_PKT_PS5_S9_,"axG",@progbits,_ZN2at6native12_GLOBAL__N_124RowwiseMomentsCUDAKernelIN3c104HalfEfLb0EEEvlT0_PKT_PS5_S9_,comdat
	.globl	_ZN2at6native12_GLOBAL__N_124RowwiseMomentsCUDAKernelIN3c104HalfEfLb0EEEvlT0_PKT_PS5_S9_ ; -- Begin function _ZN2at6native12_GLOBAL__N_124RowwiseMomentsCUDAKernelIN3c104HalfEfLb0EEEvlT0_PKT_PS5_S9_
	.p2align	8
	.type	_ZN2at6native12_GLOBAL__N_124RowwiseMomentsCUDAKernelIN3c104HalfEfLb0EEEvlT0_PKT_PS5_S9_,@function
_ZN2at6native12_GLOBAL__N_124RowwiseMomentsCUDAKernelIN3c104HalfEfLb0EEEvlT0_PKT_PS5_S9_: ; @_ZN2at6native12_GLOBAL__N_124RowwiseMomentsCUDAKernelIN3c104HalfEfLb0EEEvlT0_PKT_PS5_S9_
; %bb.0:
	s_clause 0x2
	s_load_dwordx2 s[10:11], s[4:5], 0x0
	s_load_dwordx4 s[0:3], s[4:5], 0x10
	s_load_dwordx2 s[8:9], s[4:5], 0x20
	v_mov_b32_e32 v1, 0
	v_mov_b32_e32 v2, 0
	;; [unrolled: 1-line block ×3, first 2 shown]
	s_mov_b32 s7, 0
	s_mov_b32 s14, exec_lo
	v_mov_b32_e32 v8, v1
	v_mov_b32_e32 v9, v1
	s_waitcnt lgkmcnt(0)
	v_cmpx_gt_i64_e64 s[10:11], v[0:1]
	s_cbranch_execz .LBB7_4
; %bb.1:
	s_load_dword s15, s[4:5], 0x34
	s_mul_i32 s13, s11, s6
	s_mul_hi_u32 s16, s10, s6
	s_mul_i32 s12, s10, s6
	s_add_i32 s13, s16, s13
	v_lshlrev_b32_e32 v2, 1, v0
	s_lshl_b64 s[12:13], s[12:13], 1
	v_mov_b32_e32 v5, v1
	v_mov_b32_e32 v8, 0
	;; [unrolled: 1-line block ×4, first 2 shown]
	s_mov_b32 s16, s7
	s_waitcnt lgkmcnt(0)
	s_and_b32 s15, s15, 0xffff
	s_add_u32 s0, s0, s12
	s_addc_u32 s1, s1, s13
	v_add_co_u32 v6, s0, s0, v2
	v_add_co_ci_u32_e64 v7, null, s1, 0, s0
	s_lshl_b32 s1, s15, 1
	s_mov_b64 s[12:13], 0
.LBB7_2:                                ; =>This Inner Loop Header: Depth=1
	global_load_ushort v1, v[6:7], off
	s_add_u32 s12, s12, 1
	s_addc_u32 s13, s13, 0
	s_flbit_i32_b32 s0, s13
	s_min_u32 s0, s0, 32
	s_lshl_b64 s[18:19], s[12:13], s0
	s_sub_i32 s0, 32, s0
	s_min_u32 s17, s18, 1
	s_or_b32 s17, s19, s17
	v_cvt_f32_u32_e32 v2, s17
	s_waitcnt vmcnt(0)
	v_cvt_f32_f16_e32 v3, v1
	v_ldexp_f32 v1, v2, s0
	v_sub_f32_e32 v10, v3, v9
	v_div_scale_f32 v2, null, v1, v1, v10
	v_div_scale_f32 v13, vcc_lo, v10, v1, v10
	v_rcp_f32_e32 v11, v2
	v_fma_f32 v12, -v2, v11, 1.0
	v_fmac_f32_e32 v11, v12, v11
	v_mul_f32_e32 v12, v13, v11
	v_fma_f32 v14, -v2, v12, v13
	v_fmac_f32_e32 v12, v14, v11
	v_fma_f32 v2, -v2, v12, v13
	v_div_fmas_f32 v2, v2, v11, v12
	v_add_co_u32 v4, vcc_lo, v4, s15
	v_add_co_ci_u32_e64 v5, null, 0, v5, vcc_lo
	v_div_fixup_f32 v2, v2, v1, v10
	v_add_co_u32 v6, vcc_lo, v6, s1
	v_cmp_le_i64_e64 s0, s[10:11], v[4:5]
	v_add_co_ci_u32_e64 v7, null, 0, v7, vcc_lo
	v_add_f32_e32 v9, v9, v2
	s_or_b32 s16, s0, s16
	v_sub_f32_e32 v11, v3, v9
	v_mov_b32_e32 v2, s12
	v_mov_b32_e32 v3, s13
	v_fmac_f32_e32 v8, v10, v11
	s_andn2_b32 exec_lo, exec_lo, s16
	s_cbranch_execnz .LBB7_2
; %bb.3:
	s_or_b32 exec_lo, exec_lo, s16
.LBB7_4:
	s_or_b32 exec_lo, exec_lo, s14
	v_mbcnt_lo_u32_b32 v11, -1, 0
	s_mov_b32 s0, exec_lo
	v_lshl_or_b32 v7, v11, 2, 64
	ds_bpermute_b32 v12, v7, v9
	ds_bpermute_b32 v6, v7, v8
	;; [unrolled: 1-line block ×5, first 2 shown]
	v_cmpx_neq_f32_e32 0, v1
	s_cbranch_execz .LBB7_8
; %bb.5:
	s_mov_b32 s1, exec_lo
	s_waitcnt lgkmcnt(0)
	v_cmpx_neq_f32_e32 0, v14
	s_cbranch_execz .LBB7_7
; %bb.6:
	v_add_f32_e32 v4, v1, v14
	v_add_f32_e32 v8, v8, v6
	v_div_scale_f32 v2, null, v4, v4, v14
	v_div_scale_f32 v10, vcc_lo, v14, v4, v14
	v_rcp_f32_e32 v3, v2
	v_fma_f32 v5, -v2, v3, 1.0
	v_fmac_f32_e32 v3, v5, v3
	v_mul_f32_e32 v5, v10, v3
	v_fma_f32 v13, -v2, v5, v10
	v_fmac_f32_e32 v5, v13, v3
	v_fma_f32 v2, -v2, v5, v10
	v_sub_f32_e32 v10, v12, v9
	v_div_fmas_f32 v2, v2, v3, v5
	v_mul_f32_e32 v3, v10, v10
	v_div_fixup_f32 v5, v2, v4, v14
	v_mul_f32_e32 v1, v1, v3
	v_mov_b32_e32 v2, -1
	v_mov_b32_e32 v3, -1
	v_fmac_f32_e32 v9, v10, v5
	v_fmac_f32_e32 v8, v1, v5
	v_mov_b32_e32 v1, v4
.LBB7_7:
	s_or_b32 exec_lo, exec_lo, s1
	v_mov_b32_e32 v5, v3
	v_mov_b32_e32 v14, v1
	v_mov_b32_e32 v4, v2
	v_mov_b32_e32 v6, v8
	v_mov_b32_e32 v12, v9
.LBB7_8:
	s_or_b32 exec_lo, exec_lo, s0
	v_cmp_gt_u32_e32 vcc_lo, 24, v11
	s_mov_b32 s0, exec_lo
	v_cndmask_b32_e64 v1, 0, 8, vcc_lo
	v_add_lshl_u32 v8, v1, v11, 2
	s_waitcnt lgkmcnt(4)
	ds_bpermute_b32 v13, v8, v12
	s_waitcnt lgkmcnt(4)
	ds_bpermute_b32 v10, v8, v6
	;; [unrolled: 2-line block ×5, first 2 shown]
	v_cmpx_neq_f32_e32 0, v14
	s_cbranch_execz .LBB7_12
; %bb.9:
	s_mov_b32 s1, exec_lo
	s_waitcnt lgkmcnt(0)
	v_cmpx_neq_f32_e32 0, v15
	s_cbranch_execz .LBB7_11
; %bb.10:
	v_add_f32_e32 v1, v14, v15
	v_add_f32_e32 v6, v6, v10
	v_div_scale_f32 v2, null, v1, v1, v15
	v_div_scale_f32 v5, vcc_lo, v15, v1, v15
	v_rcp_f32_e32 v3, v2
	v_fma_f32 v4, -v2, v3, 1.0
	v_fmac_f32_e32 v3, v4, v3
	v_mul_f32_e32 v4, v5, v3
	v_fma_f32 v9, -v2, v4, v5
	v_fmac_f32_e32 v4, v9, v3
	v_sub_f32_e32 v9, v13, v12
	v_fma_f32 v2, -v2, v4, v5
	v_div_fmas_f32 v2, v2, v3, v4
	v_mul_f32_e32 v3, v9, v9
	v_mov_b32_e32 v4, -1
	v_mov_b32_e32 v5, -1
	v_div_fixup_f32 v2, v2, v1, v15
	v_mul_f32_e32 v3, v14, v3
	v_mov_b32_e32 v14, v1
	v_fmac_f32_e32 v12, v9, v2
	v_fmac_f32_e32 v6, v3, v2
.LBB7_11:
	s_or_b32 exec_lo, exec_lo, s1
	v_mov_b32_e32 v1, v4
	v_mov_b32_e32 v15, v14
	;; [unrolled: 1-line block ×5, first 2 shown]
.LBB7_12:
	s_or_b32 exec_lo, exec_lo, s0
	v_cmp_gt_u32_e32 vcc_lo, 28, v11
	s_mov_b32 s0, exec_lo
	v_cndmask_b32_e64 v3, 0, 4, vcc_lo
	v_add_lshl_u32 v9, v3, v11, 2
	s_waitcnt lgkmcnt(4)
	ds_bpermute_b32 v14, v9, v13
	s_waitcnt lgkmcnt(4)
	ds_bpermute_b32 v12, v9, v10
	;; [unrolled: 2-line block ×5, first 2 shown]
	v_cmpx_neq_f32_e32 0, v15
	s_cbranch_execz .LBB7_16
; %bb.13:
	s_mov_b32 s1, exec_lo
	s_waitcnt lgkmcnt(0)
	v_cmpx_neq_f32_e32 0, v16
	s_cbranch_execz .LBB7_15
; %bb.14:
	v_add_f32_e32 v3, v15, v16
	v_add_f32_e32 v10, v10, v12
	v_div_scale_f32 v1, null, v3, v3, v16
	v_div_scale_f32 v5, vcc_lo, v16, v3, v16
	v_rcp_f32_e32 v2, v1
	v_fma_f32 v4, -v1, v2, 1.0
	v_fmac_f32_e32 v2, v4, v2
	v_mul_f32_e32 v4, v5, v2
	v_fma_f32 v6, -v1, v4, v5
	v_fmac_f32_e32 v4, v6, v2
	v_fma_f32 v1, -v1, v4, v5
	v_sub_f32_e32 v5, v14, v13
	v_div_fmas_f32 v1, v1, v2, v4
	v_mul_f32_e32 v2, v5, v5
	v_div_fixup_f32 v4, v1, v3, v16
	v_mul_f32_e32 v6, v15, v2
	v_mov_b32_e32 v1, -1
	v_mov_b32_e32 v2, -1
	v_mov_b32_e32 v15, v3
	v_fmac_f32_e32 v13, v5, v4
	v_fmac_f32_e32 v10, v6, v4
.LBB7_15:
	s_or_b32 exec_lo, exec_lo, s1
	v_mov_b32_e32 v4, v2
	v_mov_b32_e32 v16, v15
	;; [unrolled: 1-line block ×5, first 2 shown]
.LBB7_16:
	s_or_b32 exec_lo, exec_lo, s0
	v_cmp_gt_u32_e32 vcc_lo, 30, v11
	s_mov_b32 s0, exec_lo
	v_cndmask_b32_e64 v1, 0, 2, vcc_lo
	v_add_lshl_u32 v10, v1, v11, 2
	s_waitcnt lgkmcnt(4)
	ds_bpermute_b32 v15, v10, v14
	s_waitcnt lgkmcnt(4)
	ds_bpermute_b32 v13, v10, v12
	;; [unrolled: 2-line block ×5, first 2 shown]
	v_cmpx_neq_f32_e32 0, v16
	s_cbranch_execz .LBB7_20
; %bb.17:
	s_mov_b32 s1, exec_lo
	s_waitcnt lgkmcnt(0)
	v_cmpx_neq_f32_e32 0, v17
	s_cbranch_execz .LBB7_19
; %bb.18:
	v_add_f32_e32 v1, v16, v17
	v_add_f32_e32 v12, v12, v13
	v_div_scale_f32 v2, null, v1, v1, v17
	v_div_scale_f32 v5, vcc_lo, v17, v1, v17
	v_rcp_f32_e32 v3, v2
	v_fma_f32 v4, -v2, v3, 1.0
	v_fmac_f32_e32 v3, v4, v3
	v_mul_f32_e32 v4, v5, v3
	v_fma_f32 v6, -v2, v4, v5
	v_fmac_f32_e32 v4, v6, v3
	v_fma_f32 v2, -v2, v4, v5
	v_sub_f32_e32 v5, v15, v14
	v_div_fmas_f32 v2, v2, v3, v4
	v_mul_f32_e32 v3, v5, v5
	v_div_fixup_f32 v2, v2, v1, v17
	v_mul_f32_e32 v6, v16, v3
	v_mov_b32_e32 v3, -1
	v_mov_b32_e32 v4, -1
	v_mov_b32_e32 v16, v1
	v_fmac_f32_e32 v14, v5, v2
	v_fmac_f32_e32 v12, v6, v2
.LBB7_19:
	s_or_b32 exec_lo, exec_lo, s1
	v_mov_b32_e32 v6, v4
	v_mov_b32_e32 v17, v16
	;; [unrolled: 1-line block ×5, first 2 shown]
.LBB7_20:
	s_or_b32 exec_lo, exec_lo, s0
	v_cmp_ne_u32_e32 vcc_lo, 31, v11
	s_mov_b32 s0, exec_lo
	v_add_co_ci_u32_e64 v1, null, 0, v11, vcc_lo
	v_lshlrev_b32_e32 v11, 2, v1
	s_waitcnt lgkmcnt(4)
	ds_bpermute_b32 v1, v11, v15
	s_waitcnt lgkmcnt(4)
	ds_bpermute_b32 v2, v11, v13
	;; [unrolled: 2-line block ×5, first 2 shown]
	v_cmpx_neq_f32_e32 0, v17
	s_cbranch_execz .LBB7_24
; %bb.21:
	s_mov_b32 s1, exec_lo
	s_waitcnt lgkmcnt(0)
	v_cmpx_neq_f32_e32 0, v12
	s_cbranch_execz .LBB7_23
; %bb.22:
	v_add_f32_e32 v3, v17, v12
	v_sub_f32_e32 v1, v1, v15
	v_add_f32_e32 v13, v13, v2
	v_div_scale_f32 v4, null, v3, v3, v12
	v_div_scale_f32 v14, vcc_lo, v12, v3, v12
	v_rcp_f32_e32 v5, v4
	v_fma_f32 v6, -v4, v5, 1.0
	v_fmac_f32_e32 v5, v6, v5
	v_mul_f32_e32 v6, v14, v5
	v_fma_f32 v16, -v4, v6, v14
	v_fmac_f32_e32 v6, v16, v5
	v_fma_f32 v4, -v4, v6, v14
	v_div_fmas_f32 v4, v4, v5, v6
	v_mul_f32_e32 v5, v1, v1
	v_div_fixup_f32 v2, v4, v3, v12
	v_mul_f32_e32 v4, v17, v5
	v_mov_b32_e32 v5, -1
	v_mov_b32_e32 v6, -1
	v_mov_b32_e32 v17, v3
	v_fmac_f32_e32 v15, v1, v2
	v_fmac_f32_e32 v13, v4, v2
.LBB7_23:
	s_or_b32 exec_lo, exec_lo, s1
	v_mov_b32_e32 v3, v5
	v_mov_b32_e32 v12, v17
	;; [unrolled: 1-line block ×5, first 2 shown]
.LBB7_24:
	s_or_b32 exec_lo, exec_lo, s0
	v_and_b32_e32 v5, 31, v0
	s_mov_b32 s0, exec_lo
	s_waitcnt lgkmcnt(0)
	s_barrier
	buffer_gl0_inv
	v_cmpx_eq_u32_e32 0, v5
	s_cbranch_execz .LBB7_26
; %bb.25:
	v_lshrrev_b32_e32 v6, 5, v0
	v_mul_u32_u24_e32 v6, 24, v6
	ds_write2_b64 v6, v[1:2], v[3:4] offset1:1
	ds_write_b32 v6, v12 offset:16
.LBB7_26:
	s_or_b32 exec_lo, exec_lo, s0
	s_waitcnt lgkmcnt(0)
	s_barrier
	buffer_gl0_inv
	s_load_dword s0, s[4:5], 0x34
	v_mul_u32_u24_e32 v4, 24, v5
	v_mov_b32_e32 v2, 0
	v_mov_b32_e32 v1, 0
	s_waitcnt lgkmcnt(0)
	s_bfe_u32 s0, s0, 0xb0005
	v_cmp_gt_u32_e32 vcc_lo, s0, v0
	s_and_saveexec_b32 s0, vcc_lo
	s_cbranch_execnz .LBB7_55
; %bb.27:
	s_or_b32 exec_lo, exec_lo, s0
	s_and_saveexec_b32 s0, vcc_lo
	s_cbranch_execnz .LBB7_56
.LBB7_28:
	s_or_b32 exec_lo, exec_lo, s0
	v_mov_b32_e32 v3, 0
	s_and_saveexec_b32 s0, vcc_lo
.LBB7_29:
	ds_read_b32 v3, v4 offset:16
.LBB7_30:
	s_or_b32 exec_lo, exec_lo, s0
	s_mov_b32 s0, exec_lo
	v_cmpx_gt_u32_e32 32, v0
	s_cbranch_execz .LBB7_52
; %bb.31:
	s_waitcnt lgkmcnt(0)
	ds_bpermute_b32 v6, v7, v1
	ds_bpermute_b32 v4, v7, v2
	ds_bpermute_b32 v5, v7, v3
	s_mov_b32 s1, exec_lo
	v_cmpx_neq_f32_e32 0, v3
	s_cbranch_execz .LBB7_35
; %bb.32:
	s_mov_b32 s10, exec_lo
	s_waitcnt lgkmcnt(0)
	v_cmpx_neq_f32_e32 0, v5
	s_cbranch_execz .LBB7_34
; %bb.33:
	v_add_f32_e32 v7, v3, v5
	v_sub_f32_e32 v6, v6, v1
	v_add_f32_e32 v2, v2, v4
	v_div_scale_f32 v12, null, v7, v7, v5
	v_div_scale_f32 v15, vcc_lo, v5, v7, v5
	v_rcp_f32_e32 v13, v12
	v_fma_f32 v14, -v12, v13, 1.0
	v_fmac_f32_e32 v13, v14, v13
	v_mul_f32_e32 v14, v15, v13
	v_fma_f32 v16, -v12, v14, v15
	v_fmac_f32_e32 v14, v16, v13
	v_fma_f32 v12, -v12, v14, v15
	v_div_fmas_f32 v12, v12, v13, v14
	v_mul_f32_e32 v13, v6, v6
	v_div_fixup_f32 v4, v12, v7, v5
	v_mul_f32_e32 v3, v3, v13
	v_fmac_f32_e32 v1, v6, v4
	v_fmac_f32_e32 v2, v3, v4
	v_mov_b32_e32 v3, v7
.LBB7_34:
	s_or_b32 exec_lo, exec_lo, s10
	v_mov_b32_e32 v5, v3
	v_mov_b32_e32 v4, v2
	;; [unrolled: 1-line block ×3, first 2 shown]
.LBB7_35:
	s_or_b32 exec_lo, exec_lo, s1
	s_waitcnt lgkmcnt(2)
	ds_bpermute_b32 v7, v8, v6
	s_waitcnt lgkmcnt(2)
	ds_bpermute_b32 v1, v8, v4
	;; [unrolled: 2-line block ×3, first 2 shown]
	s_mov_b32 s1, exec_lo
	v_cmpx_neq_f32_e32 0, v5
	s_cbranch_execz .LBB7_39
; %bb.36:
	s_mov_b32 s10, exec_lo
	s_waitcnt lgkmcnt(0)
	v_cmpx_neq_f32_e32 0, v3
	s_cbranch_execz .LBB7_38
; %bb.37:
	v_add_f32_e32 v2, v5, v3
	v_sub_f32_e32 v7, v7, v6
	v_add_f32_e32 v4, v4, v1
	v_div_scale_f32 v8, null, v2, v2, v3
	v_div_scale_f32 v14, vcc_lo, v3, v2, v3
	v_rcp_f32_e32 v12, v8
	v_fma_f32 v13, -v8, v12, 1.0
	v_fmac_f32_e32 v12, v13, v12
	v_mul_f32_e32 v13, v14, v12
	v_fma_f32 v15, -v8, v13, v14
	v_fmac_f32_e32 v13, v15, v12
	v_fma_f32 v8, -v8, v13, v14
	v_div_fmas_f32 v8, v8, v12, v13
	v_mul_f32_e32 v12, v7, v7
	v_div_fixup_f32 v1, v8, v2, v3
	v_mul_f32_e32 v3, v5, v12
	v_mov_b32_e32 v5, v2
	v_fmac_f32_e32 v6, v7, v1
	v_fmac_f32_e32 v4, v3, v1
.LBB7_38:
	s_or_b32 exec_lo, exec_lo, s10
	v_mov_b32_e32 v3, v5
	v_mov_b32_e32 v1, v4
	;; [unrolled: 1-line block ×3, first 2 shown]
.LBB7_39:
	s_or_b32 exec_lo, exec_lo, s1
	s_waitcnt lgkmcnt(2)
	ds_bpermute_b32 v8, v9, v7
	s_waitcnt lgkmcnt(2)
	ds_bpermute_b32 v2, v9, v1
	;; [unrolled: 2-line block ×3, first 2 shown]
	s_mov_b32 s1, exec_lo
	v_cmpx_neq_f32_e32 0, v3
	s_cbranch_execz .LBB7_43
; %bb.40:
	s_mov_b32 s10, exec_lo
	s_waitcnt lgkmcnt(0)
	v_cmpx_neq_f32_e32 0, v6
	s_cbranch_execz .LBB7_42
; %bb.41:
	v_add_f32_e32 v4, v3, v6
	v_sub_f32_e32 v8, v8, v7
	v_add_f32_e32 v1, v1, v2
	v_div_scale_f32 v5, null, v4, v4, v6
	v_div_scale_f32 v13, vcc_lo, v6, v4, v6
	v_rcp_f32_e32 v9, v5
	v_fma_f32 v12, -v5, v9, 1.0
	v_fmac_f32_e32 v9, v12, v9
	v_mul_f32_e32 v12, v13, v9
	v_fma_f32 v14, -v5, v12, v13
	v_fmac_f32_e32 v12, v14, v9
	v_fma_f32 v5, -v5, v12, v13
	v_div_fmas_f32 v5, v5, v9, v12
	v_mul_f32_e32 v9, v8, v8
	v_div_fixup_f32 v2, v5, v4, v6
	v_mul_f32_e32 v3, v3, v9
	v_fmac_f32_e32 v7, v8, v2
	v_fmac_f32_e32 v1, v3, v2
	v_mov_b32_e32 v3, v4
.LBB7_42:
	s_or_b32 exec_lo, exec_lo, s10
	v_mov_b32_e32 v6, v3
	v_mov_b32_e32 v2, v1
	;; [unrolled: 1-line block ×3, first 2 shown]
.LBB7_43:
	s_or_b32 exec_lo, exec_lo, s1
	s_waitcnt lgkmcnt(2)
	ds_bpermute_b32 v7, v10, v8
	s_waitcnt lgkmcnt(2)
	ds_bpermute_b32 v4, v10, v2
	;; [unrolled: 2-line block ×3, first 2 shown]
	s_mov_b32 s1, exec_lo
	v_cmpx_neq_f32_e32 0, v6
	s_cbranch_execz .LBB7_47
; %bb.44:
	s_mov_b32 s10, exec_lo
	s_waitcnt lgkmcnt(0)
	v_cmpx_neq_f32_e32 0, v5
	s_cbranch_execz .LBB7_46
; %bb.45:
	v_add_f32_e32 v1, v6, v5
	v_sub_f32_e32 v7, v7, v8
	v_add_f32_e32 v2, v2, v4
	v_div_scale_f32 v3, null, v1, v1, v5
	v_div_scale_f32 v12, vcc_lo, v5, v1, v5
	v_rcp_f32_e32 v9, v3
	v_fma_f32 v10, -v3, v9, 1.0
	v_fmac_f32_e32 v9, v10, v9
	v_mul_f32_e32 v10, v12, v9
	v_fma_f32 v13, -v3, v10, v12
	v_fmac_f32_e32 v10, v13, v9
	v_fma_f32 v3, -v3, v10, v12
	v_div_fmas_f32 v3, v3, v9, v10
	v_mul_f32_e32 v9, v7, v7
	v_div_fixup_f32 v3, v3, v1, v5
	v_mul_f32_e32 v4, v6, v9
	v_mov_b32_e32 v6, v1
	v_fmac_f32_e32 v8, v7, v3
	v_fmac_f32_e32 v2, v4, v3
.LBB7_46:
	s_or_b32 exec_lo, exec_lo, s10
	v_mov_b32_e32 v5, v6
	v_mov_b32_e32 v4, v2
	v_mov_b32_e32 v7, v8
.LBB7_47:
	s_or_b32 exec_lo, exec_lo, s1
	s_waitcnt lgkmcnt(2)
	ds_bpermute_b32 v1, v11, v7
	s_waitcnt lgkmcnt(2)
	ds_bpermute_b32 v2, v11, v4
	;; [unrolled: 2-line block ×3, first 2 shown]
	s_mov_b32 s1, exec_lo
	v_cmpx_neq_f32_e32 0, v5
	s_cbranch_execz .LBB7_51
; %bb.48:
	s_mov_b32 s10, exec_lo
	s_waitcnt lgkmcnt(0)
	v_cmpx_neq_f32_e32 0, v3
	s_cbranch_execz .LBB7_50
; %bb.49:
	v_add_f32_e32 v6, v5, v3
	v_sub_f32_e32 v1, v1, v7
	v_add_f32_e32 v4, v4, v2
	v_div_scale_f32 v8, null, v6, v6, v3
	v_div_scale_f32 v11, vcc_lo, v3, v6, v3
	v_rcp_f32_e32 v9, v8
	v_fma_f32 v10, -v8, v9, 1.0
	v_fmac_f32_e32 v9, v10, v9
	v_mul_f32_e32 v10, v11, v9
	v_fma_f32 v12, -v8, v10, v11
	v_fmac_f32_e32 v10, v12, v9
	v_fma_f32 v8, -v8, v10, v11
	v_div_fmas_f32 v8, v8, v9, v10
	v_mul_f32_e32 v9, v1, v1
	v_div_fixup_f32 v2, v8, v6, v3
	v_mul_f32_e32 v3, v5, v9
	v_mov_b32_e32 v5, v6
	v_fmac_f32_e32 v7, v1, v2
	v_fmac_f32_e32 v4, v3, v2
.LBB7_50:
	s_or_b32 exec_lo, exec_lo, s10
	v_mov_b32_e32 v3, v5
	v_mov_b32_e32 v2, v4
	;; [unrolled: 1-line block ×3, first 2 shown]
.LBB7_51:
	s_or_b32 exec_lo, exec_lo, s1
.LBB7_52:
	s_or_b32 exec_lo, exec_lo, s0
	s_mov_b32 s0, exec_lo
	v_cmpx_eq_u32_e32 0, v0
	s_cbranch_execz .LBB7_54
; %bb.53:
	s_waitcnt lgkmcnt(0)
	v_max_f32_e32 v0, v3, v3
	s_load_dword s0, s[4:5], 0x8
	v_max_f32_e32 v0, 0, v0
	v_div_scale_f32 v3, null, v0, v0, v2
	v_rcp_f32_e32 v4, v3
	v_fma_f32 v5, -v3, v4, 1.0
	v_fmac_f32_e32 v4, v5, v4
	v_div_scale_f32 v5, vcc_lo, v2, v0, v2
	v_mul_f32_e32 v6, v5, v4
	v_fma_f32 v7, -v3, v6, v5
	v_fmac_f32_e32 v6, v7, v4
	v_fma_f32 v3, -v3, v6, v5
	v_div_fmas_f32 v3, v3, v4, v6
	v_div_fixup_f32 v0, v3, v0, v2
	v_mov_b32_e32 v3, 0
	s_waitcnt lgkmcnt(0)
	v_add_f32_e32 v0, s0, v0
	s_lshl_b64 s[0:1], s[6:7], 2
	s_add_u32 s2, s2, s0
	s_addc_u32 s3, s3, s1
	v_mul_f32_e32 v2, 0x4b800000, v0
	v_cmp_gt_f32_e32 vcc_lo, 0x800000, v0
	s_add_u32 s0, s8, s0
	s_addc_u32 s1, s9, s1
	v_cndmask_b32_e32 v0, v0, v2, vcc_lo
	v_rsq_f32_e32 v0, v0
	v_mul_f32_e32 v2, 0x45800000, v0
	v_cndmask_b32_e32 v0, v0, v2, vcc_lo
	global_store_dword v3, v1, s[2:3]
	global_store_dword v3, v0, s[0:1]
.LBB7_54:
	s_endpgm
.LBB7_55:
	ds_read_b32 v1, v4
	s_or_b32 exec_lo, exec_lo, s0
	s_and_saveexec_b32 s0, vcc_lo
	s_cbranch_execz .LBB7_28
.LBB7_56:
	ds_read_b32 v2, v4 offset:4
	s_or_b32 exec_lo, exec_lo, s0
	v_mov_b32_e32 v3, 0
	s_and_saveexec_b32 s0, vcc_lo
	s_cbranch_execnz .LBB7_29
	s_branch .LBB7_30
	.section	.rodata,"a",@progbits
	.p2align	6, 0x0
	.amdhsa_kernel _ZN2at6native12_GLOBAL__N_124RowwiseMomentsCUDAKernelIN3c104HalfEfLb0EEEvlT0_PKT_PS5_S9_
		.amdhsa_group_segment_fixed_size 768
		.amdhsa_private_segment_fixed_size 0
		.amdhsa_kernarg_size 296
		.amdhsa_user_sgpr_count 6
		.amdhsa_user_sgpr_private_segment_buffer 1
		.amdhsa_user_sgpr_dispatch_ptr 0
		.amdhsa_user_sgpr_queue_ptr 0
		.amdhsa_user_sgpr_kernarg_segment_ptr 1
		.amdhsa_user_sgpr_dispatch_id 0
		.amdhsa_user_sgpr_flat_scratch_init 0
		.amdhsa_user_sgpr_private_segment_size 0
		.amdhsa_wavefront_size32 1
		.amdhsa_uses_dynamic_stack 0
		.amdhsa_system_sgpr_private_segment_wavefront_offset 0
		.amdhsa_system_sgpr_workgroup_id_x 1
		.amdhsa_system_sgpr_workgroup_id_y 0
		.amdhsa_system_sgpr_workgroup_id_z 0
		.amdhsa_system_sgpr_workgroup_info 0
		.amdhsa_system_vgpr_workitem_id 0
		.amdhsa_next_free_vgpr 18
		.amdhsa_next_free_sgpr 20
		.amdhsa_reserve_vcc 1
		.amdhsa_reserve_flat_scratch 0
		.amdhsa_float_round_mode_32 0
		.amdhsa_float_round_mode_16_64 0
		.amdhsa_float_denorm_mode_32 3
		.amdhsa_float_denorm_mode_16_64 3
		.amdhsa_dx10_clamp 1
		.amdhsa_ieee_mode 1
		.amdhsa_fp16_overflow 0
		.amdhsa_workgroup_processor_mode 1
		.amdhsa_memory_ordered 1
		.amdhsa_forward_progress 1
		.amdhsa_shared_vgpr_count 0
		.amdhsa_exception_fp_ieee_invalid_op 0
		.amdhsa_exception_fp_denorm_src 0
		.amdhsa_exception_fp_ieee_div_zero 0
		.amdhsa_exception_fp_ieee_overflow 0
		.amdhsa_exception_fp_ieee_underflow 0
		.amdhsa_exception_fp_ieee_inexact 0
		.amdhsa_exception_int_div_zero 0
	.end_amdhsa_kernel
	.section	.text._ZN2at6native12_GLOBAL__N_124RowwiseMomentsCUDAKernelIN3c104HalfEfLb0EEEvlT0_PKT_PS5_S9_,"axG",@progbits,_ZN2at6native12_GLOBAL__N_124RowwiseMomentsCUDAKernelIN3c104HalfEfLb0EEEvlT0_PKT_PS5_S9_,comdat
.Lfunc_end7:
	.size	_ZN2at6native12_GLOBAL__N_124RowwiseMomentsCUDAKernelIN3c104HalfEfLb0EEEvlT0_PKT_PS5_S9_, .Lfunc_end7-_ZN2at6native12_GLOBAL__N_124RowwiseMomentsCUDAKernelIN3c104HalfEfLb0EEEvlT0_PKT_PS5_S9_
                                        ; -- End function
	.set _ZN2at6native12_GLOBAL__N_124RowwiseMomentsCUDAKernelIN3c104HalfEfLb0EEEvlT0_PKT_PS5_S9_.num_vgpr, 18
	.set _ZN2at6native12_GLOBAL__N_124RowwiseMomentsCUDAKernelIN3c104HalfEfLb0EEEvlT0_PKT_PS5_S9_.num_agpr, 0
	.set _ZN2at6native12_GLOBAL__N_124RowwiseMomentsCUDAKernelIN3c104HalfEfLb0EEEvlT0_PKT_PS5_S9_.numbered_sgpr, 20
	.set _ZN2at6native12_GLOBAL__N_124RowwiseMomentsCUDAKernelIN3c104HalfEfLb0EEEvlT0_PKT_PS5_S9_.num_named_barrier, 0
	.set _ZN2at6native12_GLOBAL__N_124RowwiseMomentsCUDAKernelIN3c104HalfEfLb0EEEvlT0_PKT_PS5_S9_.private_seg_size, 0
	.set _ZN2at6native12_GLOBAL__N_124RowwiseMomentsCUDAKernelIN3c104HalfEfLb0EEEvlT0_PKT_PS5_S9_.uses_vcc, 1
	.set _ZN2at6native12_GLOBAL__N_124RowwiseMomentsCUDAKernelIN3c104HalfEfLb0EEEvlT0_PKT_PS5_S9_.uses_flat_scratch, 0
	.set _ZN2at6native12_GLOBAL__N_124RowwiseMomentsCUDAKernelIN3c104HalfEfLb0EEEvlT0_PKT_PS5_S9_.has_dyn_sized_stack, 0
	.set _ZN2at6native12_GLOBAL__N_124RowwiseMomentsCUDAKernelIN3c104HalfEfLb0EEEvlT0_PKT_PS5_S9_.has_recursion, 0
	.set _ZN2at6native12_GLOBAL__N_124RowwiseMomentsCUDAKernelIN3c104HalfEfLb0EEEvlT0_PKT_PS5_S9_.has_indirect_call, 0
	.section	.AMDGPU.csdata,"",@progbits
; Kernel info:
; codeLenInByte = 2940
; TotalNumSgprs: 22
; NumVgprs: 18
; ScratchSize: 0
; MemoryBound: 0
; FloatMode: 240
; IeeeMode: 1
; LDSByteSize: 768 bytes/workgroup (compile time only)
; SGPRBlocks: 0
; VGPRBlocks: 2
; NumSGPRsForWavesPerEU: 22
; NumVGPRsForWavesPerEU: 18
; Occupancy: 16
; WaveLimiterHint : 0
; COMPUTE_PGM_RSRC2:SCRATCH_EN: 0
; COMPUTE_PGM_RSRC2:USER_SGPR: 6
; COMPUTE_PGM_RSRC2:TRAP_HANDLER: 0
; COMPUTE_PGM_RSRC2:TGID_X_EN: 1
; COMPUTE_PGM_RSRC2:TGID_Y_EN: 0
; COMPUTE_PGM_RSRC2:TGID_Z_EN: 0
; COMPUTE_PGM_RSRC2:TIDIG_COMP_CNT: 0
	.section	.text._ZN2at6native12_GLOBAL__N_126LayerNormForwardCUDAKernelIN3c104HalfEfLb0EEEvlPKT_PKT0_SA_S7_S7_PS5_,"axG",@progbits,_ZN2at6native12_GLOBAL__N_126LayerNormForwardCUDAKernelIN3c104HalfEfLb0EEEvlPKT_PKT0_SA_S7_S7_PS5_,comdat
	.globl	_ZN2at6native12_GLOBAL__N_126LayerNormForwardCUDAKernelIN3c104HalfEfLb0EEEvlPKT_PKT0_SA_S7_S7_PS5_ ; -- Begin function _ZN2at6native12_GLOBAL__N_126LayerNormForwardCUDAKernelIN3c104HalfEfLb0EEEvlPKT_PKT0_SA_S7_S7_PS5_
	.p2align	8
	.type	_ZN2at6native12_GLOBAL__N_126LayerNormForwardCUDAKernelIN3c104HalfEfLb0EEEvlPKT_PKT0_SA_S7_S7_PS5_,@function
_ZN2at6native12_GLOBAL__N_126LayerNormForwardCUDAKernelIN3c104HalfEfLb0EEEvlPKT_PKT0_SA_S7_S7_PS5_: ; @_ZN2at6native12_GLOBAL__N_126LayerNormForwardCUDAKernelIN3c104HalfEfLb0EEEvlPKT_PKT0_SA_S7_S7_PS5_
; %bb.0:
	s_load_dwordx8 s[8:15], s[4:5], 0x0
	v_mov_b32_e32 v1, 0
	s_mov_b32 s0, exec_lo
	s_waitcnt lgkmcnt(0)
	v_cmpx_gt_i64_e64 s[8:9], v[0:1]
	s_cbranch_execz .LBB8_8
; %bb.1:
	s_load_dwordx8 s[16:23], s[4:5], 0x20
	s_mov_b32 s7, 0
	s_load_dword s0, s[4:5], 0x44
	v_lshlrev_b32_e32 v2, 1, v0
	v_mov_b32_e32 v3, v1
	s_waitcnt lgkmcnt(0)
	s_cmp_lg_u64 s[16:17], 0
	s_cselect_b32 s1, -1, 0
	s_cmp_lg_u64 s[18:19], 0
	s_cselect_b32 s2, -1, 0
	s_lshl_b64 s[4:5], s[6:7], 2
	s_add_u32 s12, s12, s4
	s_addc_u32 s13, s13, s5
	s_add_u32 s4, s14, s4
	s_addc_u32 s5, s15, s5
	s_load_dword s3, s[12:13], 0x0
	s_load_dword s4, s[4:5], 0x0
	s_mul_i32 s5, s9, s6
	s_mul_hi_u32 s12, s8, s6
	s_add_i32 s13, s12, s5
	s_mul_i32 s12, s8, s6
	s_and_b32 s5, s0, 0xffff
	s_lshl_b64 s[12:13], s[12:13], 1
	s_add_u32 s6, s10, s12
	s_addc_u32 s10, s11, s13
	s_lshl_b32 s11, s5, 1
	s_add_u32 s12, s20, s12
	s_addc_u32 s13, s21, s13
	s_branch .LBB8_4
.LBB8_2:                                ;   in Loop: Header=BB8_4 Depth=1
	v_add_co_u32 v5, vcc_lo, s18, v2
	v_add_co_ci_u32_e64 v6, null, s19, v3, vcc_lo
	global_load_ushort v5, v[5:6], off
	s_waitcnt vmcnt(0)
	v_cvt_f32_f16_e32 v5, v5
.LBB8_3:                                ;   in Loop: Header=BB8_4 Depth=1
	v_add_co_u32 v6, vcc_lo, s6, v2
	v_add_co_ci_u32_e64 v7, null, s10, v3, vcc_lo
	v_add_co_u32 v0, vcc_lo, v0, s5
	v_add_co_ci_u32_e64 v1, null, 0, v1, vcc_lo
	global_load_ushort v6, v[6:7], off
	s_waitcnt vmcnt(0)
	v_cvt_f32_f16_e32 v6, v6
	s_waitcnt lgkmcnt(0)
	v_subrev_f32_e32 v6, s3, v6
	v_mul_f32_e32 v8, s4, v6
	v_add_co_u32 v6, vcc_lo, s12, v2
	v_add_co_ci_u32_e64 v7, null, s13, v3, vcc_lo
	v_cmp_le_i64_e32 vcc_lo, s[8:9], v[0:1]
	v_add_co_u32 v2, s0, v2, s11
	v_fma_mixlo_f16 v4, v4, v8, v5
	v_add_co_ci_u32_e64 v3, null, 0, v3, s0
	s_or_b32 s7, vcc_lo, s7
	global_store_short v[6:7], v4, off
	s_andn2_b32 exec_lo, exec_lo, s7
	s_cbranch_execz .LBB8_8
.LBB8_4:                                ; =>This Inner Loop Header: Depth=1
	s_andn2_b32 vcc_lo, exec_lo, s1
	s_cbranch_vccnz .LBB8_6
; %bb.5:                                ;   in Loop: Header=BB8_4 Depth=1
	v_add_co_u32 v4, vcc_lo, s16, v2
	v_add_co_ci_u32_e64 v5, null, s17, v3, vcc_lo
	global_load_ushort v4, v[4:5], off
	s_waitcnt vmcnt(0)
	v_cvt_f32_f16_e32 v4, v4
	s_andn2_b32 vcc_lo, exec_lo, s2
	s_cbranch_vccz .LBB8_2
	s_branch .LBB8_7
.LBB8_6:                                ;   in Loop: Header=BB8_4 Depth=1
	v_mov_b32_e32 v4, 1.0
	s_andn2_b32 vcc_lo, exec_lo, s2
	s_cbranch_vccz .LBB8_2
.LBB8_7:                                ;   in Loop: Header=BB8_4 Depth=1
	v_mov_b32_e32 v5, 0
	s_branch .LBB8_3
.LBB8_8:
	s_endpgm
	.section	.rodata,"a",@progbits
	.p2align	6, 0x0
	.amdhsa_kernel _ZN2at6native12_GLOBAL__N_126LayerNormForwardCUDAKernelIN3c104HalfEfLb0EEEvlPKT_PKT0_SA_S7_S7_PS5_
		.amdhsa_group_segment_fixed_size 0
		.amdhsa_private_segment_fixed_size 0
		.amdhsa_kernarg_size 312
		.amdhsa_user_sgpr_count 6
		.amdhsa_user_sgpr_private_segment_buffer 1
		.amdhsa_user_sgpr_dispatch_ptr 0
		.amdhsa_user_sgpr_queue_ptr 0
		.amdhsa_user_sgpr_kernarg_segment_ptr 1
		.amdhsa_user_sgpr_dispatch_id 0
		.amdhsa_user_sgpr_flat_scratch_init 0
		.amdhsa_user_sgpr_private_segment_size 0
		.amdhsa_wavefront_size32 1
		.amdhsa_uses_dynamic_stack 0
		.amdhsa_system_sgpr_private_segment_wavefront_offset 0
		.amdhsa_system_sgpr_workgroup_id_x 1
		.amdhsa_system_sgpr_workgroup_id_y 0
		.amdhsa_system_sgpr_workgroup_id_z 0
		.amdhsa_system_sgpr_workgroup_info 0
		.amdhsa_system_vgpr_workitem_id 0
		.amdhsa_next_free_vgpr 9
		.amdhsa_next_free_sgpr 24
		.amdhsa_reserve_vcc 1
		.amdhsa_reserve_flat_scratch 0
		.amdhsa_float_round_mode_32 0
		.amdhsa_float_round_mode_16_64 0
		.amdhsa_float_denorm_mode_32 3
		.amdhsa_float_denorm_mode_16_64 3
		.amdhsa_dx10_clamp 1
		.amdhsa_ieee_mode 1
		.amdhsa_fp16_overflow 0
		.amdhsa_workgroup_processor_mode 1
		.amdhsa_memory_ordered 1
		.amdhsa_forward_progress 1
		.amdhsa_shared_vgpr_count 0
		.amdhsa_exception_fp_ieee_invalid_op 0
		.amdhsa_exception_fp_denorm_src 0
		.amdhsa_exception_fp_ieee_div_zero 0
		.amdhsa_exception_fp_ieee_overflow 0
		.amdhsa_exception_fp_ieee_underflow 0
		.amdhsa_exception_fp_ieee_inexact 0
		.amdhsa_exception_int_div_zero 0
	.end_amdhsa_kernel
	.section	.text._ZN2at6native12_GLOBAL__N_126LayerNormForwardCUDAKernelIN3c104HalfEfLb0EEEvlPKT_PKT0_SA_S7_S7_PS5_,"axG",@progbits,_ZN2at6native12_GLOBAL__N_126LayerNormForwardCUDAKernelIN3c104HalfEfLb0EEEvlPKT_PKT0_SA_S7_S7_PS5_,comdat
.Lfunc_end8:
	.size	_ZN2at6native12_GLOBAL__N_126LayerNormForwardCUDAKernelIN3c104HalfEfLb0EEEvlPKT_PKT0_SA_S7_S7_PS5_, .Lfunc_end8-_ZN2at6native12_GLOBAL__N_126LayerNormForwardCUDAKernelIN3c104HalfEfLb0EEEvlPKT_PKT0_SA_S7_S7_PS5_
                                        ; -- End function
	.set _ZN2at6native12_GLOBAL__N_126LayerNormForwardCUDAKernelIN3c104HalfEfLb0EEEvlPKT_PKT0_SA_S7_S7_PS5_.num_vgpr, 9
	.set _ZN2at6native12_GLOBAL__N_126LayerNormForwardCUDAKernelIN3c104HalfEfLb0EEEvlPKT_PKT0_SA_S7_S7_PS5_.num_agpr, 0
	.set _ZN2at6native12_GLOBAL__N_126LayerNormForwardCUDAKernelIN3c104HalfEfLb0EEEvlPKT_PKT0_SA_S7_S7_PS5_.numbered_sgpr, 24
	.set _ZN2at6native12_GLOBAL__N_126LayerNormForwardCUDAKernelIN3c104HalfEfLb0EEEvlPKT_PKT0_SA_S7_S7_PS5_.num_named_barrier, 0
	.set _ZN2at6native12_GLOBAL__N_126LayerNormForwardCUDAKernelIN3c104HalfEfLb0EEEvlPKT_PKT0_SA_S7_S7_PS5_.private_seg_size, 0
	.set _ZN2at6native12_GLOBAL__N_126LayerNormForwardCUDAKernelIN3c104HalfEfLb0EEEvlPKT_PKT0_SA_S7_S7_PS5_.uses_vcc, 1
	.set _ZN2at6native12_GLOBAL__N_126LayerNormForwardCUDAKernelIN3c104HalfEfLb0EEEvlPKT_PKT0_SA_S7_S7_PS5_.uses_flat_scratch, 0
	.set _ZN2at6native12_GLOBAL__N_126LayerNormForwardCUDAKernelIN3c104HalfEfLb0EEEvlPKT_PKT0_SA_S7_S7_PS5_.has_dyn_sized_stack, 0
	.set _ZN2at6native12_GLOBAL__N_126LayerNormForwardCUDAKernelIN3c104HalfEfLb0EEEvlPKT_PKT0_SA_S7_S7_PS5_.has_recursion, 0
	.set _ZN2at6native12_GLOBAL__N_126LayerNormForwardCUDAKernelIN3c104HalfEfLb0EEEvlPKT_PKT0_SA_S7_S7_PS5_.has_indirect_call, 0
	.section	.AMDGPU.csdata,"",@progbits
; Kernel info:
; codeLenInByte = 400
; TotalNumSgprs: 26
; NumVgprs: 9
; ScratchSize: 0
; MemoryBound: 0
; FloatMode: 240
; IeeeMode: 1
; LDSByteSize: 0 bytes/workgroup (compile time only)
; SGPRBlocks: 0
; VGPRBlocks: 1
; NumSGPRsForWavesPerEU: 26
; NumVGPRsForWavesPerEU: 9
; Occupancy: 16
; WaveLimiterHint : 0
; COMPUTE_PGM_RSRC2:SCRATCH_EN: 0
; COMPUTE_PGM_RSRC2:USER_SGPR: 6
; COMPUTE_PGM_RSRC2:TRAP_HANDLER: 0
; COMPUTE_PGM_RSRC2:TGID_X_EN: 1
; COMPUTE_PGM_RSRC2:TGID_Y_EN: 0
; COMPUTE_PGM_RSRC2:TGID_Z_EN: 0
; COMPUTE_PGM_RSRC2:TIDIG_COMP_CNT: 0
	.section	.text._ZN2at6native12_GLOBAL__N_128vectorized_layer_norm_kernelIN3c108BFloat16EfLb0EEEviT0_PKT_S8_S8_PS5_S9_PS6_,"axG",@progbits,_ZN2at6native12_GLOBAL__N_128vectorized_layer_norm_kernelIN3c108BFloat16EfLb0EEEviT0_PKT_S8_S8_PS5_S9_PS6_,comdat
	.globl	_ZN2at6native12_GLOBAL__N_128vectorized_layer_norm_kernelIN3c108BFloat16EfLb0EEEviT0_PKT_S8_S8_PS5_S9_PS6_ ; -- Begin function _ZN2at6native12_GLOBAL__N_128vectorized_layer_norm_kernelIN3c108BFloat16EfLb0EEEviT0_PKT_S8_S8_PS5_S9_PS6_
	.p2align	8
	.type	_ZN2at6native12_GLOBAL__N_128vectorized_layer_norm_kernelIN3c108BFloat16EfLb0EEEviT0_PKT_S8_S8_PS5_S9_PS6_,@function
_ZN2at6native12_GLOBAL__N_128vectorized_layer_norm_kernelIN3c108BFloat16EfLb0EEEviT0_PKT_S8_S8_PS5_S9_PS6_: ; @_ZN2at6native12_GLOBAL__N_128vectorized_layer_norm_kernelIN3c108BFloat16EfLb0EEEviT0_PKT_S8_S8_PS5_S9_PS6_
; %bb.0:
	s_clause 0x1
	s_load_dwordx4 s[16:19], s[4:5], 0x0
	s_load_dword s1, s[4:5], 0x44
	v_mov_b32_e32 v8, 0
	v_mov_b32_e32 v4, 0
	;; [unrolled: 1-line block ×3, first 2 shown]
	s_mov_b32 s7, 0
	s_waitcnt lgkmcnt(0)
	s_ashr_i32 s0, s16, 31
	s_and_b32 s3, s1, 0xffff
	s_mul_i32 s8, s0, s6
	s_lshr_b32 s0, s0, 30
	v_mul_u32_u24_e32 v2, s3, v1
	v_mad_u32_u24 v6, v1, s3, v0
	s_add_i32 s0, s16, s0
	s_mul_hi_u32 s2, s16, s6
	s_ashr_i32 s24, s0, 2
	v_add_lshl_u32 v7, v2, v0, 3
	v_cmp_gt_i32_e64 s0, s24, v6
	s_lshr_b32 s10, s1, 16
	s_add_i32 s23, s2, s8
	s_mul_i32 s22, s16, s6
	s_mul_i32 s20, s10, s3
	s_and_saveexec_b32 s11, s0
	s_cbranch_execz .LBB9_4
; %bb.1:
	s_lshl_b64 s[2:3], s[22:23], 1
	v_mov_b32_e32 v8, 0
	s_add_u32 s1, s18, s2
	s_addc_u32 s2, s19, s3
	v_add_co_u32 v2, s1, s1, v7
	v_add_co_ci_u32_e64 v3, null, s2, 0, s1
	v_mov_b32_e32 v9, v6
	v_mov_b32_e32 v4, 0
	v_mov_b32_e32 v5, 0
	s_ashr_i32 s21, s20, 31
	s_mov_b32 s12, s7
	s_lshl_b64 s[8:9], s[20:21], 3
.LBB9_2:                                ; =>This Inner Loop Header: Depth=1
	global_load_dwordx2 v[10:11], v[2:3], off
	v_add_f32_e32 v12, 1.0, v8
	v_add_nc_u32_e32 v9, s20, v9
	v_add_f32_e32 v13, 1.0, v12
	v_div_scale_f32 v14, null, v12, v12, 1.0
	v_div_scale_f32 v15, vcc_lo, 1.0, v12, 1.0
	v_div_scale_f32 v16, null, v13, v13, 1.0
	v_rcp_f32_e32 v17, v14
	v_add_f32_e32 v18, 1.0, v13
	v_div_scale_f32 v19, s1, 1.0, v13, 1.0
	v_rcp_f32_e32 v20, v16
	v_div_scale_f32 v21, null, v18, v18, 1.0
	v_add_f32_e32 v8, 1.0, v18
	v_div_scale_f32 v22, s2, 1.0, v18, 1.0
	v_fma_f32 v23, -v14, v17, 1.0
	v_rcp_f32_e32 v24, v21
	v_div_scale_f32 v25, null, v8, v8, 1.0
	v_div_scale_f32 v26, s3, 1.0, v8, 1.0
	v_fmac_f32_e32 v17, v23, v17
	v_fma_f32 v23, -v16, v20, 1.0
	v_rcp_f32_e32 v27, v25
	v_mul_f32_e32 v28, v15, v17
	v_fmac_f32_e32 v20, v23, v20
	v_fma_f32 v23, -v21, v24, 1.0
	v_fma_f32 v29, -v14, v28, v15
	v_mul_f32_e32 v30, v19, v20
	v_fmac_f32_e32 v24, v23, v24
	v_fma_f32 v23, -v25, v27, 1.0
	v_fmac_f32_e32 v28, v29, v17
	v_fma_f32 v29, -v16, v30, v19
	v_mul_f32_e32 v31, v22, v24
	v_fmac_f32_e32 v27, v23, v27
	v_fma_f32 v14, -v14, v28, v15
	v_fmac_f32_e32 v30, v29, v20
	v_fma_f32 v15, -v21, v31, v22
	v_mul_f32_e32 v23, v26, v27
	v_div_fmas_f32 v14, v14, v17, v28
	v_fma_f32 v16, -v16, v30, v19
	s_mov_b32 vcc_lo, s1
	v_fmac_f32_e32 v31, v15, v24
	v_fma_f32 v15, -v25, v23, v26
	v_div_fixup_f32 v12, v14, v12, 1.0
	v_div_fmas_f32 v14, v16, v20, v30
	s_mov_b32 vcc_lo, s2
	v_fma_f32 v16, -v21, v31, v22
	v_fmac_f32_e32 v23, v15, v27
	v_cmp_le_i32_e64 s1, s24, v9
	v_div_fixup_f32 v13, v14, v13, 1.0
	v_div_fmas_f32 v15, v16, v24, v31
	s_mov_b32 vcc_lo, s3
	s_or_b32 s12, s1, s12
	v_div_fixup_f32 v15, v15, v18, 1.0
	s_waitcnt vmcnt(0)
	v_lshlrev_b32_e32 v17, 16, v10
	v_and_b32_e32 v16, 0xffff0000, v10
	v_alignbit_b32 v10, v11, v10, 16
	v_and_b32_e32 v11, 0xffff0000, v11
	v_sub_f32_e32 v14, v17, v5
	v_and_b32_e32 v10, 0xffff0000, v10
	v_fmac_f32_e32 v5, v12, v14
	v_sub_f32_e32 v12, v16, v5
	v_sub_f32_e32 v17, v17, v5
	v_fmac_f32_e32 v5, v13, v12
	v_fma_f32 v13, -v25, v23, v26
	v_fmac_f32_e32 v4, v14, v17
	v_sub_f32_e32 v18, v10, v5
	v_div_fmas_f32 v13, v13, v27, v23
	v_sub_f32_e32 v16, v16, v5
	v_add_co_u32 v2, vcc_lo, v2, s8
	v_fmac_f32_e32 v5, v15, v18
	v_div_fixup_f32 v13, v13, v8, 1.0
	v_fmac_f32_e32 v4, v12, v16
	v_add_co_ci_u32_e64 v3, null, s9, v3, vcc_lo
	v_sub_f32_e32 v14, v11, v5
	v_sub_f32_e32 v10, v10, v5
	v_fmac_f32_e32 v5, v13, v14
	v_fmac_f32_e32 v4, v18, v10
	v_sub_f32_e32 v10, v11, v5
	v_fmac_f32_e32 v4, v14, v10
	s_andn2_b32 exec_lo, exec_lo, s12
	s_cbranch_execnz .LBB9_2
; %bb.3:
	s_or_b32 exec_lo, exec_lo, s12
.LBB9_4:
	s_or_b32 exec_lo, exec_lo, s11
	v_mbcnt_lo_u32_b32 v2, -1, 0
	v_mov_b32_e32 v10, 0
	v_mov_b32_e32 v11, 0
	s_mov_b32 s1, exec_lo
	v_lshlrev_b32_e32 v3, 2, v2
	v_or_b32_e32 v3, 64, v3
	ds_bpermute_b32 v13, v3, v8
	ds_bpermute_b32 v12, v3, v5
	;; [unrolled: 1-line block ×3, first 2 shown]
	v_mov_b32_e32 v3, 0
	s_waitcnt lgkmcnt(2)
	v_add_f32_e32 v9, v8, v13
	v_cmpx_lt_f32_e32 0, v9
	s_cbranch_execz .LBB9_6
; %bb.5:
	v_div_scale_f32 v10, null, v9, v9, 1.0
	v_div_scale_f32 v16, vcc_lo, 1.0, v9, 1.0
	v_rcp_f32_e32 v11, v10
	v_fma_f32 v15, -v10, v11, 1.0
	v_fmac_f32_e32 v11, v15, v11
	v_mul_f32_e32 v15, v16, v11
	v_fma_f32 v17, -v10, v15, v16
	v_fmac_f32_e32 v15, v17, v11
	v_fma_f32 v10, -v10, v15, v16
	v_div_fmas_f32 v10, v10, v11, v15
	v_div_fixup_f32 v11, v10, v9, 1.0
	s_waitcnt lgkmcnt(1)
	v_sub_f32_e32 v10, v5, v12
	v_mul_f32_e32 v8, v8, v11
	v_mul_f32_e32 v15, v10, v10
	s_waitcnt lgkmcnt(0)
	v_add_f32_e32 v10, v4, v14
	v_mul_f32_e32 v4, v11, v13
	v_mul_f32_e32 v11, v5, v8
	;; [unrolled: 1-line block ×3, first 2 shown]
	v_fmac_f32_e32 v11, v4, v12
	v_fmac_f32_e32 v10, v5, v8
.LBB9_6:
	s_or_b32 exec_lo, exec_lo, s1
	v_cmp_gt_u32_e32 vcc_lo, 24, v2
	v_mov_b32_e32 v8, 0
	s_mov_b32 s1, exec_lo
	v_cndmask_b32_e64 v4, 0, 8, vcc_lo
	v_add_lshl_u32 v4, v4, v2, 2
	s_waitcnt lgkmcnt(1)
	ds_bpermute_b32 v12, v4, v9
	ds_bpermute_b32 v5, v4, v11
	;; [unrolled: 1-line block ×3, first 2 shown]
	s_waitcnt lgkmcnt(2)
	v_add_f32_e32 v4, v9, v12
	v_cmpx_lt_f32_e32 0, v4
	s_cbranch_execz .LBB9_8
; %bb.7:
	v_div_scale_f32 v3, null, v4, v4, 1.0
	v_div_scale_f32 v15, vcc_lo, 1.0, v4, 1.0
	v_rcp_f32_e32 v8, v3
	v_fma_f32 v14, -v3, v8, 1.0
	v_fmac_f32_e32 v8, v14, v8
	v_mul_f32_e32 v14, v15, v8
	v_fma_f32 v16, -v3, v14, v15
	v_fmac_f32_e32 v14, v16, v8
	v_fma_f32 v3, -v3, v14, v15
	v_div_fmas_f32 v3, v3, v8, v14
	v_div_fixup_f32 v8, v3, v4, 1.0
	s_waitcnt lgkmcnt(1)
	v_sub_f32_e32 v3, v11, v5
	v_mul_f32_e32 v9, v9, v8
	v_mul_f32_e32 v14, v3, v3
	s_waitcnt lgkmcnt(0)
	v_add_f32_e32 v3, v10, v13
	v_mul_f32_e32 v10, v8, v12
	v_mul_f32_e32 v8, v11, v9
	;; [unrolled: 1-line block ×3, first 2 shown]
	v_fmac_f32_e32 v8, v10, v5
	v_fmac_f32_e32 v3, v11, v9
.LBB9_8:
	s_or_b32 exec_lo, exec_lo, s1
	v_cmp_gt_u32_e32 vcc_lo, 28, v2
	v_mov_b32_e32 v9, 0
	v_mov_b32_e32 v10, 0
	;; [unrolled: 1-line block ×3, first 2 shown]
	s_mov_b32 s1, exec_lo
	s_waitcnt lgkmcnt(1)
	v_cndmask_b32_e64 v5, 0, 4, vcc_lo
	v_add_lshl_u32 v5, v5, v2, 2
	s_waitcnt lgkmcnt(0)
	ds_bpermute_b32 v13, v5, v4
	ds_bpermute_b32 v11, v5, v8
	;; [unrolled: 1-line block ×3, first 2 shown]
	s_waitcnt lgkmcnt(2)
	v_add_f32_e32 v5, v4, v13
	v_cmpx_lt_f32_e32 0, v5
	s_cbranch_execz .LBB9_10
; %bb.9:
	v_div_scale_f32 v10, null, v5, v5, 1.0
	v_div_scale_f32 v16, vcc_lo, 1.0, v5, 1.0
	v_rcp_f32_e32 v12, v10
	v_fma_f32 v15, -v10, v12, 1.0
	v_fmac_f32_e32 v12, v15, v12
	v_mul_f32_e32 v15, v16, v12
	v_fma_f32 v17, -v10, v15, v16
	v_fmac_f32_e32 v15, v17, v12
	v_fma_f32 v10, -v10, v15, v16
	v_div_fmas_f32 v10, v10, v12, v15
	v_div_fixup_f32 v12, v10, v5, 1.0
	s_waitcnt lgkmcnt(1)
	v_sub_f32_e32 v10, v8, v11
	v_mul_f32_e32 v4, v4, v12
	v_mul_f32_e32 v15, v10, v10
	s_waitcnt lgkmcnt(0)
	v_add_f32_e32 v10, v3, v14
	v_mul_f32_e32 v3, v12, v13
	v_mul_f32_e32 v12, v8, v4
	v_mul_f32_e32 v8, v15, v13
	v_fmac_f32_e32 v12, v3, v11
	v_fmac_f32_e32 v10, v8, v4
.LBB9_10:
	s_or_b32 exec_lo, exec_lo, s1
	v_cmp_gt_u32_e32 vcc_lo, 30, v2
	s_waitcnt lgkmcnt(1)
	v_mov_b32_e32 v11, 0
	s_mov_b32 s1, exec_lo
	v_cndmask_b32_e64 v3, 0, 2, vcc_lo
	v_add_lshl_u32 v3, v3, v2, 2
	ds_bpermute_b32 v8, v3, v5
	ds_bpermute_b32 v4, v3, v12
	ds_bpermute_b32 v13, v3, v10
	s_waitcnt lgkmcnt(2)
	v_add_f32_e32 v3, v5, v8
	v_cmpx_lt_f32_e32 0, v3
	s_cbranch_execz .LBB9_12
; %bb.11:
	v_div_scale_f32 v9, null, v3, v3, 1.0
	v_div_scale_f32 v15, vcc_lo, 1.0, v3, 1.0
	v_rcp_f32_e32 v11, v9
	v_fma_f32 v14, -v9, v11, 1.0
	v_fmac_f32_e32 v11, v14, v11
	v_mul_f32_e32 v14, v15, v11
	v_fma_f32 v16, -v9, v14, v15
	v_fmac_f32_e32 v14, v16, v11
	v_fma_f32 v9, -v9, v14, v15
	v_div_fmas_f32 v9, v9, v11, v14
	v_div_fixup_f32 v11, v9, v3, 1.0
	s_waitcnt lgkmcnt(1)
	v_sub_f32_e32 v9, v12, v4
	v_mul_f32_e32 v5, v5, v11
	v_mul_f32_e32 v14, v9, v9
	s_waitcnt lgkmcnt(0)
	v_add_f32_e32 v9, v10, v13
	v_mul_f32_e32 v10, v11, v8
	v_mul_f32_e32 v11, v12, v5
	;; [unrolled: 1-line block ×3, first 2 shown]
	v_fmac_f32_e32 v11, v10, v4
	v_fmac_f32_e32 v9, v8, v5
.LBB9_12:
	s_or_b32 exec_lo, exec_lo, s1
	v_cmp_ne_u32_e32 vcc_lo, 31, v2
	v_mov_b32_e32 v8, 0
	s_mov_b32 s1, exec_lo
	v_add_co_ci_u32_e64 v2, null, 0, v2, vcc_lo
	s_waitcnt lgkmcnt(1)
	v_lshlrev_b32_e32 v4, 2, v2
	ds_bpermute_b32 v10, v4, v3
	ds_bpermute_b32 v2, v4, v11
	ds_bpermute_b32 v12, v4, v9
	v_mov_b32_e32 v4, 0
	s_waitcnt lgkmcnt(2)
	v_add_f32_e32 v5, v3, v10
	v_cmpx_lt_f32_e32 0, v5
	s_cbranch_execz .LBB9_14
; %bb.13:
	v_div_scale_f32 v4, null, v5, v5, 1.0
	v_div_scale_f32 v14, vcc_lo, 1.0, v5, 1.0
	v_rcp_f32_e32 v8, v4
	v_fma_f32 v13, -v4, v8, 1.0
	v_fmac_f32_e32 v8, v13, v8
	v_mul_f32_e32 v13, v14, v8
	v_fma_f32 v15, -v4, v13, v14
	v_fmac_f32_e32 v13, v15, v8
	v_fma_f32 v4, -v4, v13, v14
	v_div_fmas_f32 v4, v4, v8, v13
	s_waitcnt lgkmcnt(1)
	v_sub_f32_e32 v8, v11, v2
	v_div_fixup_f32 v4, v4, v5, 1.0
	v_mul_f32_e32 v13, v8, v8
	s_waitcnt lgkmcnt(0)
	v_add_f32_e32 v8, v9, v12
	v_mul_f32_e32 v3, v3, v4
	v_mul_f32_e32 v9, v4, v10
	;; [unrolled: 1-line block ×4, first 2 shown]
	v_fmac_f32_e32 v8, v10, v3
	v_fmac_f32_e32 v4, v9, v2
.LBB9_14:
	s_or_b32 exec_lo, exec_lo, s1
	s_cmp_lt_u32 s10, 2
	s_cbranch_scc0 .LBB9_16
; %bb.15:
	s_waitcnt lgkmcnt(1)
	v_mov_b32_e32 v2, 0
	v_cvt_f32_i32_e32 v9, s16
	ds_bpermute_b32 v3, v2, v8
	ds_bpermute_b32 v2, v2, v4
	s_waitcnt lgkmcnt(1)
	v_div_scale_f32 v10, null, v9, v9, v3
	v_rcp_f32_e32 v11, v10
	v_fma_f32 v12, -v10, v11, 1.0
	v_fmac_f32_e32 v11, v12, v11
	v_div_scale_f32 v12, vcc_lo, v3, v9, v3
	v_mul_f32_e32 v13, v12, v11
	v_fma_f32 v14, -v10, v13, v12
	v_fmac_f32_e32 v13, v14, v11
	v_fma_f32 v10, -v10, v13, v12
	v_div_fmas_f32 v10, v10, v11, v13
	v_div_fixup_f32 v3, v10, v9, v3
	s_cbranch_execz .LBB9_17
	s_branch .LBB9_29
.LBB9_16:
                                        ; implicit-def: $vgpr3
.LBB9_17:
	v_lshlrev_b32_e32 v3, 3, v1
	s_lshl_b32 s1, s10, 2
	s_add_i32 s3, s1, 0
	v_cmp_eq_u32_e64 s1, 0, v0
	s_waitcnt lgkmcnt(0)
	v_lshl_add_u32 v2, v1, 2, s3
	v_add_nc_u32_e32 v3, 0, v3
.LBB9_18:                               ; =>This Inner Loop Header: Depth=1
	s_lshr_b32 s8, s10, 1
	s_and_b32 s2, s10, 0xfffe
	v_cmp_le_u32_e32 vcc_lo, s8, v1
	v_cmp_gt_u32_e64 s2, s2, v1
	s_and_b32 s9, s1, vcc_lo
	s_and_b32 s9, s9, s2
	s_and_saveexec_b32 s2, s9
	s_cbranch_execz .LBB9_20
; %bb.19:                               ;   in Loop: Header=BB9_18 Depth=1
	v_subrev_nc_u32_e32 v9, s8, v1
	v_lshl_add_u32 v10, v9, 3, 0
	v_lshl_add_u32 v9, v9, 2, s3
	ds_write2_b32 v10, v4, v8 offset1:1
	ds_write_b32 v9, v5
.LBB9_20:                               ;   in Loop: Header=BB9_18 Depth=1
	s_or_b32 exec_lo, exec_lo, s2
	v_cmp_gt_u32_e32 vcc_lo, s8, v1
	s_waitcnt lgkmcnt(0)
	s_barrier
	buffer_gl0_inv
	s_and_b32 s9, s1, vcc_lo
	s_and_saveexec_b32 s2, s9
	s_cbranch_execz .LBB9_24
; %bb.21:                               ;   in Loop: Header=BB9_18 Depth=1
	ds_read_b32 v10, v2
	v_mov_b32_e32 v11, 0
	v_mov_b32_e32 v12, 0
	s_mov_b32 s9, exec_lo
	s_waitcnt lgkmcnt(0)
	v_add_f32_e32 v9, v5, v10
	v_cmpx_lt_f32_e32 0, v9
	s_cbranch_execz .LBB9_23
; %bb.22:                               ;   in Loop: Header=BB9_18 Depth=1
	v_div_scale_f32 v11, null, v9, v9, 1.0
	v_div_scale_f32 v15, vcc_lo, 1.0, v9, 1.0
	v_rcp_f32_e32 v14, v11
	v_fma_f32 v12, -v11, v14, 1.0
	v_fmac_f32_e32 v14, v12, v14
	ds_read2_b32 v[12:13], v3 offset1:1
	v_mul_f32_e32 v16, v15, v14
	v_fma_f32 v17, -v11, v16, v15
	v_fmac_f32_e32 v16, v17, v14
	v_fma_f32 v11, -v11, v16, v15
	v_div_fmas_f32 v11, v11, v14, v16
	v_div_fixup_f32 v14, v11, v9, 1.0
	s_waitcnt lgkmcnt(0)
	v_sub_f32_e32 v11, v4, v12
	v_mul_f32_e32 v15, v10, v14
	v_mul_f32_e32 v16, v11, v11
	v_add_f32_e32 v11, v8, v13
	v_mul_f32_e32 v5, v5, v14
	v_mul_f32_e32 v12, v15, v12
	;; [unrolled: 1-line block ×3, first 2 shown]
	v_fmac_f32_e32 v12, v4, v5
	v_fmac_f32_e32 v11, v5, v8
.LBB9_23:                               ;   in Loop: Header=BB9_18 Depth=1
	s_or_b32 exec_lo, exec_lo, s9
	v_mov_b32_e32 v4, v12
	v_mov_b32_e32 v8, v11
	;; [unrolled: 1-line block ×3, first 2 shown]
.LBB9_24:                               ;   in Loop: Header=BB9_18 Depth=1
	s_or_b32 exec_lo, exec_lo, s2
	s_cmp_lt_u32 s10, 4
	s_barrier
	buffer_gl0_inv
	s_cbranch_scc1 .LBB9_26
; %bb.25:                               ;   in Loop: Header=BB9_18 Depth=1
	s_mov_b32 s10, s8
	s_branch .LBB9_18
.LBB9_26:
	v_or_b32_e32 v0, v0, v1
	s_mov_b32 s1, exec_lo
	v_cmpx_eq_u32_e32 0, v0
	s_cbranch_execz .LBB9_28
; %bb.27:
	v_cvt_f32_i32_e32 v0, s16
	v_div_scale_f32 v1, null, v0, v0, v8
	v_div_scale_f32 v5, vcc_lo, v8, v0, v8
	v_rcp_f32_e32 v2, v1
	v_fma_f32 v3, -v1, v2, 1.0
	v_fmac_f32_e32 v2, v3, v2
	v_mul_f32_e32 v3, v5, v2
	v_fma_f32 v9, -v1, v3, v5
	v_fmac_f32_e32 v3, v9, v2
	v_fma_f32 v1, -v1, v3, v5
	v_div_fmas_f32 v1, v1, v2, v3
	v_div_fixup_f32 v0, v1, v0, v8
	v_mov_b32_e32 v1, 0
	ds_write2_b32 v1, v4, v0 offset1:1
.LBB9_28:
	s_or_b32 exec_lo, exec_lo, s1
	v_mov_b32_e32 v0, 0
	s_waitcnt lgkmcnt(0)
	s_barrier
	buffer_gl0_inv
	ds_read2_b32 v[2:3], v0 offset1:1
.LBB9_29:
	s_waitcnt lgkmcnt(0)
	v_add_f32_e32 v0, s17, v3
	s_clause 0x1
	s_load_dwordx8 s[8:15], s[4:5], 0x10
	s_load_dwordx2 s[2:3], s[4:5], 0x30
	v_mul_f32_e32 v1, 0x4b800000, v0
	v_cmp_gt_f32_e32 vcc_lo, 0x800000, v0
	v_cndmask_b32_e32 v0, v0, v1, vcc_lo
	v_rsq_f32_e32 v0, v0
	v_mul_f32_e32 v1, 0x45800000, v0
	v_cndmask_b32_e32 v8, v0, v1, vcc_lo
	s_and_saveexec_b32 s4, s0
	s_cbranch_execz .LBB9_44
; %bb.30:
	s_waitcnt lgkmcnt(0)
	s_cmp_eq_u64 s[8:9], 0
	v_mov_b32_e32 v9, v8
	s_cselect_b32 s5, -1, 0
	s_cmp_eq_u64 s[10:11], 0
	v_mov_b32_e32 v10, v2
	s_cselect_b32 s25, -1, 0
	s_lshl_b64 s[0:1], s[22:23], 1
	v_mov_b32_e32 v11, 0
	s_add_u32 s16, s2, s0
	s_addc_u32 s17, s3, s1
	s_add_u32 s18, s18, s0
	v_cndmask_b32_e64 v12, 0, 1, s25
	v_mov_b32_e32 v13, 0x7fc0
	v_mov_b32_e32 v14, 1
	;; [unrolled: 1-line block ×3, first 2 shown]
	s_addc_u32 s19, s19, s1
	s_ashr_i32 s21, s20, 31
	s_or_b32 s22, s5, s25
	s_lshl_b64 s[2:3], s[20:21], 3
	s_mov_b32 s21, 0
	s_branch .LBB9_32
.LBB9_31:                               ;   in Loop: Header=BB9_32 Depth=1
	v_bfe_u32 v0, v16, 16, 1
	v_lshl_or_b32 v3, v4, 16, v17
	v_cmp_o_f32_e32 vcc_lo, v16, v16
	v_add_nc_u32_e32 v15, s20, v15
	v_or_b32_sdwa v5, v11, v5 dst_sel:DWORD dst_unused:UNUSED_PAD src0_sel:DWORD src1_sel:WORD_0
	v_add3_u32 v18, v16, v0, 0x7fff
	s_add_u32 s18, s18, s2
	v_add_co_u32 v0, s0, s16, v7
	s_addc_u32 s19, s19, s3
	v_and_b32_e32 v4, 0xffff0000, v18
	s_add_u32 s16, s16, s2
	v_add_co_ci_u32_e64 v1, null, s17, 0, s0
	s_addc_u32 s17, s17, s3
	v_cndmask_b32_e32 v4, 0x7fc00000, v4, vcc_lo
	v_cmp_le_i32_e32 vcc_lo, s24, v15
	s_add_u32 s8, s8, s2
	s_addc_u32 s9, s9, s3
	s_add_u32 s10, s10, s2
	v_or_b32_e32 v4, v5, v4
	s_addc_u32 s11, s11, s3
	s_or_b32 s21, vcc_lo, s21
	global_store_dwordx2 v[0:1], v[3:4], off
	s_andn2_b32 exec_lo, exec_lo, s21
	s_cbranch_execz .LBB9_44
.LBB9_32:                               ; =>This Inner Loop Header: Depth=1
	v_add_co_u32 v0, s0, s18, v7
	v_add_co_ci_u32_e64 v1, null, s19, 0, s0
	s_and_b32 vcc_lo, exec_lo, s22
	s_mov_b32 s0, -1
                                        ; implicit-def: $vgpr16
                                        ; implicit-def: $vgpr17
	global_load_dwordx2 v[0:1], v[0:1], off
	s_waitcnt vmcnt(0)
	v_lshrrev_b64 v[3:4], 16, v[0:1]
                                        ; implicit-def: $vgpr4_vgpr5
	s_cbranch_vccz .LBB9_42
; %bb.33:                               ;   in Loop: Header=BB9_32 Depth=1
	s_and_b32 vcc_lo, exec_lo, s5
                                        ; implicit-def: $vgpr4_vgpr5
                                        ; implicit-def: $vgpr16
                                        ; implicit-def: $vgpr17
	s_cbranch_vccz .LBB9_39
; %bb.34:                               ;   in Loop: Header=BB9_32 Depth=1
	v_cmp_ne_u32_e32 vcc_lo, 1, v12
                                        ; implicit-def: $vgpr4_vgpr5
                                        ; implicit-def: $vgpr16
                                        ; implicit-def: $vgpr17
	s_cbranch_vccnz .LBB9_36
; %bb.35:                               ;   in Loop: Header=BB9_32 Depth=1
	v_lshlrev_b32_e32 v4, 16, v0
	v_lshlrev_b32_e32 v5, 16, v1
	;; [unrolled: 1-line block ×3, first 2 shown]
	v_and_b32_e32 v17, 0xffff0000, v1
	v_sub_f32_e32 v4, v4, v2
	v_sub_f32_e32 v5, v5, v10
	v_sub_f32_e32 v16, v16, v2
	v_sub_f32_e32 v18, v17, v2
	v_mul_f32_e32 v4, v8, v4
	v_mul_f32_e32 v5, v9, v5
	v_mul_f32_e32 v16, v8, v16
	v_bfe_u32 v17, v4, 16, 1
	v_and_b32_sdwa v19, v5, v14 dst_sel:DWORD dst_unused:UNUSED_PAD src0_sel:WORD_1 src1_sel:DWORD
	v_and_b32_sdwa v20, v16, v14 dst_sel:DWORD dst_unused:UNUSED_PAD src0_sel:WORD_1 src1_sel:DWORD
	v_cmp_o_f32_e32 vcc_lo, v4, v4
	v_cmp_o_f32_e64 s0, v5, v5
	v_add3_u32 v4, v4, v17, 0x7fff
	v_cmp_o_f32_e64 s1, v16, v16
	v_add3_u32 v5, v5, v19, 0x7fff
	v_add3_u32 v16, v16, v20, 0x7fff
	v_cndmask_b32_sdwa v17, v13, v4, vcc_lo dst_sel:DWORD dst_unused:UNUSED_PAD src0_sel:DWORD src1_sel:WORD_1
	s_mov_b32 vcc_lo, s0
	s_mov_b32 s0, 0
	v_cndmask_b32_sdwa v5, v13, v5, vcc_lo dst_sel:DWORD dst_unused:UNUSED_PAD src0_sel:DWORD src1_sel:WORD_1
	s_mov_b32 vcc_lo, s1
	v_cndmask_b32_sdwa v4, v13, v16, vcc_lo dst_sel:DWORD dst_unused:UNUSED_PAD src0_sel:DWORD src1_sel:WORD_1
	v_mul_f32_e32 v16, v8, v18
.LBB9_36:                               ;   in Loop: Header=BB9_32 Depth=1
	s_andn2_b32 vcc_lo, exec_lo, s0
	s_cbranch_vccnz .LBB9_38
; %bb.37:                               ;   in Loop: Header=BB9_32 Depth=1
	v_add_co_u32 v4, s0, s10, v7
	v_add_co_ci_u32_e64 v5, null, s11, 0, s0
	v_lshlrev_b32_e32 v16, 16, v0
	v_lshlrev_b32_e32 v17, 16, v1
	;; [unrolled: 1-line block ×3, first 2 shown]
	global_load_dwordx2 v[4:5], v[4:5], off
	v_sub_f32_e32 v16, v16, v2
	v_sub_f32_e32 v17, v17, v10
	;; [unrolled: 1-line block ×3, first 2 shown]
	s_waitcnt vmcnt(0)
	v_lshlrev_b32_e32 v19, 16, v4
	v_lshlrev_b32_e32 v20, 16, v5
	v_and_b32_e32 v4, 0xffff0000, v4
	v_fmac_f32_e32 v19, v8, v16
	v_and_b32_e32 v16, 0xffff0000, v1
	v_fmac_f32_e32 v20, v9, v17
	v_fmac_f32_e32 v4, v8, v18
	v_bfe_u32 v17, v19, 16, 1
	v_sub_f32_e32 v18, v16, v2
	v_and_b32_e32 v16, 0xffff0000, v5
	v_and_b32_sdwa v5, v20, v14 dst_sel:DWORD dst_unused:UNUSED_PAD src0_sel:WORD_1 src1_sel:DWORD
	v_and_b32_sdwa v21, v4, v14 dst_sel:DWORD dst_unused:UNUSED_PAD src0_sel:WORD_1 src1_sel:DWORD
	v_cmp_o_f32_e32 vcc_lo, v20, v20
	v_cmp_o_f32_e64 s0, v4, v4
	v_add3_u32 v17, v19, v17, 0x7fff
	v_add3_u32 v5, v20, v5, 0x7fff
	;; [unrolled: 1-line block ×3, first 2 shown]
	v_fmac_f32_e32 v16, v8, v18
	v_lshrrev_b32_e32 v17, 16, v17
	v_cndmask_b32_sdwa v5, v13, v5, vcc_lo dst_sel:DWORD dst_unused:UNUSED_PAD src0_sel:DWORD src1_sel:WORD_1
	s_mov_b32 vcc_lo, s0
	v_cndmask_b32_sdwa v4, v13, v4, vcc_lo dst_sel:DWORD dst_unused:UNUSED_PAD src0_sel:DWORD src1_sel:WORD_1
	v_cmp_o_f32_e32 vcc_lo, v19, v19
	v_cndmask_b32_e32 v17, 0x7fc0, v17, vcc_lo
.LBB9_38:                               ;   in Loop: Header=BB9_32 Depth=1
	s_mov_b32 s0, 0
.LBB9_39:                               ;   in Loop: Header=BB9_32 Depth=1
	s_andn2_b32 vcc_lo, exec_lo, s0
	s_cbranch_vccnz .LBB9_41
; %bb.40:                               ;   in Loop: Header=BB9_32 Depth=1
	v_add_co_u32 v4, s0, s8, v7
	v_add_co_ci_u32_e64 v5, null, s9, 0, s0
	v_lshlrev_b32_e32 v17, 16, v1
	v_lshlrev_b32_e32 v16, 16, v0
	;; [unrolled: 1-line block ×3, first 2 shown]
	global_load_dwordx2 v[4:5], v[4:5], off
	v_and_b32_e32 v19, 0xffff0000, v1
	v_sub_f32_e32 v17, v17, v10
	v_sub_f32_e32 v16, v16, v2
	;; [unrolled: 1-line block ×4, first 2 shown]
	v_mul_f32_e32 v17, v9, v17
	v_mul_f32_e32 v16, v8, v16
	;; [unrolled: 1-line block ×4, first 2 shown]
	s_waitcnt vmcnt(0)
	v_lshlrev_b32_e32 v21, 16, v5
	v_lshlrev_b32_e32 v20, 16, v4
	v_and_b32_e32 v4, 0xffff0000, v4
	v_mul_f32_e32 v17, v17, v21
	v_mul_f32_e32 v16, v16, v20
	;; [unrolled: 1-line block ×3, first 2 shown]
	v_and_b32_e32 v20, 0xffff0000, v5
	v_and_b32_sdwa v5, v17, v14 dst_sel:DWORD dst_unused:UNUSED_PAD src0_sel:WORD_1 src1_sel:DWORD
	v_bfe_u32 v18, v16, 16, 1
	v_and_b32_sdwa v21, v4, v14 dst_sel:DWORD dst_unused:UNUSED_PAD src0_sel:WORD_1 src1_sel:DWORD
	v_cmp_o_f32_e32 vcc_lo, v17, v17
	v_cmp_o_f32_e64 s0, v4, v4
	v_add3_u32 v5, v17, v5, 0x7fff
	v_add3_u32 v18, v16, v18, 0x7fff
	v_add3_u32 v4, v4, v21, 0x7fff
	v_cndmask_b32_sdwa v5, v13, v5, vcc_lo dst_sel:DWORD dst_unused:UNUSED_PAD src0_sel:DWORD src1_sel:WORD_1
	s_mov_b32 vcc_lo, s0
	v_lshrrev_b32_e32 v17, 16, v18
	v_cndmask_b32_sdwa v4, v13, v4, vcc_lo dst_sel:DWORD dst_unused:UNUSED_PAD src0_sel:DWORD src1_sel:WORD_1
	v_cmp_o_f32_e32 vcc_lo, v16, v16
	v_mul_f32_e32 v16, v19, v20
	v_cndmask_b32_e32 v17, 0x7fc0, v17, vcc_lo
.LBB9_41:                               ;   in Loop: Header=BB9_32 Depth=1
	s_mov_b32 s0, 0
.LBB9_42:                               ;   in Loop: Header=BB9_32 Depth=1
	s_andn2_b32 vcc_lo, exec_lo, s0
	s_cbranch_vccnz .LBB9_31
; %bb.43:                               ;   in Loop: Header=BB9_32 Depth=1
	v_add_co_u32 v4, s0, s8, v7
	v_add_co_ci_u32_e64 v5, null, s9, 0, s0
	v_add_co_u32 v16, s0, s10, v7
	v_add_co_ci_u32_e64 v17, null, s11, 0, s0
	global_load_dwordx2 v[4:5], v[4:5], off
	global_load_dwordx2 v[16:17], v[16:17], off
	v_lshlrev_b32_e32 v18, 16, v1
	v_lshlrev_b32_e32 v0, 16, v0
	;; [unrolled: 1-line block ×3, first 2 shown]
	v_and_b32_e32 v1, 0xffff0000, v1
	v_sub_f32_e32 v18, v18, v10
	v_sub_f32_e32 v0, v0, v2
	;; [unrolled: 1-line block ×4, first 2 shown]
	v_mul_f32_e32 v18, v9, v18
	v_mul_f32_e32 v0, v8, v0
	;; [unrolled: 1-line block ×3, first 2 shown]
	s_waitcnt vmcnt(1)
	v_lshlrev_b32_e32 v21, 16, v5
	s_waitcnt vmcnt(0)
	v_lshlrev_b32_e32 v22, 16, v17
	v_lshlrev_b32_e32 v19, 16, v4
	;; [unrolled: 1-line block ×3, first 2 shown]
	v_and_b32_e32 v4, 0xffff0000, v4
	v_and_b32_e32 v23, 0xffff0000, v16
	v_fmac_f32_e32 v22, v18, v21
	v_and_b32_e32 v16, 0xffff0000, v17
	v_fmac_f32_e32 v20, v0, v19
	v_mul_f32_e32 v0, v8, v1
	v_fmac_f32_e32 v23, v3, v4
	v_and_b32_sdwa v4, v22, v14 dst_sel:DWORD dst_unused:UNUSED_PAD src0_sel:WORD_1 src1_sel:DWORD
	v_and_b32_e32 v3, 0xffff0000, v5
	v_bfe_u32 v1, v20, 16, 1
	v_cmp_o_f32_e32 vcc_lo, v22, v22
	v_and_b32_sdwa v5, v23, v14 dst_sel:DWORD dst_unused:UNUSED_PAD src0_sel:WORD_1 src1_sel:DWORD
	v_cmp_o_f32_e64 s0, v23, v23
	v_add3_u32 v4, v22, v4, 0x7fff
	v_add3_u32 v1, v20, v1, 0x7fff
	v_fmac_f32_e32 v16, v0, v3
	v_add3_u32 v17, v23, v5, 0x7fff
	v_cndmask_b32_sdwa v5, v13, v4, vcc_lo dst_sel:DWORD dst_unused:UNUSED_PAD src0_sel:DWORD src1_sel:WORD_1
	s_mov_b32 vcc_lo, s0
	v_lshrrev_b32_e32 v1, 16, v1
	v_cndmask_b32_sdwa v4, v13, v17, vcc_lo dst_sel:DWORD dst_unused:UNUSED_PAD src0_sel:DWORD src1_sel:WORD_1
	v_cmp_o_f32_e32 vcc_lo, v20, v20
	v_cndmask_b32_e32 v17, 0x7fc0, v1, vcc_lo
	s_branch .LBB9_31
.LBB9_44:
	s_or_b32 exec_lo, exec_lo, s4
	s_mov_b32 s0, exec_lo
	v_cmpx_eq_u32_e32 0, v6
	s_cbranch_execz .LBB9_46
; %bb.45:
	s_lshl_b64 s[0:1], s[6:7], 2
	v_mov_b32_e32 v0, 0
	s_waitcnt lgkmcnt(0)
	s_add_u32 s2, s12, s0
	s_addc_u32 s3, s13, s1
	s_add_u32 s0, s14, s0
	s_addc_u32 s1, s15, s1
	global_store_dword v0, v2, s[2:3]
	global_store_dword v0, v8, s[0:1]
.LBB9_46:
	s_endpgm
	.section	.rodata,"a",@progbits
	.p2align	6, 0x0
	.amdhsa_kernel _ZN2at6native12_GLOBAL__N_128vectorized_layer_norm_kernelIN3c108BFloat16EfLb0EEEviT0_PKT_S8_S8_PS5_S9_PS6_
		.amdhsa_group_segment_fixed_size 0
		.amdhsa_private_segment_fixed_size 0
		.amdhsa_kernarg_size 312
		.amdhsa_user_sgpr_count 6
		.amdhsa_user_sgpr_private_segment_buffer 1
		.amdhsa_user_sgpr_dispatch_ptr 0
		.amdhsa_user_sgpr_queue_ptr 0
		.amdhsa_user_sgpr_kernarg_segment_ptr 1
		.amdhsa_user_sgpr_dispatch_id 0
		.amdhsa_user_sgpr_flat_scratch_init 0
		.amdhsa_user_sgpr_private_segment_size 0
		.amdhsa_wavefront_size32 1
		.amdhsa_uses_dynamic_stack 0
		.amdhsa_system_sgpr_private_segment_wavefront_offset 0
		.amdhsa_system_sgpr_workgroup_id_x 1
		.amdhsa_system_sgpr_workgroup_id_y 0
		.amdhsa_system_sgpr_workgroup_id_z 0
		.amdhsa_system_sgpr_workgroup_info 0
		.amdhsa_system_vgpr_workitem_id 1
		.amdhsa_next_free_vgpr 32
		.amdhsa_next_free_sgpr 26
		.amdhsa_reserve_vcc 1
		.amdhsa_reserve_flat_scratch 0
		.amdhsa_float_round_mode_32 0
		.amdhsa_float_round_mode_16_64 0
		.amdhsa_float_denorm_mode_32 3
		.amdhsa_float_denorm_mode_16_64 3
		.amdhsa_dx10_clamp 1
		.amdhsa_ieee_mode 1
		.amdhsa_fp16_overflow 0
		.amdhsa_workgroup_processor_mode 1
		.amdhsa_memory_ordered 1
		.amdhsa_forward_progress 1
		.amdhsa_shared_vgpr_count 0
		.amdhsa_exception_fp_ieee_invalid_op 0
		.amdhsa_exception_fp_denorm_src 0
		.amdhsa_exception_fp_ieee_div_zero 0
		.amdhsa_exception_fp_ieee_overflow 0
		.amdhsa_exception_fp_ieee_underflow 0
		.amdhsa_exception_fp_ieee_inexact 0
		.amdhsa_exception_int_div_zero 0
	.end_amdhsa_kernel
	.section	.text._ZN2at6native12_GLOBAL__N_128vectorized_layer_norm_kernelIN3c108BFloat16EfLb0EEEviT0_PKT_S8_S8_PS5_S9_PS6_,"axG",@progbits,_ZN2at6native12_GLOBAL__N_128vectorized_layer_norm_kernelIN3c108BFloat16EfLb0EEEviT0_PKT_S8_S8_PS5_S9_PS6_,comdat
.Lfunc_end9:
	.size	_ZN2at6native12_GLOBAL__N_128vectorized_layer_norm_kernelIN3c108BFloat16EfLb0EEEviT0_PKT_S8_S8_PS5_S9_PS6_, .Lfunc_end9-_ZN2at6native12_GLOBAL__N_128vectorized_layer_norm_kernelIN3c108BFloat16EfLb0EEEviT0_PKT_S8_S8_PS5_S9_PS6_
                                        ; -- End function
	.set _ZN2at6native12_GLOBAL__N_128vectorized_layer_norm_kernelIN3c108BFloat16EfLb0EEEviT0_PKT_S8_S8_PS5_S9_PS6_.num_vgpr, 32
	.set _ZN2at6native12_GLOBAL__N_128vectorized_layer_norm_kernelIN3c108BFloat16EfLb0EEEviT0_PKT_S8_S8_PS5_S9_PS6_.num_agpr, 0
	.set _ZN2at6native12_GLOBAL__N_128vectorized_layer_norm_kernelIN3c108BFloat16EfLb0EEEviT0_PKT_S8_S8_PS5_S9_PS6_.numbered_sgpr, 26
	.set _ZN2at6native12_GLOBAL__N_128vectorized_layer_norm_kernelIN3c108BFloat16EfLb0EEEviT0_PKT_S8_S8_PS5_S9_PS6_.num_named_barrier, 0
	.set _ZN2at6native12_GLOBAL__N_128vectorized_layer_norm_kernelIN3c108BFloat16EfLb0EEEviT0_PKT_S8_S8_PS5_S9_PS6_.private_seg_size, 0
	.set _ZN2at6native12_GLOBAL__N_128vectorized_layer_norm_kernelIN3c108BFloat16EfLb0EEEviT0_PKT_S8_S8_PS5_S9_PS6_.uses_vcc, 1
	.set _ZN2at6native12_GLOBAL__N_128vectorized_layer_norm_kernelIN3c108BFloat16EfLb0EEEviT0_PKT_S8_S8_PS5_S9_PS6_.uses_flat_scratch, 0
	.set _ZN2at6native12_GLOBAL__N_128vectorized_layer_norm_kernelIN3c108BFloat16EfLb0EEEviT0_PKT_S8_S8_PS5_S9_PS6_.has_dyn_sized_stack, 0
	.set _ZN2at6native12_GLOBAL__N_128vectorized_layer_norm_kernelIN3c108BFloat16EfLb0EEEviT0_PKT_S8_S8_PS5_S9_PS6_.has_recursion, 0
	.set _ZN2at6native12_GLOBAL__N_128vectorized_layer_norm_kernelIN3c108BFloat16EfLb0EEEviT0_PKT_S8_S8_PS5_S9_PS6_.has_indirect_call, 0
	.section	.AMDGPU.csdata,"",@progbits
; Kernel info:
; codeLenInByte = 3592
; TotalNumSgprs: 28
; NumVgprs: 32
; ScratchSize: 0
; MemoryBound: 0
; FloatMode: 240
; IeeeMode: 1
; LDSByteSize: 0 bytes/workgroup (compile time only)
; SGPRBlocks: 0
; VGPRBlocks: 3
; NumSGPRsForWavesPerEU: 28
; NumVGPRsForWavesPerEU: 32
; Occupancy: 16
; WaveLimiterHint : 0
; COMPUTE_PGM_RSRC2:SCRATCH_EN: 0
; COMPUTE_PGM_RSRC2:USER_SGPR: 6
; COMPUTE_PGM_RSRC2:TRAP_HANDLER: 0
; COMPUTE_PGM_RSRC2:TGID_X_EN: 1
; COMPUTE_PGM_RSRC2:TGID_Y_EN: 0
; COMPUTE_PGM_RSRC2:TGID_Z_EN: 0
; COMPUTE_PGM_RSRC2:TIDIG_COMP_CNT: 1
	.section	.text._ZN2at6native12_GLOBAL__N_124RowwiseMomentsCUDAKernelIN3c108BFloat16EfLb0EEEvlT0_PKT_PS5_S9_,"axG",@progbits,_ZN2at6native12_GLOBAL__N_124RowwiseMomentsCUDAKernelIN3c108BFloat16EfLb0EEEvlT0_PKT_PS5_S9_,comdat
	.globl	_ZN2at6native12_GLOBAL__N_124RowwiseMomentsCUDAKernelIN3c108BFloat16EfLb0EEEvlT0_PKT_PS5_S9_ ; -- Begin function _ZN2at6native12_GLOBAL__N_124RowwiseMomentsCUDAKernelIN3c108BFloat16EfLb0EEEvlT0_PKT_PS5_S9_
	.p2align	8
	.type	_ZN2at6native12_GLOBAL__N_124RowwiseMomentsCUDAKernelIN3c108BFloat16EfLb0EEEvlT0_PKT_PS5_S9_,@function
_ZN2at6native12_GLOBAL__N_124RowwiseMomentsCUDAKernelIN3c108BFloat16EfLb0EEEvlT0_PKT_PS5_S9_: ; @_ZN2at6native12_GLOBAL__N_124RowwiseMomentsCUDAKernelIN3c108BFloat16EfLb0EEEvlT0_PKT_PS5_S9_
; %bb.0:
	s_clause 0x2
	s_load_dwordx2 s[10:11], s[4:5], 0x0
	s_load_dwordx4 s[0:3], s[4:5], 0x10
	s_load_dwordx2 s[8:9], s[4:5], 0x20
	v_mov_b32_e32 v1, 0
	v_mov_b32_e32 v2, 0
	;; [unrolled: 1-line block ×3, first 2 shown]
	s_mov_b32 s7, 0
	s_mov_b32 s14, exec_lo
	v_mov_b32_e32 v8, v1
	v_mov_b32_e32 v9, v1
	s_waitcnt lgkmcnt(0)
	v_cmpx_gt_i64_e64 s[10:11], v[0:1]
	s_cbranch_execz .LBB10_4
; %bb.1:
	s_load_dword s15, s[4:5], 0x34
	s_mul_i32 s13, s11, s6
	s_mul_hi_u32 s16, s10, s6
	s_mul_i32 s12, s10, s6
	s_add_i32 s13, s16, s13
	v_lshlrev_b32_e32 v2, 1, v0
	s_lshl_b64 s[12:13], s[12:13], 1
	v_mov_b32_e32 v5, v1
	v_mov_b32_e32 v8, 0
	;; [unrolled: 1-line block ×4, first 2 shown]
	s_mov_b32 s16, s7
	s_waitcnt lgkmcnt(0)
	s_and_b32 s15, s15, 0xffff
	s_add_u32 s0, s0, s12
	s_addc_u32 s1, s1, s13
	v_add_co_u32 v6, s0, s0, v2
	v_add_co_ci_u32_e64 v7, null, s1, 0, s0
	s_lshl_b32 s1, s15, 1
	s_mov_b64 s[12:13], 0
.LBB10_2:                               ; =>This Inner Loop Header: Depth=1
	global_load_ushort v1, v[6:7], off
	s_add_u32 s12, s12, 1
	s_addc_u32 s13, s13, 0
	s_flbit_i32_b32 s0, s13
	s_min_u32 s0, s0, 32
	s_lshl_b64 s[18:19], s[12:13], s0
	s_sub_i32 s0, 32, s0
	s_min_u32 s17, s18, 1
	s_or_b32 s17, s19, s17
	v_cvt_f32_u32_e32 v2, s17
	s_waitcnt vmcnt(0)
	v_lshlrev_b32_e32 v3, 16, v1
	v_ldexp_f32 v1, v2, s0
	v_sub_f32_e32 v10, v3, v9
	v_div_scale_f32 v2, null, v1, v1, v10
	v_div_scale_f32 v13, vcc_lo, v10, v1, v10
	v_rcp_f32_e32 v11, v2
	v_fma_f32 v12, -v2, v11, 1.0
	v_fmac_f32_e32 v11, v12, v11
	v_mul_f32_e32 v12, v13, v11
	v_fma_f32 v14, -v2, v12, v13
	v_fmac_f32_e32 v12, v14, v11
	v_fma_f32 v2, -v2, v12, v13
	v_div_fmas_f32 v2, v2, v11, v12
	v_add_co_u32 v4, vcc_lo, v4, s15
	v_add_co_ci_u32_e64 v5, null, 0, v5, vcc_lo
	v_div_fixup_f32 v2, v2, v1, v10
	v_add_co_u32 v6, vcc_lo, v6, s1
	v_cmp_le_i64_e64 s0, s[10:11], v[4:5]
	v_add_co_ci_u32_e64 v7, null, 0, v7, vcc_lo
	v_add_f32_e32 v9, v9, v2
	s_or_b32 s16, s0, s16
	v_sub_f32_e32 v11, v3, v9
	v_mov_b32_e32 v2, s12
	v_mov_b32_e32 v3, s13
	v_fmac_f32_e32 v8, v10, v11
	s_andn2_b32 exec_lo, exec_lo, s16
	s_cbranch_execnz .LBB10_2
; %bb.3:
	s_or_b32 exec_lo, exec_lo, s16
.LBB10_4:
	s_or_b32 exec_lo, exec_lo, s14
	v_mbcnt_lo_u32_b32 v11, -1, 0
	s_mov_b32 s0, exec_lo
	v_lshl_or_b32 v7, v11, 2, 64
	ds_bpermute_b32 v12, v7, v9
	ds_bpermute_b32 v6, v7, v8
	ds_bpermute_b32 v4, v7, v2
	ds_bpermute_b32 v5, v7, v3
	ds_bpermute_b32 v14, v7, v1
	v_cmpx_neq_f32_e32 0, v1
	s_cbranch_execz .LBB10_8
; %bb.5:
	s_mov_b32 s1, exec_lo
	s_waitcnt lgkmcnt(0)
	v_cmpx_neq_f32_e32 0, v14
	s_cbranch_execz .LBB10_7
; %bb.6:
	v_add_f32_e32 v4, v1, v14
	v_add_f32_e32 v8, v8, v6
	v_div_scale_f32 v2, null, v4, v4, v14
	v_div_scale_f32 v10, vcc_lo, v14, v4, v14
	v_rcp_f32_e32 v3, v2
	v_fma_f32 v5, -v2, v3, 1.0
	v_fmac_f32_e32 v3, v5, v3
	v_mul_f32_e32 v5, v10, v3
	v_fma_f32 v13, -v2, v5, v10
	v_fmac_f32_e32 v5, v13, v3
	v_fma_f32 v2, -v2, v5, v10
	v_sub_f32_e32 v10, v12, v9
	v_div_fmas_f32 v2, v2, v3, v5
	v_mul_f32_e32 v3, v10, v10
	v_div_fixup_f32 v5, v2, v4, v14
	v_mul_f32_e32 v1, v1, v3
	v_mov_b32_e32 v2, -1
	v_mov_b32_e32 v3, -1
	v_fmac_f32_e32 v9, v10, v5
	v_fmac_f32_e32 v8, v1, v5
	v_mov_b32_e32 v1, v4
.LBB10_7:
	s_or_b32 exec_lo, exec_lo, s1
	v_mov_b32_e32 v5, v3
	v_mov_b32_e32 v14, v1
	;; [unrolled: 1-line block ×5, first 2 shown]
.LBB10_8:
	s_or_b32 exec_lo, exec_lo, s0
	v_cmp_gt_u32_e32 vcc_lo, 24, v11
	s_mov_b32 s0, exec_lo
	v_cndmask_b32_e64 v1, 0, 8, vcc_lo
	v_add_lshl_u32 v8, v1, v11, 2
	s_waitcnt lgkmcnt(4)
	ds_bpermute_b32 v13, v8, v12
	s_waitcnt lgkmcnt(4)
	ds_bpermute_b32 v10, v8, v6
	s_waitcnt lgkmcnt(4)
	ds_bpermute_b32 v1, v8, v4
	s_waitcnt lgkmcnt(4)
	ds_bpermute_b32 v2, v8, v5
	s_waitcnt lgkmcnt(4)
	ds_bpermute_b32 v15, v8, v14
	v_cmpx_neq_f32_e32 0, v14
	s_cbranch_execz .LBB10_12
; %bb.9:
	s_mov_b32 s1, exec_lo
	s_waitcnt lgkmcnt(0)
	v_cmpx_neq_f32_e32 0, v15
	s_cbranch_execz .LBB10_11
; %bb.10:
	v_add_f32_e32 v1, v14, v15
	v_add_f32_e32 v6, v6, v10
	v_div_scale_f32 v2, null, v1, v1, v15
	v_div_scale_f32 v5, vcc_lo, v15, v1, v15
	v_rcp_f32_e32 v3, v2
	v_fma_f32 v4, -v2, v3, 1.0
	v_fmac_f32_e32 v3, v4, v3
	v_mul_f32_e32 v4, v5, v3
	v_fma_f32 v9, -v2, v4, v5
	v_fmac_f32_e32 v4, v9, v3
	v_sub_f32_e32 v9, v13, v12
	v_fma_f32 v2, -v2, v4, v5
	v_div_fmas_f32 v2, v2, v3, v4
	v_mul_f32_e32 v3, v9, v9
	v_mov_b32_e32 v4, -1
	v_mov_b32_e32 v5, -1
	v_div_fixup_f32 v2, v2, v1, v15
	v_mul_f32_e32 v3, v14, v3
	v_mov_b32_e32 v14, v1
	v_fmac_f32_e32 v12, v9, v2
	v_fmac_f32_e32 v6, v3, v2
.LBB10_11:
	s_or_b32 exec_lo, exec_lo, s1
	v_mov_b32_e32 v1, v4
	v_mov_b32_e32 v15, v14
	;; [unrolled: 1-line block ×5, first 2 shown]
.LBB10_12:
	s_or_b32 exec_lo, exec_lo, s0
	v_cmp_gt_u32_e32 vcc_lo, 28, v11
	s_mov_b32 s0, exec_lo
	v_cndmask_b32_e64 v3, 0, 4, vcc_lo
	v_add_lshl_u32 v9, v3, v11, 2
	s_waitcnt lgkmcnt(4)
	ds_bpermute_b32 v14, v9, v13
	s_waitcnt lgkmcnt(4)
	ds_bpermute_b32 v12, v9, v10
	;; [unrolled: 2-line block ×5, first 2 shown]
	v_cmpx_neq_f32_e32 0, v15
	s_cbranch_execz .LBB10_16
; %bb.13:
	s_mov_b32 s1, exec_lo
	s_waitcnt lgkmcnt(0)
	v_cmpx_neq_f32_e32 0, v16
	s_cbranch_execz .LBB10_15
; %bb.14:
	v_add_f32_e32 v3, v15, v16
	v_add_f32_e32 v10, v10, v12
	v_div_scale_f32 v1, null, v3, v3, v16
	v_div_scale_f32 v5, vcc_lo, v16, v3, v16
	v_rcp_f32_e32 v2, v1
	v_fma_f32 v4, -v1, v2, 1.0
	v_fmac_f32_e32 v2, v4, v2
	v_mul_f32_e32 v4, v5, v2
	v_fma_f32 v6, -v1, v4, v5
	v_fmac_f32_e32 v4, v6, v2
	v_fma_f32 v1, -v1, v4, v5
	v_sub_f32_e32 v5, v14, v13
	v_div_fmas_f32 v1, v1, v2, v4
	v_mul_f32_e32 v2, v5, v5
	v_div_fixup_f32 v4, v1, v3, v16
	v_mul_f32_e32 v6, v15, v2
	v_mov_b32_e32 v1, -1
	v_mov_b32_e32 v2, -1
	v_mov_b32_e32 v15, v3
	v_fmac_f32_e32 v13, v5, v4
	v_fmac_f32_e32 v10, v6, v4
.LBB10_15:
	s_or_b32 exec_lo, exec_lo, s1
	v_mov_b32_e32 v4, v2
	v_mov_b32_e32 v16, v15
	;; [unrolled: 1-line block ×5, first 2 shown]
.LBB10_16:
	s_or_b32 exec_lo, exec_lo, s0
	v_cmp_gt_u32_e32 vcc_lo, 30, v11
	s_mov_b32 s0, exec_lo
	v_cndmask_b32_e64 v1, 0, 2, vcc_lo
	v_add_lshl_u32 v10, v1, v11, 2
	s_waitcnt lgkmcnt(4)
	ds_bpermute_b32 v15, v10, v14
	s_waitcnt lgkmcnt(4)
	ds_bpermute_b32 v13, v10, v12
	;; [unrolled: 2-line block ×5, first 2 shown]
	v_cmpx_neq_f32_e32 0, v16
	s_cbranch_execz .LBB10_20
; %bb.17:
	s_mov_b32 s1, exec_lo
	s_waitcnt lgkmcnt(0)
	v_cmpx_neq_f32_e32 0, v17
	s_cbranch_execz .LBB10_19
; %bb.18:
	v_add_f32_e32 v1, v16, v17
	v_add_f32_e32 v12, v12, v13
	v_div_scale_f32 v2, null, v1, v1, v17
	v_div_scale_f32 v5, vcc_lo, v17, v1, v17
	v_rcp_f32_e32 v3, v2
	v_fma_f32 v4, -v2, v3, 1.0
	v_fmac_f32_e32 v3, v4, v3
	v_mul_f32_e32 v4, v5, v3
	v_fma_f32 v6, -v2, v4, v5
	v_fmac_f32_e32 v4, v6, v3
	v_fma_f32 v2, -v2, v4, v5
	v_sub_f32_e32 v5, v15, v14
	v_div_fmas_f32 v2, v2, v3, v4
	v_mul_f32_e32 v3, v5, v5
	v_div_fixup_f32 v2, v2, v1, v17
	v_mul_f32_e32 v6, v16, v3
	v_mov_b32_e32 v3, -1
	v_mov_b32_e32 v4, -1
	v_mov_b32_e32 v16, v1
	v_fmac_f32_e32 v14, v5, v2
	v_fmac_f32_e32 v12, v6, v2
.LBB10_19:
	s_or_b32 exec_lo, exec_lo, s1
	v_mov_b32_e32 v6, v4
	v_mov_b32_e32 v17, v16
	;; [unrolled: 1-line block ×5, first 2 shown]
.LBB10_20:
	s_or_b32 exec_lo, exec_lo, s0
	v_cmp_ne_u32_e32 vcc_lo, 31, v11
	s_mov_b32 s0, exec_lo
	v_add_co_ci_u32_e64 v1, null, 0, v11, vcc_lo
	v_lshlrev_b32_e32 v11, 2, v1
	s_waitcnt lgkmcnt(4)
	ds_bpermute_b32 v1, v11, v15
	s_waitcnt lgkmcnt(4)
	ds_bpermute_b32 v2, v11, v13
	;; [unrolled: 2-line block ×5, first 2 shown]
	v_cmpx_neq_f32_e32 0, v17
	s_cbranch_execz .LBB10_24
; %bb.21:
	s_mov_b32 s1, exec_lo
	s_waitcnt lgkmcnt(0)
	v_cmpx_neq_f32_e32 0, v12
	s_cbranch_execz .LBB10_23
; %bb.22:
	v_add_f32_e32 v3, v17, v12
	v_sub_f32_e32 v1, v1, v15
	v_add_f32_e32 v13, v13, v2
	v_div_scale_f32 v4, null, v3, v3, v12
	v_div_scale_f32 v14, vcc_lo, v12, v3, v12
	v_rcp_f32_e32 v5, v4
	v_fma_f32 v6, -v4, v5, 1.0
	v_fmac_f32_e32 v5, v6, v5
	v_mul_f32_e32 v6, v14, v5
	v_fma_f32 v16, -v4, v6, v14
	v_fmac_f32_e32 v6, v16, v5
	v_fma_f32 v4, -v4, v6, v14
	v_div_fmas_f32 v4, v4, v5, v6
	v_mul_f32_e32 v5, v1, v1
	v_div_fixup_f32 v2, v4, v3, v12
	v_mul_f32_e32 v4, v17, v5
	v_mov_b32_e32 v5, -1
	v_mov_b32_e32 v6, -1
	v_mov_b32_e32 v17, v3
	v_fmac_f32_e32 v15, v1, v2
	v_fmac_f32_e32 v13, v4, v2
.LBB10_23:
	s_or_b32 exec_lo, exec_lo, s1
	v_mov_b32_e32 v3, v5
	v_mov_b32_e32 v12, v17
	;; [unrolled: 1-line block ×5, first 2 shown]
.LBB10_24:
	s_or_b32 exec_lo, exec_lo, s0
	v_and_b32_e32 v5, 31, v0
	s_mov_b32 s0, exec_lo
	s_waitcnt lgkmcnt(0)
	s_barrier
	buffer_gl0_inv
	v_cmpx_eq_u32_e32 0, v5
	s_cbranch_execz .LBB10_26
; %bb.25:
	v_lshrrev_b32_e32 v6, 5, v0
	v_mul_u32_u24_e32 v6, 24, v6
	ds_write2_b64 v6, v[1:2], v[3:4] offset1:1
	ds_write_b32 v6, v12 offset:16
.LBB10_26:
	s_or_b32 exec_lo, exec_lo, s0
	s_waitcnt lgkmcnt(0)
	s_barrier
	buffer_gl0_inv
	s_load_dword s0, s[4:5], 0x34
	v_mul_u32_u24_e32 v4, 24, v5
	v_mov_b32_e32 v2, 0
	v_mov_b32_e32 v1, 0
	s_waitcnt lgkmcnt(0)
	s_bfe_u32 s0, s0, 0xb0005
	v_cmp_gt_u32_e32 vcc_lo, s0, v0
	s_and_saveexec_b32 s0, vcc_lo
	s_cbranch_execnz .LBB10_55
; %bb.27:
	s_or_b32 exec_lo, exec_lo, s0
	s_and_saveexec_b32 s0, vcc_lo
	s_cbranch_execnz .LBB10_56
.LBB10_28:
	s_or_b32 exec_lo, exec_lo, s0
	v_mov_b32_e32 v3, 0
	s_and_saveexec_b32 s0, vcc_lo
.LBB10_29:
	ds_read_b32 v3, v4 offset:16
.LBB10_30:
	s_or_b32 exec_lo, exec_lo, s0
	s_mov_b32 s0, exec_lo
	v_cmpx_gt_u32_e32 32, v0
	s_cbranch_execz .LBB10_52
; %bb.31:
	s_waitcnt lgkmcnt(0)
	ds_bpermute_b32 v6, v7, v1
	ds_bpermute_b32 v4, v7, v2
	;; [unrolled: 1-line block ×3, first 2 shown]
	s_mov_b32 s1, exec_lo
	v_cmpx_neq_f32_e32 0, v3
	s_cbranch_execz .LBB10_35
; %bb.32:
	s_mov_b32 s10, exec_lo
	s_waitcnt lgkmcnt(0)
	v_cmpx_neq_f32_e32 0, v5
	s_cbranch_execz .LBB10_34
; %bb.33:
	v_add_f32_e32 v7, v3, v5
	v_sub_f32_e32 v6, v6, v1
	v_add_f32_e32 v2, v2, v4
	v_div_scale_f32 v12, null, v7, v7, v5
	v_div_scale_f32 v15, vcc_lo, v5, v7, v5
	v_rcp_f32_e32 v13, v12
	v_fma_f32 v14, -v12, v13, 1.0
	v_fmac_f32_e32 v13, v14, v13
	v_mul_f32_e32 v14, v15, v13
	v_fma_f32 v16, -v12, v14, v15
	v_fmac_f32_e32 v14, v16, v13
	v_fma_f32 v12, -v12, v14, v15
	v_div_fmas_f32 v12, v12, v13, v14
	v_mul_f32_e32 v13, v6, v6
	v_div_fixup_f32 v4, v12, v7, v5
	v_mul_f32_e32 v3, v3, v13
	v_fmac_f32_e32 v1, v6, v4
	v_fmac_f32_e32 v2, v3, v4
	v_mov_b32_e32 v3, v7
.LBB10_34:
	s_or_b32 exec_lo, exec_lo, s10
	v_mov_b32_e32 v5, v3
	v_mov_b32_e32 v4, v2
	;; [unrolled: 1-line block ×3, first 2 shown]
.LBB10_35:
	s_or_b32 exec_lo, exec_lo, s1
	s_waitcnt lgkmcnt(2)
	ds_bpermute_b32 v7, v8, v6
	s_waitcnt lgkmcnt(2)
	ds_bpermute_b32 v1, v8, v4
	;; [unrolled: 2-line block ×3, first 2 shown]
	s_mov_b32 s1, exec_lo
	v_cmpx_neq_f32_e32 0, v5
	s_cbranch_execz .LBB10_39
; %bb.36:
	s_mov_b32 s10, exec_lo
	s_waitcnt lgkmcnt(0)
	v_cmpx_neq_f32_e32 0, v3
	s_cbranch_execz .LBB10_38
; %bb.37:
	v_add_f32_e32 v2, v5, v3
	v_sub_f32_e32 v7, v7, v6
	v_add_f32_e32 v4, v4, v1
	v_div_scale_f32 v8, null, v2, v2, v3
	v_div_scale_f32 v14, vcc_lo, v3, v2, v3
	v_rcp_f32_e32 v12, v8
	v_fma_f32 v13, -v8, v12, 1.0
	v_fmac_f32_e32 v12, v13, v12
	v_mul_f32_e32 v13, v14, v12
	v_fma_f32 v15, -v8, v13, v14
	v_fmac_f32_e32 v13, v15, v12
	v_fma_f32 v8, -v8, v13, v14
	v_div_fmas_f32 v8, v8, v12, v13
	v_mul_f32_e32 v12, v7, v7
	v_div_fixup_f32 v1, v8, v2, v3
	v_mul_f32_e32 v3, v5, v12
	v_mov_b32_e32 v5, v2
	v_fmac_f32_e32 v6, v7, v1
	v_fmac_f32_e32 v4, v3, v1
.LBB10_38:
	s_or_b32 exec_lo, exec_lo, s10
	v_mov_b32_e32 v3, v5
	v_mov_b32_e32 v1, v4
	;; [unrolled: 1-line block ×3, first 2 shown]
.LBB10_39:
	s_or_b32 exec_lo, exec_lo, s1
	s_waitcnt lgkmcnt(2)
	ds_bpermute_b32 v8, v9, v7
	s_waitcnt lgkmcnt(2)
	ds_bpermute_b32 v2, v9, v1
	;; [unrolled: 2-line block ×3, first 2 shown]
	s_mov_b32 s1, exec_lo
	v_cmpx_neq_f32_e32 0, v3
	s_cbranch_execz .LBB10_43
; %bb.40:
	s_mov_b32 s10, exec_lo
	s_waitcnt lgkmcnt(0)
	v_cmpx_neq_f32_e32 0, v6
	s_cbranch_execz .LBB10_42
; %bb.41:
	v_add_f32_e32 v4, v3, v6
	v_sub_f32_e32 v8, v8, v7
	v_add_f32_e32 v1, v1, v2
	v_div_scale_f32 v5, null, v4, v4, v6
	v_div_scale_f32 v13, vcc_lo, v6, v4, v6
	v_rcp_f32_e32 v9, v5
	v_fma_f32 v12, -v5, v9, 1.0
	v_fmac_f32_e32 v9, v12, v9
	v_mul_f32_e32 v12, v13, v9
	v_fma_f32 v14, -v5, v12, v13
	v_fmac_f32_e32 v12, v14, v9
	v_fma_f32 v5, -v5, v12, v13
	v_div_fmas_f32 v5, v5, v9, v12
	v_mul_f32_e32 v9, v8, v8
	v_div_fixup_f32 v2, v5, v4, v6
	v_mul_f32_e32 v3, v3, v9
	v_fmac_f32_e32 v7, v8, v2
	v_fmac_f32_e32 v1, v3, v2
	v_mov_b32_e32 v3, v4
.LBB10_42:
	s_or_b32 exec_lo, exec_lo, s10
	v_mov_b32_e32 v6, v3
	v_mov_b32_e32 v2, v1
	;; [unrolled: 1-line block ×3, first 2 shown]
.LBB10_43:
	s_or_b32 exec_lo, exec_lo, s1
	s_waitcnt lgkmcnt(2)
	ds_bpermute_b32 v7, v10, v8
	s_waitcnt lgkmcnt(2)
	ds_bpermute_b32 v4, v10, v2
	;; [unrolled: 2-line block ×3, first 2 shown]
	s_mov_b32 s1, exec_lo
	v_cmpx_neq_f32_e32 0, v6
	s_cbranch_execz .LBB10_47
; %bb.44:
	s_mov_b32 s10, exec_lo
	s_waitcnt lgkmcnt(0)
	v_cmpx_neq_f32_e32 0, v5
	s_cbranch_execz .LBB10_46
; %bb.45:
	v_add_f32_e32 v1, v6, v5
	v_sub_f32_e32 v7, v7, v8
	v_add_f32_e32 v2, v2, v4
	v_div_scale_f32 v3, null, v1, v1, v5
	v_div_scale_f32 v12, vcc_lo, v5, v1, v5
	v_rcp_f32_e32 v9, v3
	v_fma_f32 v10, -v3, v9, 1.0
	v_fmac_f32_e32 v9, v10, v9
	v_mul_f32_e32 v10, v12, v9
	v_fma_f32 v13, -v3, v10, v12
	v_fmac_f32_e32 v10, v13, v9
	v_fma_f32 v3, -v3, v10, v12
	v_div_fmas_f32 v3, v3, v9, v10
	v_mul_f32_e32 v9, v7, v7
	v_div_fixup_f32 v3, v3, v1, v5
	v_mul_f32_e32 v4, v6, v9
	v_mov_b32_e32 v6, v1
	v_fmac_f32_e32 v8, v7, v3
	v_fmac_f32_e32 v2, v4, v3
.LBB10_46:
	s_or_b32 exec_lo, exec_lo, s10
	v_mov_b32_e32 v5, v6
	v_mov_b32_e32 v4, v2
	;; [unrolled: 1-line block ×3, first 2 shown]
.LBB10_47:
	s_or_b32 exec_lo, exec_lo, s1
	s_waitcnt lgkmcnt(2)
	ds_bpermute_b32 v1, v11, v7
	s_waitcnt lgkmcnt(2)
	ds_bpermute_b32 v2, v11, v4
	s_waitcnt lgkmcnt(2)
	ds_bpermute_b32 v3, v11, v5
	s_mov_b32 s1, exec_lo
	v_cmpx_neq_f32_e32 0, v5
	s_cbranch_execz .LBB10_51
; %bb.48:
	s_mov_b32 s10, exec_lo
	s_waitcnt lgkmcnt(0)
	v_cmpx_neq_f32_e32 0, v3
	s_cbranch_execz .LBB10_50
; %bb.49:
	v_add_f32_e32 v6, v5, v3
	v_sub_f32_e32 v1, v1, v7
	v_add_f32_e32 v4, v4, v2
	v_div_scale_f32 v8, null, v6, v6, v3
	v_div_scale_f32 v11, vcc_lo, v3, v6, v3
	v_rcp_f32_e32 v9, v8
	v_fma_f32 v10, -v8, v9, 1.0
	v_fmac_f32_e32 v9, v10, v9
	v_mul_f32_e32 v10, v11, v9
	v_fma_f32 v12, -v8, v10, v11
	v_fmac_f32_e32 v10, v12, v9
	v_fma_f32 v8, -v8, v10, v11
	v_div_fmas_f32 v8, v8, v9, v10
	v_mul_f32_e32 v9, v1, v1
	v_div_fixup_f32 v2, v8, v6, v3
	v_mul_f32_e32 v3, v5, v9
	v_mov_b32_e32 v5, v6
	v_fmac_f32_e32 v7, v1, v2
	v_fmac_f32_e32 v4, v3, v2
.LBB10_50:
	s_or_b32 exec_lo, exec_lo, s10
	v_mov_b32_e32 v3, v5
	v_mov_b32_e32 v2, v4
	;; [unrolled: 1-line block ×3, first 2 shown]
.LBB10_51:
	s_or_b32 exec_lo, exec_lo, s1
.LBB10_52:
	s_or_b32 exec_lo, exec_lo, s0
	s_mov_b32 s0, exec_lo
	v_cmpx_eq_u32_e32 0, v0
	s_cbranch_execz .LBB10_54
; %bb.53:
	s_waitcnt lgkmcnt(0)
	v_max_f32_e32 v0, v3, v3
	s_load_dword s0, s[4:5], 0x8
	v_max_f32_e32 v0, 0, v0
	v_div_scale_f32 v3, null, v0, v0, v2
	v_rcp_f32_e32 v4, v3
	v_fma_f32 v5, -v3, v4, 1.0
	v_fmac_f32_e32 v4, v5, v4
	v_div_scale_f32 v5, vcc_lo, v2, v0, v2
	v_mul_f32_e32 v6, v5, v4
	v_fma_f32 v7, -v3, v6, v5
	v_fmac_f32_e32 v6, v7, v4
	v_fma_f32 v3, -v3, v6, v5
	v_div_fmas_f32 v3, v3, v4, v6
	v_div_fixup_f32 v0, v3, v0, v2
	v_mov_b32_e32 v3, 0
	s_waitcnt lgkmcnt(0)
	v_add_f32_e32 v0, s0, v0
	s_lshl_b64 s[0:1], s[6:7], 2
	s_add_u32 s2, s2, s0
	s_addc_u32 s3, s3, s1
	v_mul_f32_e32 v2, 0x4b800000, v0
	v_cmp_gt_f32_e32 vcc_lo, 0x800000, v0
	s_add_u32 s0, s8, s0
	s_addc_u32 s1, s9, s1
	v_cndmask_b32_e32 v0, v0, v2, vcc_lo
	v_rsq_f32_e32 v0, v0
	v_mul_f32_e32 v2, 0x45800000, v0
	v_cndmask_b32_e32 v0, v0, v2, vcc_lo
	global_store_dword v3, v1, s[2:3]
	global_store_dword v3, v0, s[0:1]
.LBB10_54:
	s_endpgm
.LBB10_55:
	ds_read_b32 v1, v4
	s_or_b32 exec_lo, exec_lo, s0
	s_and_saveexec_b32 s0, vcc_lo
	s_cbranch_execz .LBB10_28
.LBB10_56:
	ds_read_b32 v2, v4 offset:4
	s_or_b32 exec_lo, exec_lo, s0
	v_mov_b32_e32 v3, 0
	s_and_saveexec_b32 s0, vcc_lo
	s_cbranch_execnz .LBB10_29
	s_branch .LBB10_30
	.section	.rodata,"a",@progbits
	.p2align	6, 0x0
	.amdhsa_kernel _ZN2at6native12_GLOBAL__N_124RowwiseMomentsCUDAKernelIN3c108BFloat16EfLb0EEEvlT0_PKT_PS5_S9_
		.amdhsa_group_segment_fixed_size 768
		.amdhsa_private_segment_fixed_size 0
		.amdhsa_kernarg_size 296
		.amdhsa_user_sgpr_count 6
		.amdhsa_user_sgpr_private_segment_buffer 1
		.amdhsa_user_sgpr_dispatch_ptr 0
		.amdhsa_user_sgpr_queue_ptr 0
		.amdhsa_user_sgpr_kernarg_segment_ptr 1
		.amdhsa_user_sgpr_dispatch_id 0
		.amdhsa_user_sgpr_flat_scratch_init 0
		.amdhsa_user_sgpr_private_segment_size 0
		.amdhsa_wavefront_size32 1
		.amdhsa_uses_dynamic_stack 0
		.amdhsa_system_sgpr_private_segment_wavefront_offset 0
		.amdhsa_system_sgpr_workgroup_id_x 1
		.amdhsa_system_sgpr_workgroup_id_y 0
		.amdhsa_system_sgpr_workgroup_id_z 0
		.amdhsa_system_sgpr_workgroup_info 0
		.amdhsa_system_vgpr_workitem_id 0
		.amdhsa_next_free_vgpr 18
		.amdhsa_next_free_sgpr 20
		.amdhsa_reserve_vcc 1
		.amdhsa_reserve_flat_scratch 0
		.amdhsa_float_round_mode_32 0
		.amdhsa_float_round_mode_16_64 0
		.amdhsa_float_denorm_mode_32 3
		.amdhsa_float_denorm_mode_16_64 3
		.amdhsa_dx10_clamp 1
		.amdhsa_ieee_mode 1
		.amdhsa_fp16_overflow 0
		.amdhsa_workgroup_processor_mode 1
		.amdhsa_memory_ordered 1
		.amdhsa_forward_progress 1
		.amdhsa_shared_vgpr_count 0
		.amdhsa_exception_fp_ieee_invalid_op 0
		.amdhsa_exception_fp_denorm_src 0
		.amdhsa_exception_fp_ieee_div_zero 0
		.amdhsa_exception_fp_ieee_overflow 0
		.amdhsa_exception_fp_ieee_underflow 0
		.amdhsa_exception_fp_ieee_inexact 0
		.amdhsa_exception_int_div_zero 0
	.end_amdhsa_kernel
	.section	.text._ZN2at6native12_GLOBAL__N_124RowwiseMomentsCUDAKernelIN3c108BFloat16EfLb0EEEvlT0_PKT_PS5_S9_,"axG",@progbits,_ZN2at6native12_GLOBAL__N_124RowwiseMomentsCUDAKernelIN3c108BFloat16EfLb0EEEvlT0_PKT_PS5_S9_,comdat
.Lfunc_end10:
	.size	_ZN2at6native12_GLOBAL__N_124RowwiseMomentsCUDAKernelIN3c108BFloat16EfLb0EEEvlT0_PKT_PS5_S9_, .Lfunc_end10-_ZN2at6native12_GLOBAL__N_124RowwiseMomentsCUDAKernelIN3c108BFloat16EfLb0EEEvlT0_PKT_PS5_S9_
                                        ; -- End function
	.set _ZN2at6native12_GLOBAL__N_124RowwiseMomentsCUDAKernelIN3c108BFloat16EfLb0EEEvlT0_PKT_PS5_S9_.num_vgpr, 18
	.set _ZN2at6native12_GLOBAL__N_124RowwiseMomentsCUDAKernelIN3c108BFloat16EfLb0EEEvlT0_PKT_PS5_S9_.num_agpr, 0
	.set _ZN2at6native12_GLOBAL__N_124RowwiseMomentsCUDAKernelIN3c108BFloat16EfLb0EEEvlT0_PKT_PS5_S9_.numbered_sgpr, 20
	.set _ZN2at6native12_GLOBAL__N_124RowwiseMomentsCUDAKernelIN3c108BFloat16EfLb0EEEvlT0_PKT_PS5_S9_.num_named_barrier, 0
	.set _ZN2at6native12_GLOBAL__N_124RowwiseMomentsCUDAKernelIN3c108BFloat16EfLb0EEEvlT0_PKT_PS5_S9_.private_seg_size, 0
	.set _ZN2at6native12_GLOBAL__N_124RowwiseMomentsCUDAKernelIN3c108BFloat16EfLb0EEEvlT0_PKT_PS5_S9_.uses_vcc, 1
	.set _ZN2at6native12_GLOBAL__N_124RowwiseMomentsCUDAKernelIN3c108BFloat16EfLb0EEEvlT0_PKT_PS5_S9_.uses_flat_scratch, 0
	.set _ZN2at6native12_GLOBAL__N_124RowwiseMomentsCUDAKernelIN3c108BFloat16EfLb0EEEvlT0_PKT_PS5_S9_.has_dyn_sized_stack, 0
	.set _ZN2at6native12_GLOBAL__N_124RowwiseMomentsCUDAKernelIN3c108BFloat16EfLb0EEEvlT0_PKT_PS5_S9_.has_recursion, 0
	.set _ZN2at6native12_GLOBAL__N_124RowwiseMomentsCUDAKernelIN3c108BFloat16EfLb0EEEvlT0_PKT_PS5_S9_.has_indirect_call, 0
	.section	.AMDGPU.csdata,"",@progbits
; Kernel info:
; codeLenInByte = 2940
; TotalNumSgprs: 22
; NumVgprs: 18
; ScratchSize: 0
; MemoryBound: 0
; FloatMode: 240
; IeeeMode: 1
; LDSByteSize: 768 bytes/workgroup (compile time only)
; SGPRBlocks: 0
; VGPRBlocks: 2
; NumSGPRsForWavesPerEU: 22
; NumVGPRsForWavesPerEU: 18
; Occupancy: 16
; WaveLimiterHint : 0
; COMPUTE_PGM_RSRC2:SCRATCH_EN: 0
; COMPUTE_PGM_RSRC2:USER_SGPR: 6
; COMPUTE_PGM_RSRC2:TRAP_HANDLER: 0
; COMPUTE_PGM_RSRC2:TGID_X_EN: 1
; COMPUTE_PGM_RSRC2:TGID_Y_EN: 0
; COMPUTE_PGM_RSRC2:TGID_Z_EN: 0
; COMPUTE_PGM_RSRC2:TIDIG_COMP_CNT: 0
	.section	.text._ZN2at6native12_GLOBAL__N_126LayerNormForwardCUDAKernelIN3c108BFloat16EfLb0EEEvlPKT_PKT0_SA_S7_S7_PS5_,"axG",@progbits,_ZN2at6native12_GLOBAL__N_126LayerNormForwardCUDAKernelIN3c108BFloat16EfLb0EEEvlPKT_PKT0_SA_S7_S7_PS5_,comdat
	.globl	_ZN2at6native12_GLOBAL__N_126LayerNormForwardCUDAKernelIN3c108BFloat16EfLb0EEEvlPKT_PKT0_SA_S7_S7_PS5_ ; -- Begin function _ZN2at6native12_GLOBAL__N_126LayerNormForwardCUDAKernelIN3c108BFloat16EfLb0EEEvlPKT_PKT0_SA_S7_S7_PS5_
	.p2align	8
	.type	_ZN2at6native12_GLOBAL__N_126LayerNormForwardCUDAKernelIN3c108BFloat16EfLb0EEEvlPKT_PKT0_SA_S7_S7_PS5_,@function
_ZN2at6native12_GLOBAL__N_126LayerNormForwardCUDAKernelIN3c108BFloat16EfLb0EEEvlPKT_PKT0_SA_S7_S7_PS5_: ; @_ZN2at6native12_GLOBAL__N_126LayerNormForwardCUDAKernelIN3c108BFloat16EfLb0EEEvlPKT_PKT0_SA_S7_S7_PS5_
; %bb.0:
	s_load_dwordx8 s[8:15], s[4:5], 0x0
	v_mov_b32_e32 v1, 0
	s_mov_b32 s0, exec_lo
	s_waitcnt lgkmcnt(0)
	v_cmpx_gt_i64_e64 s[8:9], v[0:1]
	s_cbranch_execz .LBB11_8
; %bb.1:
	s_load_dwordx8 s[16:23], s[4:5], 0x20
	s_mov_b32 s7, 0
	s_load_dword s0, s[4:5], 0x44
	v_lshlrev_b32_e32 v2, 1, v0
	v_mov_b32_e32 v3, v1
	s_waitcnt lgkmcnt(0)
	s_cmp_lg_u64 s[16:17], 0
	s_cselect_b32 s1, -1, 0
	s_cmp_lg_u64 s[18:19], 0
	s_cselect_b32 s2, -1, 0
	s_lshl_b64 s[4:5], s[6:7], 2
	s_add_u32 s12, s12, s4
	s_addc_u32 s13, s13, s5
	s_add_u32 s4, s14, s4
	s_addc_u32 s5, s15, s5
	s_load_dword s3, s[12:13], 0x0
	s_load_dword s4, s[4:5], 0x0
	s_mul_i32 s5, s9, s6
	s_mul_hi_u32 s12, s8, s6
	s_add_i32 s13, s12, s5
	s_mul_i32 s12, s8, s6
	s_and_b32 s5, s0, 0xffff
	s_lshl_b64 s[12:13], s[12:13], 1
	s_add_u32 s6, s10, s12
	s_addc_u32 s10, s11, s13
	s_lshl_b32 s11, s5, 1
	s_add_u32 s12, s20, s12
	s_addc_u32 s13, s21, s13
	s_branch .LBB11_4
.LBB11_2:                               ;   in Loop: Header=BB11_4 Depth=1
	v_add_co_u32 v6, vcc_lo, s18, v2
	v_add_co_ci_u32_e64 v7, null, s19, v3, vcc_lo
	global_load_ushort v4, v[6:7], off
	s_waitcnt vmcnt(0)
	v_lshlrev_b32_e32 v4, 16, v4
.LBB11_3:                               ;   in Loop: Header=BB11_4 Depth=1
	v_add_co_u32 v6, vcc_lo, s6, v2
	v_add_co_ci_u32_e64 v7, null, s10, v3, vcc_lo
	v_add_co_u32 v0, vcc_lo, v0, s5
	v_add_co_ci_u32_e64 v1, null, 0, v1, vcc_lo
	global_load_ushort v6, v[6:7], off
	s_waitcnt vmcnt(0)
	v_lshlrev_b32_e32 v6, 16, v6
	s_waitcnt lgkmcnt(0)
	v_subrev_f32_e32 v6, s3, v6
	v_mul_f32_e32 v6, s4, v6
	v_fmac_f32_e32 v4, v5, v6
	v_bfe_u32 v5, v4, 16, 1
	v_cmp_o_f32_e64 s0, v4, v4
	v_add3_u32 v5, v4, v5, 0x7fff
	v_lshrrev_b32_e32 v7, 16, v5
	v_add_co_u32 v5, vcc_lo, s12, v2
	v_add_co_ci_u32_e64 v6, null, s13, v3, vcc_lo
	v_cmp_le_i64_e32 vcc_lo, s[8:9], v[0:1]
	v_cndmask_b32_e64 v4, 0x7fc0, v7, s0
	v_add_co_u32 v2, s0, v2, s11
	v_add_co_ci_u32_e64 v3, null, 0, v3, s0
	s_or_b32 s7, vcc_lo, s7
	global_store_short v[5:6], v4, off
	s_andn2_b32 exec_lo, exec_lo, s7
	s_cbranch_execz .LBB11_8
.LBB11_4:                               ; =>This Inner Loop Header: Depth=1
	s_andn2_b32 vcc_lo, exec_lo, s1
	s_cbranch_vccnz .LBB11_6
; %bb.5:                                ;   in Loop: Header=BB11_4 Depth=1
	v_add_co_u32 v4, vcc_lo, s16, v2
	v_add_co_ci_u32_e64 v5, null, s17, v3, vcc_lo
	global_load_ushort v4, v[4:5], off
	s_waitcnt vmcnt(0)
	v_lshlrev_b32_e32 v5, 16, v4
	s_andn2_b32 vcc_lo, exec_lo, s2
	s_cbranch_vccz .LBB11_2
	s_branch .LBB11_7
.LBB11_6:                               ;   in Loop: Header=BB11_4 Depth=1
	v_mov_b32_e32 v5, 1.0
	s_andn2_b32 vcc_lo, exec_lo, s2
	s_cbranch_vccz .LBB11_2
.LBB11_7:                               ;   in Loop: Header=BB11_4 Depth=1
	v_mov_b32_e32 v4, 0
	s_branch .LBB11_3
.LBB11_8:
	s_endpgm
	.section	.rodata,"a",@progbits
	.p2align	6, 0x0
	.amdhsa_kernel _ZN2at6native12_GLOBAL__N_126LayerNormForwardCUDAKernelIN3c108BFloat16EfLb0EEEvlPKT_PKT0_SA_S7_S7_PS5_
		.amdhsa_group_segment_fixed_size 0
		.amdhsa_private_segment_fixed_size 0
		.amdhsa_kernarg_size 312
		.amdhsa_user_sgpr_count 6
		.amdhsa_user_sgpr_private_segment_buffer 1
		.amdhsa_user_sgpr_dispatch_ptr 0
		.amdhsa_user_sgpr_queue_ptr 0
		.amdhsa_user_sgpr_kernarg_segment_ptr 1
		.amdhsa_user_sgpr_dispatch_id 0
		.amdhsa_user_sgpr_flat_scratch_init 0
		.amdhsa_user_sgpr_private_segment_size 0
		.amdhsa_wavefront_size32 1
		.amdhsa_uses_dynamic_stack 0
		.amdhsa_system_sgpr_private_segment_wavefront_offset 0
		.amdhsa_system_sgpr_workgroup_id_x 1
		.amdhsa_system_sgpr_workgroup_id_y 0
		.amdhsa_system_sgpr_workgroup_id_z 0
		.amdhsa_system_sgpr_workgroup_info 0
		.amdhsa_system_vgpr_workitem_id 0
		.amdhsa_next_free_vgpr 8
		.amdhsa_next_free_sgpr 24
		.amdhsa_reserve_vcc 1
		.amdhsa_reserve_flat_scratch 0
		.amdhsa_float_round_mode_32 0
		.amdhsa_float_round_mode_16_64 0
		.amdhsa_float_denorm_mode_32 3
		.amdhsa_float_denorm_mode_16_64 3
		.amdhsa_dx10_clamp 1
		.amdhsa_ieee_mode 1
		.amdhsa_fp16_overflow 0
		.amdhsa_workgroup_processor_mode 1
		.amdhsa_memory_ordered 1
		.amdhsa_forward_progress 1
		.amdhsa_shared_vgpr_count 0
		.amdhsa_exception_fp_ieee_invalid_op 0
		.amdhsa_exception_fp_denorm_src 0
		.amdhsa_exception_fp_ieee_div_zero 0
		.amdhsa_exception_fp_ieee_overflow 0
		.amdhsa_exception_fp_ieee_underflow 0
		.amdhsa_exception_fp_ieee_inexact 0
		.amdhsa_exception_int_div_zero 0
	.end_amdhsa_kernel
	.section	.text._ZN2at6native12_GLOBAL__N_126LayerNormForwardCUDAKernelIN3c108BFloat16EfLb0EEEvlPKT_PKT0_SA_S7_S7_PS5_,"axG",@progbits,_ZN2at6native12_GLOBAL__N_126LayerNormForwardCUDAKernelIN3c108BFloat16EfLb0EEEvlPKT_PKT0_SA_S7_S7_PS5_,comdat
.Lfunc_end11:
	.size	_ZN2at6native12_GLOBAL__N_126LayerNormForwardCUDAKernelIN3c108BFloat16EfLb0EEEvlPKT_PKT0_SA_S7_S7_PS5_, .Lfunc_end11-_ZN2at6native12_GLOBAL__N_126LayerNormForwardCUDAKernelIN3c108BFloat16EfLb0EEEvlPKT_PKT0_SA_S7_S7_PS5_
                                        ; -- End function
	.set _ZN2at6native12_GLOBAL__N_126LayerNormForwardCUDAKernelIN3c108BFloat16EfLb0EEEvlPKT_PKT0_SA_S7_S7_PS5_.num_vgpr, 8
	.set _ZN2at6native12_GLOBAL__N_126LayerNormForwardCUDAKernelIN3c108BFloat16EfLb0EEEvlPKT_PKT0_SA_S7_S7_PS5_.num_agpr, 0
	.set _ZN2at6native12_GLOBAL__N_126LayerNormForwardCUDAKernelIN3c108BFloat16EfLb0EEEvlPKT_PKT0_SA_S7_S7_PS5_.numbered_sgpr, 24
	.set _ZN2at6native12_GLOBAL__N_126LayerNormForwardCUDAKernelIN3c108BFloat16EfLb0EEEvlPKT_PKT0_SA_S7_S7_PS5_.num_named_barrier, 0
	.set _ZN2at6native12_GLOBAL__N_126LayerNormForwardCUDAKernelIN3c108BFloat16EfLb0EEEvlPKT_PKT0_SA_S7_S7_PS5_.private_seg_size, 0
	.set _ZN2at6native12_GLOBAL__N_126LayerNormForwardCUDAKernelIN3c108BFloat16EfLb0EEEvlPKT_PKT0_SA_S7_S7_PS5_.uses_vcc, 1
	.set _ZN2at6native12_GLOBAL__N_126LayerNormForwardCUDAKernelIN3c108BFloat16EfLb0EEEvlPKT_PKT0_SA_S7_S7_PS5_.uses_flat_scratch, 0
	.set _ZN2at6native12_GLOBAL__N_126LayerNormForwardCUDAKernelIN3c108BFloat16EfLb0EEEvlPKT_PKT0_SA_S7_S7_PS5_.has_dyn_sized_stack, 0
	.set _ZN2at6native12_GLOBAL__N_126LayerNormForwardCUDAKernelIN3c108BFloat16EfLb0EEEvlPKT_PKT0_SA_S7_S7_PS5_.has_recursion, 0
	.set _ZN2at6native12_GLOBAL__N_126LayerNormForwardCUDAKernelIN3c108BFloat16EfLb0EEEvlPKT_PKT0_SA_S7_S7_PS5_.has_indirect_call, 0
	.section	.AMDGPU.csdata,"",@progbits
; Kernel info:
; codeLenInByte = 440
; TotalNumSgprs: 26
; NumVgprs: 8
; ScratchSize: 0
; MemoryBound: 0
; FloatMode: 240
; IeeeMode: 1
; LDSByteSize: 0 bytes/workgroup (compile time only)
; SGPRBlocks: 0
; VGPRBlocks: 0
; NumSGPRsForWavesPerEU: 26
; NumVGPRsForWavesPerEU: 8
; Occupancy: 16
; WaveLimiterHint : 0
; COMPUTE_PGM_RSRC2:SCRATCH_EN: 0
; COMPUTE_PGM_RSRC2:USER_SGPR: 6
; COMPUTE_PGM_RSRC2:TRAP_HANDLER: 0
; COMPUTE_PGM_RSRC2:TGID_X_EN: 1
; COMPUTE_PGM_RSRC2:TGID_Y_EN: 0
; COMPUTE_PGM_RSRC2:TGID_Z_EN: 0
; COMPUTE_PGM_RSRC2:TIDIG_COMP_CNT: 0
	.section	.text.unlikely._ZN2at6native12_GLOBAL__N_128vectorized_layer_norm_kernelIddLb1EEEviT0_PKT_S6_S6_PS3_S7_PS4_,"axG",@progbits,_ZN2at6native12_GLOBAL__N_128vectorized_layer_norm_kernelIddLb1EEEviT0_PKT_S6_S6_PS3_S7_PS4_,comdat
	.globl	_ZN2at6native12_GLOBAL__N_128vectorized_layer_norm_kernelIddLb1EEEviT0_PKT_S6_S6_PS3_S7_PS4_ ; -- Begin function _ZN2at6native12_GLOBAL__N_128vectorized_layer_norm_kernelIddLb1EEEviT0_PKT_S6_S6_PS3_S7_PS4_
	.p2align	8
	.type	_ZN2at6native12_GLOBAL__N_128vectorized_layer_norm_kernelIddLb1EEEviT0_PKT_S6_S6_PS3_S7_PS4_,@function
_ZN2at6native12_GLOBAL__N_128vectorized_layer_norm_kernelIddLb1EEEviT0_PKT_S6_S6_PS3_S7_PS4_: ; @_ZN2at6native12_GLOBAL__N_128vectorized_layer_norm_kernelIddLb1EEEviT0_PKT_S6_S6_PS3_S7_PS4_
; %bb.0:
	s_trap 2
	.section	.rodata,"a",@progbits
	.p2align	6, 0x0
	.amdhsa_kernel _ZN2at6native12_GLOBAL__N_128vectorized_layer_norm_kernelIddLb1EEEviT0_PKT_S6_S6_PS3_S7_PS4_
		.amdhsa_group_segment_fixed_size 0
		.amdhsa_private_segment_fixed_size 0
		.amdhsa_kernarg_size 64
		.amdhsa_user_sgpr_count 6
		.amdhsa_user_sgpr_private_segment_buffer 1
		.amdhsa_user_sgpr_dispatch_ptr 0
		.amdhsa_user_sgpr_queue_ptr 0
		.amdhsa_user_sgpr_kernarg_segment_ptr 1
		.amdhsa_user_sgpr_dispatch_id 0
		.amdhsa_user_sgpr_flat_scratch_init 0
		.amdhsa_user_sgpr_private_segment_size 0
		.amdhsa_wavefront_size32 1
		.amdhsa_uses_dynamic_stack 0
		.amdhsa_system_sgpr_private_segment_wavefront_offset 0
		.amdhsa_system_sgpr_workgroup_id_x 1
		.amdhsa_system_sgpr_workgroup_id_y 0
		.amdhsa_system_sgpr_workgroup_id_z 0
		.amdhsa_system_sgpr_workgroup_info 0
		.amdhsa_system_vgpr_workitem_id 0
		.amdhsa_next_free_vgpr 1
		.amdhsa_next_free_sgpr 1
		.amdhsa_reserve_vcc 0
		.amdhsa_reserve_flat_scratch 0
		.amdhsa_float_round_mode_32 0
		.amdhsa_float_round_mode_16_64 0
		.amdhsa_float_denorm_mode_32 3
		.amdhsa_float_denorm_mode_16_64 3
		.amdhsa_dx10_clamp 1
		.amdhsa_ieee_mode 1
		.amdhsa_fp16_overflow 0
		.amdhsa_workgroup_processor_mode 1
		.amdhsa_memory_ordered 1
		.amdhsa_forward_progress 1
		.amdhsa_shared_vgpr_count 0
		.amdhsa_exception_fp_ieee_invalid_op 0
		.amdhsa_exception_fp_denorm_src 0
		.amdhsa_exception_fp_ieee_div_zero 0
		.amdhsa_exception_fp_ieee_overflow 0
		.amdhsa_exception_fp_ieee_underflow 0
		.amdhsa_exception_fp_ieee_inexact 0
		.amdhsa_exception_int_div_zero 0
	.end_amdhsa_kernel
	.section	.text.unlikely._ZN2at6native12_GLOBAL__N_128vectorized_layer_norm_kernelIddLb1EEEviT0_PKT_S6_S6_PS3_S7_PS4_,"axG",@progbits,_ZN2at6native12_GLOBAL__N_128vectorized_layer_norm_kernelIddLb1EEEviT0_PKT_S6_S6_PS3_S7_PS4_,comdat
.Lfunc_end12:
	.size	_ZN2at6native12_GLOBAL__N_128vectorized_layer_norm_kernelIddLb1EEEviT0_PKT_S6_S6_PS3_S7_PS4_, .Lfunc_end12-_ZN2at6native12_GLOBAL__N_128vectorized_layer_norm_kernelIddLb1EEEviT0_PKT_S6_S6_PS3_S7_PS4_
                                        ; -- End function
	.set _ZN2at6native12_GLOBAL__N_128vectorized_layer_norm_kernelIddLb1EEEviT0_PKT_S6_S6_PS3_S7_PS4_.num_vgpr, 0
	.set _ZN2at6native12_GLOBAL__N_128vectorized_layer_norm_kernelIddLb1EEEviT0_PKT_S6_S6_PS3_S7_PS4_.num_agpr, 0
	.set _ZN2at6native12_GLOBAL__N_128vectorized_layer_norm_kernelIddLb1EEEviT0_PKT_S6_S6_PS3_S7_PS4_.numbered_sgpr, 0
	.set _ZN2at6native12_GLOBAL__N_128vectorized_layer_norm_kernelIddLb1EEEviT0_PKT_S6_S6_PS3_S7_PS4_.num_named_barrier, 0
	.set _ZN2at6native12_GLOBAL__N_128vectorized_layer_norm_kernelIddLb1EEEviT0_PKT_S6_S6_PS3_S7_PS4_.private_seg_size, 0
	.set _ZN2at6native12_GLOBAL__N_128vectorized_layer_norm_kernelIddLb1EEEviT0_PKT_S6_S6_PS3_S7_PS4_.uses_vcc, 0
	.set _ZN2at6native12_GLOBAL__N_128vectorized_layer_norm_kernelIddLb1EEEviT0_PKT_S6_S6_PS3_S7_PS4_.uses_flat_scratch, 0
	.set _ZN2at6native12_GLOBAL__N_128vectorized_layer_norm_kernelIddLb1EEEviT0_PKT_S6_S6_PS3_S7_PS4_.has_dyn_sized_stack, 0
	.set _ZN2at6native12_GLOBAL__N_128vectorized_layer_norm_kernelIddLb1EEEviT0_PKT_S6_S6_PS3_S7_PS4_.has_recursion, 0
	.set _ZN2at6native12_GLOBAL__N_128vectorized_layer_norm_kernelIddLb1EEEviT0_PKT_S6_S6_PS3_S7_PS4_.has_indirect_call, 0
	.section	.AMDGPU.csdata,"",@progbits
; Kernel info:
; codeLenInByte = 4
; TotalNumSgprs: 0
; NumVgprs: 0
; ScratchSize: 0
; MemoryBound: 0
; FloatMode: 240
; IeeeMode: 1
; LDSByteSize: 0 bytes/workgroup (compile time only)
; SGPRBlocks: 0
; VGPRBlocks: 0
; NumSGPRsForWavesPerEU: 1
; NumVGPRsForWavesPerEU: 1
; Occupancy: 16
; WaveLimiterHint : 0
; COMPUTE_PGM_RSRC2:SCRATCH_EN: 0
; COMPUTE_PGM_RSRC2:USER_SGPR: 6
; COMPUTE_PGM_RSRC2:TRAP_HANDLER: 0
; COMPUTE_PGM_RSRC2:TGID_X_EN: 1
; COMPUTE_PGM_RSRC2:TGID_Y_EN: 0
; COMPUTE_PGM_RSRC2:TGID_Z_EN: 0
; COMPUTE_PGM_RSRC2:TIDIG_COMP_CNT: 0
	.section	.text._ZN2at6native12_GLOBAL__N_124RowwiseMomentsCUDAKernelIddLb1EEEvlT0_PKT_PS3_S7_,"axG",@progbits,_ZN2at6native12_GLOBAL__N_124RowwiseMomentsCUDAKernelIddLb1EEEvlT0_PKT_PS3_S7_,comdat
	.globl	_ZN2at6native12_GLOBAL__N_124RowwiseMomentsCUDAKernelIddLb1EEEvlT0_PKT_PS3_S7_ ; -- Begin function _ZN2at6native12_GLOBAL__N_124RowwiseMomentsCUDAKernelIddLb1EEEvlT0_PKT_PS3_S7_
	.p2align	8
	.type	_ZN2at6native12_GLOBAL__N_124RowwiseMomentsCUDAKernelIddLb1EEEvlT0_PKT_PS3_S7_,@function
_ZN2at6native12_GLOBAL__N_124RowwiseMomentsCUDAKernelIddLb1EEEvlT0_PKT_PS3_S7_: ; @_ZN2at6native12_GLOBAL__N_124RowwiseMomentsCUDAKernelIddLb1EEEvlT0_PKT_PS3_S7_
; %bb.0:
	s_clause 0x1
	s_load_dwordx4 s[8:11], s[4:5], 0x0
	s_load_dwordx2 s[0:1], s[4:5], 0x10
	v_mov_b32_e32 v14, 0
	v_mov_b32_e32 v6, 0
	;; [unrolled: 1-line block ×9, first 2 shown]
	s_mov_b32 s7, 0
	s_mov_b32 s12, exec_lo
	s_waitcnt lgkmcnt(0)
	v_cmpx_gt_i64_e64 s[8:9], v[0:1]
	s_cbranch_execz .LBB13_4
; %bb.1:
	s_load_dword s13, s[4:5], 0x34
	s_mul_i32 s3, s9, s6
	s_mul_hi_u32 s14, s8, s6
	s_mul_i32 s2, s8, s6
	s_add_i32 s3, s14, s3
	v_lshlrev_b32_e32 v6, 3, v0
	s_lshl_b64 s[2:3], s[2:3], 3
	v_mov_b32_e32 v2, 0
	v_mov_b32_e32 v4, 0
	;; [unrolled: 1-line block ×6, first 2 shown]
	s_mov_b32 s14, s7
	s_waitcnt lgkmcnt(0)
	s_and_b32 s13, s13, 0xffff
	s_add_u32 s0, s0, s2
	s_addc_u32 s1, s1, s3
	v_add_co_u32 v8, s0, s0, v6
	v_add_co_ci_u32_e64 v9, null, s1, 0, s0
	s_lshl_b32 s1, s13, 3
	s_mov_b64 s[2:3], 0
.LBB13_2:                               ; =>This Inner Loop Header: Depth=1
	global_load_dwordx2 v[12:13], v[8:9], off
	s_add_u32 s2, s2, 1
	s_addc_u32 s3, s3, 0
	v_cvt_f64_u32_e32 v[14:15], s2
	v_cvt_f64_u32_e32 v[6:7], s3
	v_add_co_u32 v8, s0, v8, s1
	v_add_co_ci_u32_e64 v9, null, 0, v9, s0
	v_ldexp_f64 v[6:7], v[6:7], 32
	v_add_f64 v[6:7], v[6:7], v[14:15]
	s_waitcnt vmcnt(0)
	v_add_f64 v[14:15], v[12:13], -v[4:5]
	v_div_scale_f64 v[16:17], null, v[6:7], v[6:7], v[14:15]
	v_div_scale_f64 v[22:23], vcc_lo, v[14:15], v[6:7], v[14:15]
	v_rcp_f64_e32 v[18:19], v[16:17]
	v_fma_f64 v[20:21], -v[16:17], v[18:19], 1.0
	v_fma_f64 v[18:19], v[18:19], v[20:21], v[18:19]
	v_fma_f64 v[20:21], -v[16:17], v[18:19], 1.0
	v_fma_f64 v[18:19], v[18:19], v[20:21], v[18:19]
	v_mul_f64 v[20:21], v[22:23], v[18:19]
	v_fma_f64 v[16:17], -v[16:17], v[20:21], v[22:23]
	v_div_fmas_f64 v[16:17], v[16:17], v[18:19], v[20:21]
	v_add_co_u32 v10, vcc_lo, v10, s13
	v_add_co_ci_u32_e64 v11, null, 0, v11, vcc_lo
	v_cmp_le_i64_e32 vcc_lo, s[8:9], v[10:11]
	s_or_b32 s14, vcc_lo, s14
	v_div_fixup_f64 v[16:17], v[16:17], v[6:7], v[14:15]
	v_add_f64 v[4:5], v[4:5], v[16:17]
	v_add_f64 v[12:13], v[12:13], -v[4:5]
	v_fma_f64 v[2:3], v[14:15], v[12:13], v[2:3]
	v_mov_b32_e32 v15, s3
	v_mov_b32_e32 v14, s2
	s_andn2_b32 exec_lo, exec_lo, s14
	s_cbranch_execnz .LBB13_2
; %bb.3:
	s_or_b32 exec_lo, exec_lo, s14
.LBB13_4:
	s_or_b32 exec_lo, exec_lo, s12
	v_mbcnt_lo_u32_b32 v23, -1, 0
	s_mov_b32 s0, exec_lo
	v_lshl_or_b32 v20, v23, 2, 64
	ds_bpermute_b32 v10, v20, v4
	ds_bpermute_b32 v11, v20, v5
	;; [unrolled: 1-line block ×8, first 2 shown]
	v_cmpx_neq_f64_e32 0, v[6:7]
	s_cbranch_execz .LBB13_8
; %bb.5:
	s_mov_b32 s1, exec_lo
	s_waitcnt lgkmcnt(0)
	v_cmpx_neq_f64_e32 0, v[12:13]
	s_cbranch_execz .LBB13_7
; %bb.6:
	v_add_f64 v[16:17], v[6:7], v[12:13]
	v_add_f64 v[10:11], v[10:11], -v[4:5]
	v_add_f64 v[1:2], v[2:3], v[8:9]
	v_div_scale_f64 v[14:15], null, v[16:17], v[16:17], v[12:13]
	v_div_scale_f64 v[24:25], vcc_lo, v[12:13], v[16:17], v[12:13]
	v_rcp_f64_e32 v[18:19], v[14:15]
	v_fma_f64 v[21:22], -v[14:15], v[18:19], 1.0
	v_fma_f64 v[18:19], v[18:19], v[21:22], v[18:19]
	v_fma_f64 v[21:22], -v[14:15], v[18:19], 1.0
	v_fma_f64 v[18:19], v[18:19], v[21:22], v[18:19]
	v_mul_f64 v[21:22], v[24:25], v[18:19]
	v_fma_f64 v[14:15], -v[14:15], v[21:22], v[24:25]
	v_div_fmas_f64 v[14:15], v[14:15], v[18:19], v[21:22]
	v_mul_f64 v[18:19], v[10:11], v[10:11]
	v_div_fixup_f64 v[8:9], v[14:15], v[16:17], v[12:13]
	v_mul_f64 v[6:7], v[6:7], v[18:19]
	v_mov_b32_e32 v14, -1
	v_mov_b32_e32 v15, -1
	v_fma_f64 v[4:5], v[10:11], v[8:9], v[4:5]
	v_fma_f64 v[2:3], v[6:7], v[8:9], v[1:2]
	v_mov_b32_e32 v6, v16
	v_mov_b32_e32 v7, v17
.LBB13_7:
	s_or_b32 exec_lo, exec_lo, s1
	v_mov_b32_e32 v13, v7
	v_mov_b32_e32 v17, v15
	;; [unrolled: 1-line block ×8, first 2 shown]
.LBB13_8:
	s_or_b32 exec_lo, exec_lo, s0
	v_cmp_gt_u32_e32 vcc_lo, 24, v23
	s_mov_b32 s0, exec_lo
	v_cndmask_b32_e64 v1, 0, 8, vcc_lo
	v_add_lshl_u32 v21, v1, v23, 2
	s_waitcnt lgkmcnt(7)
	ds_bpermute_b32 v5, v21, v10
	s_waitcnt lgkmcnt(7)
	ds_bpermute_b32 v6, v21, v11
	;; [unrolled: 2-line block ×8, first 2 shown]
	v_cmpx_neq_f64_e32 0, v[12:13]
	s_cbranch_execz .LBB13_12
; %bb.9:
	s_mov_b32 s1, exec_lo
	s_waitcnt lgkmcnt(0)
	v_cmpx_neq_f64_e32 0, v[14:15]
	s_cbranch_execz .LBB13_11
; %bb.10:
	v_add_f64 v[3:4], v[12:13], v[14:15]
	v_add_f64 v[5:6], v[5:6], -v[10:11]
	v_add_f64 v[1:2], v[8:9], v[1:2]
	v_div_scale_f64 v[16:17], null, v[3:4], v[3:4], v[14:15]
	v_div_scale_f64 v[26:27], vcc_lo, v[14:15], v[3:4], v[14:15]
	v_rcp_f64_e32 v[18:19], v[16:17]
	v_fma_f64 v[24:25], -v[16:17], v[18:19], 1.0
	v_fma_f64 v[18:19], v[18:19], v[24:25], v[18:19]
	v_fma_f64 v[24:25], -v[16:17], v[18:19], 1.0
	v_fma_f64 v[18:19], v[18:19], v[24:25], v[18:19]
	v_mul_f64 v[24:25], v[26:27], v[18:19]
	v_fma_f64 v[16:17], -v[16:17], v[24:25], v[26:27]
	v_div_fmas_f64 v[16:17], v[16:17], v[18:19], v[24:25]
	v_mul_f64 v[18:19], v[5:6], v[5:6]
	v_div_fixup_f64 v[7:8], v[16:17], v[3:4], v[14:15]
	v_mul_f64 v[12:13], v[12:13], v[18:19]
	v_mov_b32_e32 v16, -1
	v_mov_b32_e32 v17, -1
	v_fma_f64 v[10:11], v[5:6], v[7:8], v[10:11]
	v_fma_f64 v[8:9], v[12:13], v[7:8], v[1:2]
	v_mov_b32_e32 v13, v4
	v_mov_b32_e32 v12, v3
.LBB13_11:
	s_or_b32 exec_lo, exec_lo, s1
	v_mov_b32_e32 v15, v13
	v_mov_b32_e32 v19, v17
	;; [unrolled: 1-line block ×8, first 2 shown]
.LBB13_12:
	s_or_b32 exec_lo, exec_lo, s0
	v_cmp_gt_u32_e32 vcc_lo, 28, v23
	s_mov_b32 s0, exec_lo
	v_cndmask_b32_e64 v3, 0, 4, vcc_lo
	v_add_lshl_u32 v22, v3, v23, 2
	s_waitcnt lgkmcnt(7)
	ds_bpermute_b32 v7, v22, v5
	s_waitcnt lgkmcnt(7)
	ds_bpermute_b32 v8, v22, v6
	s_waitcnt lgkmcnt(7)
	ds_bpermute_b32 v3, v22, v1
	s_waitcnt lgkmcnt(7)
	ds_bpermute_b32 v4, v22, v2
	s_waitcnt lgkmcnt(7)
	ds_bpermute_b32 v16, v22, v18
	s_waitcnt lgkmcnt(7)
	ds_bpermute_b32 v17, v22, v19
	s_waitcnt lgkmcnt(7)
	ds_bpermute_b32 v9, v22, v14
	s_waitcnt lgkmcnt(7)
	ds_bpermute_b32 v10, v22, v15
	v_cmpx_neq_f64_e32 0, v[14:15]
	s_cbranch_execz .LBB13_16
; %bb.13:
	s_mov_b32 s1, exec_lo
	s_waitcnt lgkmcnt(0)
	v_cmpx_neq_f64_e32 0, v[9:10]
	s_cbranch_execz .LBB13_15
; %bb.14:
	v_add_f64 v[11:12], v[14:15], v[9:10]
	v_add_f64 v[7:8], v[7:8], -v[5:6]
	v_add_f64 v[1:2], v[1:2], v[3:4]
	v_div_scale_f64 v[16:17], null, v[11:12], v[11:12], v[9:10]
	v_div_scale_f64 v[26:27], vcc_lo, v[9:10], v[11:12], v[9:10]
	v_rcp_f64_e32 v[18:19], v[16:17]
	v_fma_f64 v[24:25], -v[16:17], v[18:19], 1.0
	v_fma_f64 v[18:19], v[18:19], v[24:25], v[18:19]
	v_fma_f64 v[24:25], -v[16:17], v[18:19], 1.0
	v_fma_f64 v[18:19], v[18:19], v[24:25], v[18:19]
	v_mul_f64 v[24:25], v[26:27], v[18:19]
	v_fma_f64 v[16:17], -v[16:17], v[24:25], v[26:27]
	v_div_fmas_f64 v[16:17], v[16:17], v[18:19], v[24:25]
	v_mul_f64 v[18:19], v[7:8], v[7:8]
	v_div_fixup_f64 v[3:4], v[16:17], v[11:12], v[9:10]
	v_mul_f64 v[9:10], v[14:15], v[18:19]
	v_mov_b32_e32 v18, -1
	v_mov_b32_e32 v15, v12
	v_mov_b32_e32 v19, -1
	v_mov_b32_e32 v14, v11
	v_fma_f64 v[5:6], v[7:8], v[3:4], v[5:6]
	v_fma_f64 v[1:2], v[9:10], v[3:4], v[1:2]
.LBB13_15:
	s_or_b32 exec_lo, exec_lo, s1
	v_mov_b32_e32 v9, v14
	v_mov_b32_e32 v16, v18
	;; [unrolled: 1-line block ×8, first 2 shown]
.LBB13_16:
	s_or_b32 exec_lo, exec_lo, s0
	v_cmp_gt_u32_e32 vcc_lo, 30, v23
	s_mov_b32 s0, exec_lo
	v_cndmask_b32_e64 v1, 0, 2, vcc_lo
	v_add_lshl_u32 v18, v1, v23, 2
	s_waitcnt lgkmcnt(7)
	ds_bpermute_b32 v5, v18, v7
	s_waitcnt lgkmcnt(7)
	ds_bpermute_b32 v6, v18, v8
	;; [unrolled: 2-line block ×8, first 2 shown]
	v_cmpx_neq_f64_e32 0, v[9:10]
	s_cbranch_execz .LBB13_20
; %bb.17:
	s_mov_b32 s1, exec_lo
	s_waitcnt lgkmcnt(0)
	v_cmpx_neq_f64_e32 0, v[11:12]
	s_cbranch_execz .LBB13_19
; %bb.18:
	v_add_f64 v[13:14], v[9:10], v[11:12]
	v_add_f64 v[5:6], v[5:6], -v[7:8]
	v_add_f64 v[1:2], v[3:4], v[1:2]
	v_div_scale_f64 v[15:16], null, v[13:14], v[13:14], v[11:12]
	v_div_scale_f64 v[28:29], vcc_lo, v[11:12], v[13:14], v[11:12]
	v_rcp_f64_e32 v[24:25], v[15:16]
	v_fma_f64 v[26:27], -v[15:16], v[24:25], 1.0
	v_fma_f64 v[24:25], v[24:25], v[26:27], v[24:25]
	v_fma_f64 v[26:27], -v[15:16], v[24:25], 1.0
	v_fma_f64 v[24:25], v[24:25], v[26:27], v[24:25]
	v_mul_f64 v[26:27], v[28:29], v[24:25]
	v_fma_f64 v[15:16], -v[15:16], v[26:27], v[28:29]
	v_div_fmas_f64 v[15:16], v[15:16], v[24:25], v[26:27]
	v_mul_f64 v[24:25], v[5:6], v[5:6]
	v_div_fixup_f64 v[3:4], v[15:16], v[13:14], v[11:12]
	v_mul_f64 v[9:10], v[9:10], v[24:25]
	v_mov_b32_e32 v16, -1
	v_mov_b32_e32 v17, -1
	v_fma_f64 v[7:8], v[5:6], v[3:4], v[7:8]
	v_fma_f64 v[3:4], v[9:10], v[3:4], v[1:2]
	v_mov_b32_e32 v9, v13
	v_mov_b32_e32 v10, v14
.LBB13_19:
	s_or_b32 exec_lo, exec_lo, s1
	v_mov_b32_e32 v12, v10
	v_mov_b32_e32 v13, v16
	v_mov_b32_e32 v1, v3
	v_mov_b32_e32 v5, v7
	v_mov_b32_e32 v11, v9
	v_mov_b32_e32 v14, v17
	v_mov_b32_e32 v2, v4
	v_mov_b32_e32 v6, v8
.LBB13_20:
	s_or_b32 exec_lo, exec_lo, s0
	v_cmp_ne_u32_e32 vcc_lo, 31, v23
	s_mov_b32 s0, exec_lo
	v_add_co_ci_u32_e64 v3, null, 0, v23, vcc_lo
	v_lshlrev_b32_e32 v17, 2, v3
	s_waitcnt lgkmcnt(7)
	ds_bpermute_b32 v9, v17, v5
	s_waitcnt lgkmcnt(7)
	ds_bpermute_b32 v10, v17, v6
	;; [unrolled: 2-line block ×8, first 2 shown]
	v_cmpx_neq_f64_e32 0, v[11:12]
	s_cbranch_execz .LBB13_24
; %bb.21:
	s_mov_b32 s1, exec_lo
	s_waitcnt lgkmcnt(0)
	v_cmpx_neq_f64_e32 0, v[3:4]
	s_cbranch_execz .LBB13_23
; %bb.22:
	v_add_f64 v[15:16], v[11:12], v[3:4]
	v_add_f64 v[9:10], v[9:10], -v[5:6]
	v_add_f64 v[1:2], v[1:2], v[7:8]
	v_div_scale_f64 v[13:14], null, v[15:16], v[15:16], v[3:4]
	v_div_scale_f64 v[27:28], vcc_lo, v[3:4], v[15:16], v[3:4]
	v_rcp_f64_e32 v[23:24], v[13:14]
	v_fma_f64 v[25:26], -v[13:14], v[23:24], 1.0
	v_fma_f64 v[23:24], v[23:24], v[25:26], v[23:24]
	v_fma_f64 v[25:26], -v[13:14], v[23:24], 1.0
	v_fma_f64 v[23:24], v[23:24], v[25:26], v[23:24]
	v_mul_f64 v[25:26], v[27:28], v[23:24]
	v_fma_f64 v[13:14], -v[13:14], v[25:26], v[27:28]
	v_div_fmas_f64 v[13:14], v[13:14], v[23:24], v[25:26]
	v_mul_f64 v[23:24], v[9:10], v[9:10]
	v_div_fixup_f64 v[3:4], v[13:14], v[15:16], v[3:4]
	v_mul_f64 v[7:8], v[11:12], v[23:24]
	v_mov_b32_e32 v13, -1
	v_mov_b32_e32 v11, v15
	v_mov_b32_e32 v14, -1
	v_mov_b32_e32 v12, v16
	v_fma_f64 v[5:6], v[9:10], v[3:4], v[5:6]
	v_fma_f64 v[1:2], v[7:8], v[3:4], v[1:2]
.LBB13_23:
	s_or_b32 exec_lo, exec_lo, s1
	v_mov_b32_e32 v3, v11
	v_mov_b32_e32 v16, v14
	;; [unrolled: 1-line block ×8, first 2 shown]
.LBB13_24:
	s_or_b32 exec_lo, exec_lo, s0
	v_and_b32_e32 v5, 31, v0
	s_mov_b32 s0, exec_lo
	s_waitcnt lgkmcnt(0)
	s_barrier
	buffer_gl0_inv
	v_cmpx_eq_u32_e32 0, v5
	s_cbranch_execz .LBB13_26
; %bb.25:
	ds_write2_b64 v0, v[9:10], v[7:8] offset1:1
	ds_write2_b64 v0, v[15:16], v[3:4] offset0:2 offset1:3
.LBB13_26:
	s_or_b32 exec_lo, exec_lo, s0
	s_waitcnt lgkmcnt(0)
	s_barrier
	buffer_gl0_inv
	s_load_dword s0, s[4:5], 0x34
	v_mov_b32_e32 v3, 0
	v_mov_b32_e32 v1, 0
	v_mov_b32_e32 v4, 0
	v_mov_b32_e32 v2, 0
	v_lshlrev_b32_e32 v7, 5, v5
	s_waitcnt lgkmcnt(0)
	s_bfe_u32 s0, s0, 0xb0005
	v_cmp_gt_u32_e32 vcc_lo, s0, v0
	s_and_saveexec_b32 s0, vcc_lo
; %bb.27:
	ds_read_b64 v[1:2], v7
; %bb.28:
	s_or_b32 exec_lo, exec_lo, s0
	s_and_saveexec_b32 s0, vcc_lo
; %bb.29:
	ds_read_b64 v[3:4], v7 offset:8
; %bb.30:
	s_or_b32 exec_lo, exec_lo, s0
	v_mov_b32_e32 v5, 0
	v_mov_b32_e32 v6, 0
	s_and_saveexec_b32 s0, vcc_lo
; %bb.31:
	ds_read_b64 v[5:6], v7 offset:24
; %bb.32:
	s_or_b32 exec_lo, exec_lo, s0
	s_mov_b32 s0, exec_lo
	v_cmpx_gt_u32_e32 32, v0
	s_cbranch_execz .LBB13_54
; %bb.33:
	s_waitcnt lgkmcnt(0)
	ds_bpermute_b32 v7, v20, v1
	ds_bpermute_b32 v8, v20, v2
	;; [unrolled: 1-line block ×6, first 2 shown]
	s_mov_b32 s1, exec_lo
	v_cmpx_neq_f64_e32 0, v[5:6]
	s_cbranch_execz .LBB13_37
; %bb.34:
	s_mov_b32 s2, exec_lo
	s_waitcnt lgkmcnt(0)
	v_cmpx_neq_f64_e32 0, v[11:12]
	s_cbranch_execz .LBB13_36
; %bb.35:
	v_add_f64 v[13:14], v[5:6], v[11:12]
	v_add_f64 v[7:8], v[7:8], -v[1:2]
	v_add_f64 v[3:4], v[3:4], v[9:10]
	v_div_scale_f64 v[15:16], null, v[13:14], v[13:14], v[11:12]
	v_div_scale_f64 v[25:26], vcc_lo, v[11:12], v[13:14], v[11:12]
	v_rcp_f64_e32 v[19:20], v[15:16]
	v_fma_f64 v[23:24], -v[15:16], v[19:20], 1.0
	v_fma_f64 v[19:20], v[19:20], v[23:24], v[19:20]
	v_fma_f64 v[23:24], -v[15:16], v[19:20], 1.0
	v_fma_f64 v[19:20], v[19:20], v[23:24], v[19:20]
	v_mul_f64 v[23:24], v[25:26], v[19:20]
	v_fma_f64 v[15:16], -v[15:16], v[23:24], v[25:26]
	v_div_fmas_f64 v[15:16], v[15:16], v[19:20], v[23:24]
	v_mul_f64 v[19:20], v[7:8], v[7:8]
	v_div_fixup_f64 v[9:10], v[15:16], v[13:14], v[11:12]
	v_mul_f64 v[5:6], v[5:6], v[19:20]
	v_fma_f64 v[1:2], v[7:8], v[9:10], v[1:2]
	v_fma_f64 v[3:4], v[5:6], v[9:10], v[3:4]
	v_mov_b32_e32 v5, v13
	v_mov_b32_e32 v6, v14
.LBB13_36:
	s_or_b32 exec_lo, exec_lo, s2
	v_mov_b32_e32 v12, v6
	v_mov_b32_e32 v10, v4
	v_mov_b32_e32 v8, v2
	v_mov_b32_e32 v11, v5
	v_mov_b32_e32 v9, v3
	v_mov_b32_e32 v7, v1
.LBB13_37:
	s_or_b32 exec_lo, exec_lo, s1
	s_waitcnt lgkmcnt(5)
	ds_bpermute_b32 v1, v21, v7
	s_waitcnt lgkmcnt(5)
	ds_bpermute_b32 v2, v21, v8
	;; [unrolled: 2-line block ×6, first 2 shown]
	s_mov_b32 s1, exec_lo
	v_cmpx_neq_f64_e32 0, v[11:12]
	s_cbranch_execz .LBB13_41
; %bb.38:
	s_mov_b32 s2, exec_lo
	s_waitcnt lgkmcnt(0)
	v_cmpx_neq_f64_e32 0, v[13:14]
	s_cbranch_execz .LBB13_40
; %bb.39:
	v_add_f64 v[3:4], v[11:12], v[13:14]
	v_add_f64 v[1:2], v[1:2], -v[7:8]
	v_add_f64 v[5:6], v[9:10], v[5:6]
	v_div_scale_f64 v[15:16], null, v[3:4], v[3:4], v[13:14]
	v_div_scale_f64 v[25:26], vcc_lo, v[13:14], v[3:4], v[13:14]
	v_rcp_f64_e32 v[19:20], v[15:16]
	v_fma_f64 v[23:24], -v[15:16], v[19:20], 1.0
	v_fma_f64 v[19:20], v[19:20], v[23:24], v[19:20]
	v_fma_f64 v[23:24], -v[15:16], v[19:20], 1.0
	v_fma_f64 v[19:20], v[19:20], v[23:24], v[19:20]
	v_mul_f64 v[23:24], v[25:26], v[19:20]
	v_fma_f64 v[15:16], -v[15:16], v[23:24], v[25:26]
	v_div_fmas_f64 v[15:16], v[15:16], v[19:20], v[23:24]
	v_mul_f64 v[19:20], v[1:2], v[1:2]
	v_div_fixup_f64 v[9:10], v[15:16], v[3:4], v[13:14]
	v_mul_f64 v[11:12], v[11:12], v[19:20]
	v_fma_f64 v[7:8], v[1:2], v[9:10], v[7:8]
	v_fma_f64 v[9:10], v[11:12], v[9:10], v[5:6]
	v_mov_b32_e32 v12, v4
	v_mov_b32_e32 v11, v3
.LBB13_40:
	s_or_b32 exec_lo, exec_lo, s2
	v_mov_b32_e32 v14, v12
	v_mov_b32_e32 v5, v9
	;; [unrolled: 1-line block ×6, first 2 shown]
.LBB13_41:
	s_or_b32 exec_lo, exec_lo, s1
	s_waitcnt lgkmcnt(5)
	ds_bpermute_b32 v3, v22, v1
	s_waitcnt lgkmcnt(5)
	ds_bpermute_b32 v4, v22, v2
	s_waitcnt lgkmcnt(5)
	ds_bpermute_b32 v9, v22, v5
	s_waitcnt lgkmcnt(5)
	ds_bpermute_b32 v10, v22, v6
	s_waitcnt lgkmcnt(5)
	ds_bpermute_b32 v15, v22, v13
	s_waitcnt lgkmcnt(5)
	ds_bpermute_b32 v16, v22, v14
	s_mov_b32 s1, exec_lo
	v_cmpx_neq_f64_e32 0, v[13:14]
	s_cbranch_execz .LBB13_45
; %bb.42:
	s_mov_b32 s2, exec_lo
	s_waitcnt lgkmcnt(0)
	v_cmpx_neq_f64_e32 0, v[15:16]
	s_cbranch_execz .LBB13_44
; %bb.43:
	v_add_f64 v[7:8], v[13:14], v[15:16]
	v_add_f64 v[3:4], v[3:4], -v[1:2]
	v_add_f64 v[5:6], v[5:6], v[9:10]
	v_div_scale_f64 v[11:12], null, v[7:8], v[7:8], v[15:16]
	v_div_scale_f64 v[23:24], vcc_lo, v[15:16], v[7:8], v[15:16]
	v_rcp_f64_e32 v[19:20], v[11:12]
	v_fma_f64 v[21:22], -v[11:12], v[19:20], 1.0
	v_fma_f64 v[19:20], v[19:20], v[21:22], v[19:20]
	v_fma_f64 v[21:22], -v[11:12], v[19:20], 1.0
	v_fma_f64 v[19:20], v[19:20], v[21:22], v[19:20]
	v_mul_f64 v[21:22], v[23:24], v[19:20]
	v_fma_f64 v[11:12], -v[11:12], v[21:22], v[23:24]
	v_div_fmas_f64 v[11:12], v[11:12], v[19:20], v[21:22]
	v_mul_f64 v[19:20], v[3:4], v[3:4]
	v_div_fixup_f64 v[9:10], v[11:12], v[7:8], v[15:16]
	v_mul_f64 v[11:12], v[13:14], v[19:20]
	v_mov_b32_e32 v14, v8
	v_mov_b32_e32 v13, v7
	v_fma_f64 v[1:2], v[3:4], v[9:10], v[1:2]
	v_fma_f64 v[5:6], v[11:12], v[9:10], v[5:6]
.LBB13_44:
	s_or_b32 exec_lo, exec_lo, s2
	v_mov_b32_e32 v16, v14
	v_mov_b32_e32 v10, v6
	v_mov_b32_e32 v4, v2
	v_mov_b32_e32 v15, v13
	v_mov_b32_e32 v9, v5
	v_mov_b32_e32 v3, v1
.LBB13_45:
	s_or_b32 exec_lo, exec_lo, s1
	s_waitcnt lgkmcnt(5)
	ds_bpermute_b32 v7, v18, v3
	s_waitcnt lgkmcnt(5)
	ds_bpermute_b32 v8, v18, v4
	s_waitcnt lgkmcnt(5)
	ds_bpermute_b32 v11, v18, v9
	s_waitcnt lgkmcnt(5)
	ds_bpermute_b32 v12, v18, v10
	s_waitcnt lgkmcnt(5)
	ds_bpermute_b32 v13, v18, v15
	s_waitcnt lgkmcnt(5)
	ds_bpermute_b32 v14, v18, v16
	s_mov_b32 s1, exec_lo
	v_cmpx_neq_f64_e32 0, v[15:16]
	s_cbranch_execz .LBB13_49
; %bb.46:
	s_mov_b32 s2, exec_lo
	s_waitcnt lgkmcnt(0)
	v_cmpx_neq_f64_e32 0, v[13:14]
	s_cbranch_execz .LBB13_48
; %bb.47:
	v_add_f64 v[1:2], v[15:16], v[13:14]
	v_add_f64 v[7:8], v[7:8], -v[3:4]
	v_add_f64 v[9:10], v[9:10], v[11:12]
	v_div_scale_f64 v[5:6], null, v[1:2], v[1:2], v[13:14]
	v_div_scale_f64 v[22:23], vcc_lo, v[13:14], v[1:2], v[13:14]
	v_rcp_f64_e32 v[18:19], v[5:6]
	v_fma_f64 v[20:21], -v[5:6], v[18:19], 1.0
	v_fma_f64 v[18:19], v[18:19], v[20:21], v[18:19]
	v_fma_f64 v[20:21], -v[5:6], v[18:19], 1.0
	v_fma_f64 v[18:19], v[18:19], v[20:21], v[18:19]
	v_mul_f64 v[20:21], v[22:23], v[18:19]
	v_fma_f64 v[5:6], -v[5:6], v[20:21], v[22:23]
	v_div_fmas_f64 v[5:6], v[5:6], v[18:19], v[20:21]
	v_mul_f64 v[18:19], v[7:8], v[7:8]
	v_div_fixup_f64 v[5:6], v[5:6], v[1:2], v[13:14]
	v_mul_f64 v[11:12], v[15:16], v[18:19]
	v_mov_b32_e32 v16, v2
	v_mov_b32_e32 v15, v1
	v_fma_f64 v[3:4], v[7:8], v[5:6], v[3:4]
	v_fma_f64 v[9:10], v[11:12], v[5:6], v[9:10]
.LBB13_48:
	s_or_b32 exec_lo, exec_lo, s2
	v_mov_b32_e32 v13, v15
	v_mov_b32_e32 v12, v10
	v_mov_b32_e32 v8, v4
	v_mov_b32_e32 v14, v16
	v_mov_b32_e32 v11, v9
	v_mov_b32_e32 v7, v3
.LBB13_49:
	;; [unrolled: 51-line block ×3, first 2 shown]
	s_or_b32 exec_lo, exec_lo, s1
.LBB13_54:
	s_or_b32 exec_lo, exec_lo, s0
	s_mov_b32 s0, exec_lo
	v_cmpx_eq_u32_e32 0, v0
	s_cbranch_execz .LBB13_56
; %bb.55:
	s_waitcnt lgkmcnt(0)
	v_max_f64 v[5:6], v[5:6], v[5:6]
	s_load_dwordx2 s[0:1], s[4:5], 0x20
	s_lshl_b64 s[2:3], s[6:7], 3
	s_waitcnt lgkmcnt(0)
	s_add_u32 s0, s0, s2
	v_max_f64 v[5:6], v[5:6], 0
	s_addc_u32 s1, s1, s3
	v_div_scale_f64 v[7:8], null, v[5:6], v[5:6], v[3:4]
	v_div_scale_f64 v[13:14], vcc_lo, v[3:4], v[5:6], v[3:4]
	v_rcp_f64_e32 v[9:10], v[7:8]
	v_fma_f64 v[11:12], -v[7:8], v[9:10], 1.0
	v_fma_f64 v[9:10], v[9:10], v[11:12], v[9:10]
	v_fma_f64 v[11:12], -v[7:8], v[9:10], 1.0
	v_fma_f64 v[9:10], v[9:10], v[11:12], v[9:10]
	v_mul_f64 v[11:12], v[13:14], v[9:10]
	v_fma_f64 v[7:8], -v[7:8], v[11:12], v[13:14]
	v_div_fmas_f64 v[7:8], v[7:8], v[9:10], v[11:12]
	v_div_fixup_f64 v[3:4], v[7:8], v[5:6], v[3:4]
	v_fma_f64 v[0:1], v[1:2], v[1:2], v[3:4]
	v_add_f64 v[0:1], s[10:11], v[0:1]
	v_rsq_f64_e32 v[2:3], v[0:1]
	v_mul_f64 v[0:1], v[2:3], -v[0:1]
	v_cmp_class_f64_e64 vcc_lo, v[2:3], 0x180
	v_fma_f64 v[0:1], v[0:1], v[2:3], 1.0
	v_mul_f64 v[4:5], v[2:3], v[0:1]
	v_fma_f64 v[0:1], 0x3fd80000, v[0:1], 0.5
	v_fma_f64 v[0:1], v[4:5], v[0:1], v[2:3]
	v_cndmask_b32_e32 v1, v3, v1, vcc_lo
	v_cndmask_b32_e32 v0, v2, v0, vcc_lo
	v_mov_b32_e32 v2, 0
	global_store_dwordx2 v2, v[0:1], s[0:1]
.LBB13_56:
	s_endpgm
	.section	.rodata,"a",@progbits
	.p2align	6, 0x0
	.amdhsa_kernel _ZN2at6native12_GLOBAL__N_124RowwiseMomentsCUDAKernelIddLb1EEEvlT0_PKT_PS3_S7_
		.amdhsa_group_segment_fixed_size 1024
		.amdhsa_private_segment_fixed_size 0
		.amdhsa_kernarg_size 296
		.amdhsa_user_sgpr_count 6
		.amdhsa_user_sgpr_private_segment_buffer 1
		.amdhsa_user_sgpr_dispatch_ptr 0
		.amdhsa_user_sgpr_queue_ptr 0
		.amdhsa_user_sgpr_kernarg_segment_ptr 1
		.amdhsa_user_sgpr_dispatch_id 0
		.amdhsa_user_sgpr_flat_scratch_init 0
		.amdhsa_user_sgpr_private_segment_size 0
		.amdhsa_wavefront_size32 1
		.amdhsa_uses_dynamic_stack 0
		.amdhsa_system_sgpr_private_segment_wavefront_offset 0
		.amdhsa_system_sgpr_workgroup_id_x 1
		.amdhsa_system_sgpr_workgroup_id_y 0
		.amdhsa_system_sgpr_workgroup_id_z 0
		.amdhsa_system_sgpr_workgroup_info 0
		.amdhsa_system_vgpr_workitem_id 0
		.amdhsa_next_free_vgpr 30
		.amdhsa_next_free_sgpr 15
		.amdhsa_reserve_vcc 1
		.amdhsa_reserve_flat_scratch 0
		.amdhsa_float_round_mode_32 0
		.amdhsa_float_round_mode_16_64 0
		.amdhsa_float_denorm_mode_32 3
		.amdhsa_float_denorm_mode_16_64 3
		.amdhsa_dx10_clamp 1
		.amdhsa_ieee_mode 1
		.amdhsa_fp16_overflow 0
		.amdhsa_workgroup_processor_mode 1
		.amdhsa_memory_ordered 1
		.amdhsa_forward_progress 1
		.amdhsa_shared_vgpr_count 0
		.amdhsa_exception_fp_ieee_invalid_op 0
		.amdhsa_exception_fp_denorm_src 0
		.amdhsa_exception_fp_ieee_div_zero 0
		.amdhsa_exception_fp_ieee_overflow 0
		.amdhsa_exception_fp_ieee_underflow 0
		.amdhsa_exception_fp_ieee_inexact 0
		.amdhsa_exception_int_div_zero 0
	.end_amdhsa_kernel
	.section	.text._ZN2at6native12_GLOBAL__N_124RowwiseMomentsCUDAKernelIddLb1EEEvlT0_PKT_PS3_S7_,"axG",@progbits,_ZN2at6native12_GLOBAL__N_124RowwiseMomentsCUDAKernelIddLb1EEEvlT0_PKT_PS3_S7_,comdat
.Lfunc_end13:
	.size	_ZN2at6native12_GLOBAL__N_124RowwiseMomentsCUDAKernelIddLb1EEEvlT0_PKT_PS3_S7_, .Lfunc_end13-_ZN2at6native12_GLOBAL__N_124RowwiseMomentsCUDAKernelIddLb1EEEvlT0_PKT_PS3_S7_
                                        ; -- End function
	.set _ZN2at6native12_GLOBAL__N_124RowwiseMomentsCUDAKernelIddLb1EEEvlT0_PKT_PS3_S7_.num_vgpr, 30
	.set _ZN2at6native12_GLOBAL__N_124RowwiseMomentsCUDAKernelIddLb1EEEvlT0_PKT_PS3_S7_.num_agpr, 0
	.set _ZN2at6native12_GLOBAL__N_124RowwiseMomentsCUDAKernelIddLb1EEEvlT0_PKT_PS3_S7_.numbered_sgpr, 15
	.set _ZN2at6native12_GLOBAL__N_124RowwiseMomentsCUDAKernelIddLb1EEEvlT0_PKT_PS3_S7_.num_named_barrier, 0
	.set _ZN2at6native12_GLOBAL__N_124RowwiseMomentsCUDAKernelIddLb1EEEvlT0_PKT_PS3_S7_.private_seg_size, 0
	.set _ZN2at6native12_GLOBAL__N_124RowwiseMomentsCUDAKernelIddLb1EEEvlT0_PKT_PS3_S7_.uses_vcc, 1
	.set _ZN2at6native12_GLOBAL__N_124RowwiseMomentsCUDAKernelIddLb1EEEvlT0_PKT_PS3_S7_.uses_flat_scratch, 0
	.set _ZN2at6native12_GLOBAL__N_124RowwiseMomentsCUDAKernelIddLb1EEEvlT0_PKT_PS3_S7_.has_dyn_sized_stack, 0
	.set _ZN2at6native12_GLOBAL__N_124RowwiseMomentsCUDAKernelIddLb1EEEvlT0_PKT_PS3_S7_.has_recursion, 0
	.set _ZN2at6native12_GLOBAL__N_124RowwiseMomentsCUDAKernelIddLb1EEEvlT0_PKT_PS3_S7_.has_indirect_call, 0
	.section	.AMDGPU.csdata,"",@progbits
; Kernel info:
; codeLenInByte = 3872
; TotalNumSgprs: 17
; NumVgprs: 30
; ScratchSize: 0
; MemoryBound: 0
; FloatMode: 240
; IeeeMode: 1
; LDSByteSize: 1024 bytes/workgroup (compile time only)
; SGPRBlocks: 0
; VGPRBlocks: 3
; NumSGPRsForWavesPerEU: 17
; NumVGPRsForWavesPerEU: 30
; Occupancy: 16
; WaveLimiterHint : 0
; COMPUTE_PGM_RSRC2:SCRATCH_EN: 0
; COMPUTE_PGM_RSRC2:USER_SGPR: 6
; COMPUTE_PGM_RSRC2:TRAP_HANDLER: 0
; COMPUTE_PGM_RSRC2:TGID_X_EN: 1
; COMPUTE_PGM_RSRC2:TGID_Y_EN: 0
; COMPUTE_PGM_RSRC2:TGID_Z_EN: 0
; COMPUTE_PGM_RSRC2:TIDIG_COMP_CNT: 0
	.section	.text._ZN2at6native12_GLOBAL__N_126LayerNormForwardCUDAKernelIddLb1EEEvlPKT_PKT0_S8_S5_S5_PS3_,"axG",@progbits,_ZN2at6native12_GLOBAL__N_126LayerNormForwardCUDAKernelIddLb1EEEvlPKT_PKT0_S8_S5_S5_PS3_,comdat
	.globl	_ZN2at6native12_GLOBAL__N_126LayerNormForwardCUDAKernelIddLb1EEEvlPKT_PKT0_S8_S5_S5_PS3_ ; -- Begin function _ZN2at6native12_GLOBAL__N_126LayerNormForwardCUDAKernelIddLb1EEEvlPKT_PKT0_S8_S5_S5_PS3_
	.p2align	8
	.type	_ZN2at6native12_GLOBAL__N_126LayerNormForwardCUDAKernelIddLb1EEEvlPKT_PKT0_S8_S5_S5_PS3_,@function
_ZN2at6native12_GLOBAL__N_126LayerNormForwardCUDAKernelIddLb1EEEvlPKT_PKT0_S8_S5_S5_PS3_: ; @_ZN2at6native12_GLOBAL__N_126LayerNormForwardCUDAKernelIddLb1EEEvlPKT_PKT0_S8_S5_S5_PS3_
; %bb.0:
	s_load_dwordx4 s[8:11], s[4:5], 0x0
	v_mov_b32_e32 v1, 0
	s_mov_b32 s0, exec_lo
	s_waitcnt lgkmcnt(0)
	v_cmpx_gt_i64_e64 s[8:9], v[0:1]
	s_cbranch_execz .LBB14_6
; %bb.1:
	s_clause 0x2
	s_load_dwordx4 s[0:3], s[4:5], 0x18
	s_load_dword s13, s[4:5], 0x44
	s_load_dwordx2 s[14:15], s[4:5], 0x30
	s_mov_b32 s7, 0
	s_mul_i32 s17, s9, s6
	s_mul_hi_u32 s18, s8, s6
	s_mul_i32 s16, s8, s6
	v_mov_b32_e32 v3, v1
	v_lshlrev_b32_e32 v6, 3, v0
	v_mov_b32_e32 v7, v1
	v_mov_b32_e32 v2, v0
	s_waitcnt lgkmcnt(0)
	s_cmp_lg_u64 s[2:3], 0
	s_cselect_b32 s12, -1, 0
	s_lshl_b64 s[4:5], s[6:7], 3
	s_add_u32 s4, s0, s4
	s_addc_u32 s5, s1, s5
	s_add_i32 s17, s18, s17
	s_and_b32 s1, s13, 0xffff
	s_lshl_b64 s[16:17], s[16:17], 3
	s_add_u32 s6, s10, s16
	s_addc_u32 s10, s11, s17
	s_lshl_b32 s11, s1, 3
	s_add_u32 s13, s14, s16
	s_addc_u32 s14, s15, s17
	s_inst_prefetch 0x1
	s_branch .LBB14_4
	.p2align	6
.LBB14_2:                               ;   in Loop: Header=BB14_4 Depth=1
	v_add_co_u32 v4, vcc_lo, s2, v6
	v_add_co_ci_u32_e64 v5, null, s3, v7, vcc_lo
	global_load_dwordx2 v[4:5], v[4:5], off
.LBB14_3:                               ;   in Loop: Header=BB14_4 Depth=1
	v_add_co_u32 v8, vcc_lo, s6, v6
	v_add_co_ci_u32_e64 v9, null, s10, v7, vcc_lo
	v_add_co_u32 v2, vcc_lo, v2, s1
	v_add_co_ci_u32_e64 v3, null, 0, v3, vcc_lo
	global_load_dwordx2 v[8:9], v[8:9], off
	global_load_dwordx2 v[10:11], v1, s[4:5]
	s_waitcnt vmcnt(0)
	v_mul_f64 v[8:9], v[8:9], v[10:11]
	v_mul_f64 v[4:5], v[4:5], v[8:9]
	v_add_co_u32 v8, vcc_lo, s13, v6
	v_add_co_ci_u32_e64 v9, null, s14, v7, vcc_lo
	v_cmp_le_i64_e32 vcc_lo, s[8:9], v[2:3]
	v_add_co_u32 v6, s0, v6, s11
	v_add_co_ci_u32_e64 v7, null, 0, v7, s0
	s_or_b32 s7, vcc_lo, s7
	global_store_dwordx2 v[8:9], v[4:5], off
	s_andn2_b32 exec_lo, exec_lo, s7
	s_cbranch_execz .LBB14_6
.LBB14_4:                               ; =>This Inner Loop Header: Depth=1
	s_andn2_b32 vcc_lo, exec_lo, s12
	s_cbranch_vccz .LBB14_2
; %bb.5:                                ;   in Loop: Header=BB14_4 Depth=1
	v_mov_b32_e32 v4, 0
	v_mov_b32_e32 v5, 0x3ff00000
	s_branch .LBB14_3
.LBB14_6:
	s_inst_prefetch 0x2
	s_endpgm
	.section	.rodata,"a",@progbits
	.p2align	6, 0x0
	.amdhsa_kernel _ZN2at6native12_GLOBAL__N_126LayerNormForwardCUDAKernelIddLb1EEEvlPKT_PKT0_S8_S5_S5_PS3_
		.amdhsa_group_segment_fixed_size 0
		.amdhsa_private_segment_fixed_size 0
		.amdhsa_kernarg_size 312
		.amdhsa_user_sgpr_count 6
		.amdhsa_user_sgpr_private_segment_buffer 1
		.amdhsa_user_sgpr_dispatch_ptr 0
		.amdhsa_user_sgpr_queue_ptr 0
		.amdhsa_user_sgpr_kernarg_segment_ptr 1
		.amdhsa_user_sgpr_dispatch_id 0
		.amdhsa_user_sgpr_flat_scratch_init 0
		.amdhsa_user_sgpr_private_segment_size 0
		.amdhsa_wavefront_size32 1
		.amdhsa_uses_dynamic_stack 0
		.amdhsa_system_sgpr_private_segment_wavefront_offset 0
		.amdhsa_system_sgpr_workgroup_id_x 1
		.amdhsa_system_sgpr_workgroup_id_y 0
		.amdhsa_system_sgpr_workgroup_id_z 0
		.amdhsa_system_sgpr_workgroup_info 0
		.amdhsa_system_vgpr_workitem_id 0
		.amdhsa_next_free_vgpr 12
		.amdhsa_next_free_sgpr 19
		.amdhsa_reserve_vcc 1
		.amdhsa_reserve_flat_scratch 0
		.amdhsa_float_round_mode_32 0
		.amdhsa_float_round_mode_16_64 0
		.amdhsa_float_denorm_mode_32 3
		.amdhsa_float_denorm_mode_16_64 3
		.amdhsa_dx10_clamp 1
		.amdhsa_ieee_mode 1
		.amdhsa_fp16_overflow 0
		.amdhsa_workgroup_processor_mode 1
		.amdhsa_memory_ordered 1
		.amdhsa_forward_progress 1
		.amdhsa_shared_vgpr_count 0
		.amdhsa_exception_fp_ieee_invalid_op 0
		.amdhsa_exception_fp_denorm_src 0
		.amdhsa_exception_fp_ieee_div_zero 0
		.amdhsa_exception_fp_ieee_overflow 0
		.amdhsa_exception_fp_ieee_underflow 0
		.amdhsa_exception_fp_ieee_inexact 0
		.amdhsa_exception_int_div_zero 0
	.end_amdhsa_kernel
	.section	.text._ZN2at6native12_GLOBAL__N_126LayerNormForwardCUDAKernelIddLb1EEEvlPKT_PKT0_S8_S5_S5_PS3_,"axG",@progbits,_ZN2at6native12_GLOBAL__N_126LayerNormForwardCUDAKernelIddLb1EEEvlPKT_PKT0_S8_S5_S5_PS3_,comdat
.Lfunc_end14:
	.size	_ZN2at6native12_GLOBAL__N_126LayerNormForwardCUDAKernelIddLb1EEEvlPKT_PKT0_S8_S5_S5_PS3_, .Lfunc_end14-_ZN2at6native12_GLOBAL__N_126LayerNormForwardCUDAKernelIddLb1EEEvlPKT_PKT0_S8_S5_S5_PS3_
                                        ; -- End function
	.set _ZN2at6native12_GLOBAL__N_126LayerNormForwardCUDAKernelIddLb1EEEvlPKT_PKT0_S8_S5_S5_PS3_.num_vgpr, 12
	.set _ZN2at6native12_GLOBAL__N_126LayerNormForwardCUDAKernelIddLb1EEEvlPKT_PKT0_S8_S5_S5_PS3_.num_agpr, 0
	.set _ZN2at6native12_GLOBAL__N_126LayerNormForwardCUDAKernelIddLb1EEEvlPKT_PKT0_S8_S5_S5_PS3_.numbered_sgpr, 19
	.set _ZN2at6native12_GLOBAL__N_126LayerNormForwardCUDAKernelIddLb1EEEvlPKT_PKT0_S8_S5_S5_PS3_.num_named_barrier, 0
	.set _ZN2at6native12_GLOBAL__N_126LayerNormForwardCUDAKernelIddLb1EEEvlPKT_PKT0_S8_S5_S5_PS3_.private_seg_size, 0
	.set _ZN2at6native12_GLOBAL__N_126LayerNormForwardCUDAKernelIddLb1EEEvlPKT_PKT0_S8_S5_S5_PS3_.uses_vcc, 1
	.set _ZN2at6native12_GLOBAL__N_126LayerNormForwardCUDAKernelIddLb1EEEvlPKT_PKT0_S8_S5_S5_PS3_.uses_flat_scratch, 0
	.set _ZN2at6native12_GLOBAL__N_126LayerNormForwardCUDAKernelIddLb1EEEvlPKT_PKT0_S8_S5_S5_PS3_.has_dyn_sized_stack, 0
	.set _ZN2at6native12_GLOBAL__N_126LayerNormForwardCUDAKernelIddLb1EEEvlPKT_PKT0_S8_S5_S5_PS3_.has_recursion, 0
	.set _ZN2at6native12_GLOBAL__N_126LayerNormForwardCUDAKernelIddLb1EEEvlPKT_PKT0_S8_S5_S5_PS3_.has_indirect_call, 0
	.section	.AMDGPU.csdata,"",@progbits
; Kernel info:
; codeLenInByte = 372
; TotalNumSgprs: 21
; NumVgprs: 12
; ScratchSize: 0
; MemoryBound: 0
; FloatMode: 240
; IeeeMode: 1
; LDSByteSize: 0 bytes/workgroup (compile time only)
; SGPRBlocks: 0
; VGPRBlocks: 1
; NumSGPRsForWavesPerEU: 21
; NumVGPRsForWavesPerEU: 12
; Occupancy: 16
; WaveLimiterHint : 0
; COMPUTE_PGM_RSRC2:SCRATCH_EN: 0
; COMPUTE_PGM_RSRC2:USER_SGPR: 6
; COMPUTE_PGM_RSRC2:TRAP_HANDLER: 0
; COMPUTE_PGM_RSRC2:TGID_X_EN: 1
; COMPUTE_PGM_RSRC2:TGID_Y_EN: 0
; COMPUTE_PGM_RSRC2:TGID_Z_EN: 0
; COMPUTE_PGM_RSRC2:TIDIG_COMP_CNT: 0
	.section	.text._ZN2at6native12_GLOBAL__N_128vectorized_layer_norm_kernelIffLb1EEEviT0_PKT_S6_S6_PS3_S7_PS4_,"axG",@progbits,_ZN2at6native12_GLOBAL__N_128vectorized_layer_norm_kernelIffLb1EEEviT0_PKT_S6_S6_PS3_S7_PS4_,comdat
	.globl	_ZN2at6native12_GLOBAL__N_128vectorized_layer_norm_kernelIffLb1EEEviT0_PKT_S6_S6_PS3_S7_PS4_ ; -- Begin function _ZN2at6native12_GLOBAL__N_128vectorized_layer_norm_kernelIffLb1EEEviT0_PKT_S6_S6_PS3_S7_PS4_
	.p2align	8
	.type	_ZN2at6native12_GLOBAL__N_128vectorized_layer_norm_kernelIffLb1EEEviT0_PKT_S6_S6_PS3_S7_PS4_,@function
_ZN2at6native12_GLOBAL__N_128vectorized_layer_norm_kernelIffLb1EEEviT0_PKT_S6_S6_PS3_S7_PS4_: ; @_ZN2at6native12_GLOBAL__N_128vectorized_layer_norm_kernelIffLb1EEEviT0_PKT_S6_S6_PS3_S7_PS4_
; %bb.0:
	s_clause 0x1
	s_load_dwordx4 s[8:11], s[4:5], 0x0
	s_load_dword s1, s[4:5], 0x44
	v_mov_b32_e32 v4, 0
	s_mov_b32 s7, 0
	s_waitcnt lgkmcnt(0)
	s_ashr_i32 s0, s8, 31
	s_and_b32 s2, s1, 0xffff
	s_lshr_b32 s12, s0, 30
	v_mul_u32_u24_e32 v2, s2, v1
	v_mad_u32_u24 v10, v1, s2, v0
	s_add_i32 s12, s8, s12
	s_mul_hi_u32 s3, s8, s6
	s_mul_i32 s0, s0, s6
	s_ashr_i32 s20, s12, 2
	s_add_i32 s19, s3, s0
	v_cmp_gt_i32_e64 s0, s20, v10
	v_add_lshl_u32 v11, v2, v0, 4
	s_lshr_b32 s12, s1, 16
	s_mul_i32 s18, s8, s6
	s_mul_i32 s16, s12, s2
	s_and_saveexec_b32 s13, s0
	s_cbranch_execz .LBB15_4
; %bb.1:
	s_lshl_b64 s[2:3], s[18:19], 2
	v_mov_b32_e32 v4, 0
	s_add_u32 s1, s10, s2
	s_addc_u32 s2, s11, s3
	v_add_co_u32 v2, s1, s1, v11
	v_add_co_ci_u32_e64 v3, null, s2, 0, s1
	v_mov_b32_e32 v5, v10
	v_add_co_u32 v2, vcc_lo, v2, 8
	v_add_co_ci_u32_e64 v3, null, 0, v3, vcc_lo
	s_ashr_i32 s17, s16, 31
	s_mov_b32 s14, s7
	s_lshl_b64 s[2:3], s[16:17], 4
.LBB15_2:                               ; =>This Inner Loop Header: Depth=1
	global_load_dwordx4 v[6:9], v[2:3], off offset:-8
	v_add_nc_u32_e32 v5, s16, v5
	v_add_co_u32 v2, vcc_lo, v2, s2
	v_add_co_ci_u32_e64 v3, null, s3, v3, vcc_lo
	v_cmp_le_i32_e64 s1, s20, v5
	s_or_b32 s14, s1, s14
	s_waitcnt vmcnt(0)
	v_fmac_f32_e32 v4, v6, v6
	v_fmac_f32_e32 v4, v7, v7
	;; [unrolled: 1-line block ×4, first 2 shown]
	s_andn2_b32 exec_lo, exec_lo, s14
	s_cbranch_execnz .LBB15_2
; %bb.3:
	s_or_b32 exec_lo, exec_lo, s14
.LBB15_4:
	s_or_b32 exec_lo, exec_lo, s13
	v_mbcnt_lo_u32_b32 v2, -1, 0
	s_cmp_lt_u32 s12, 2
	s_mov_b32 s1, -1
                                        ; implicit-def: $vgpr9
	v_lshlrev_b32_e32 v3, 2, v2
	v_cmp_gt_u32_e32 vcc_lo, 24, v2
	v_or_b32_e32 v3, 64, v3
	v_cndmask_b32_e64 v5, 0, 8, vcc_lo
	v_cmp_gt_u32_e32 vcc_lo, 28, v2
	ds_bpermute_b32 v3, v3, v4
	v_add_lshl_u32 v5, v5, v2, 2
	s_waitcnt lgkmcnt(0)
	v_add_f32_e32 v3, v4, v3
	ds_bpermute_b32 v4, v5, v3
	v_cndmask_b32_e64 v5, 0, 4, vcc_lo
	v_cmp_gt_u32_e32 vcc_lo, 30, v2
	v_add_lshl_u32 v5, v5, v2, 2
	s_waitcnt lgkmcnt(0)
	v_add_f32_e32 v3, v3, v4
	ds_bpermute_b32 v4, v5, v3
	v_cndmask_b32_e64 v5, 0, 2, vcc_lo
	v_cmp_ne_u32_e32 vcc_lo, 31, v2
	v_add_lshl_u32 v5, v5, v2, 2
	v_add_co_ci_u32_e64 v2, null, 0, v2, vcc_lo
	v_lshlrev_b32_e32 v2, 2, v2
	s_waitcnt lgkmcnt(0)
	v_add_f32_e32 v3, v3, v4
	ds_bpermute_b32 v4, v5, v3
	s_waitcnt lgkmcnt(0)
	v_add_f32_e32 v3, v3, v4
	ds_bpermute_b32 v2, v2, v3
	s_waitcnt lgkmcnt(0)
	v_add_f32_e32 v2, v3, v2
	s_cbranch_scc0 .LBB15_6
; %bb.5:
	v_mov_b32_e32 v3, 0
	v_cvt_f32_i32_e32 v4, s8
	s_mov_b32 s1, 0
	ds_bpermute_b32 v3, v3, v2
	s_waitcnt lgkmcnt(0)
	v_div_scale_f32 v5, null, v4, v4, v3
	v_rcp_f32_e32 v6, v5
	v_fma_f32 v7, -v5, v6, 1.0
	v_fmac_f32_e32 v6, v7, v6
	v_div_scale_f32 v7, vcc_lo, v3, v4, v3
	v_mul_f32_e32 v8, v7, v6
	v_fma_f32 v9, -v5, v8, v7
	v_fmac_f32_e32 v8, v9, v6
	v_fma_f32 v5, -v5, v8, v7
	v_div_fmas_f32 v5, v5, v6, v8
	v_div_fixup_f32 v9, v5, v4, v3
.LBB15_6:
	v_mov_b32_e32 v8, 0
	s_andn2_b32 vcc_lo, exec_lo, s1
	s_cbranch_vccnz .LBB15_17
; %bb.7:
	v_lshlrev_b32_e32 v3, 3, v1
	v_mov_b32_e32 v4, 0
	s_lshl_b32 s1, s12, 2
	v_cmp_eq_u32_e32 vcc_lo, 0, v0
	s_add_i32 s3, s1, 0
	v_add_nc_u32_e32 v3, 0, v3
	s_inst_prefetch 0x1
	.p2align	6
.LBB15_8:                               ; =>This Inner Loop Header: Depth=1
	s_lshr_b32 s13, s12, 1
	s_and_b32 s2, s12, 0xfffe
	v_cmp_le_u32_e64 s1, s13, v1
	v_cmp_gt_u32_e64 s2, s2, v1
	s_and_b32 s1, vcc_lo, s1
	s_and_b32 s2, s1, s2
	s_and_saveexec_b32 s1, s2
	s_cbranch_execz .LBB15_10
; %bb.9:                                ;   in Loop: Header=BB15_8 Depth=1
	v_subrev_nc_u32_e32 v5, s13, v1
	v_lshl_add_u32 v6, v5, 3, 0
	v_lshl_add_u32 v5, v5, 2, s3
	ds_write2_b32 v6, v4, v2 offset1:1
	ds_write_b32 v5, v4
.LBB15_10:                              ;   in Loop: Header=BB15_8 Depth=1
	s_or_b32 exec_lo, exec_lo, s1
	v_cmp_gt_u32_e64 s1, s13, v1
	s_waitcnt lgkmcnt(0)
	s_barrier
	buffer_gl0_inv
	s_and_b32 s2, vcc_lo, s1
	s_and_saveexec_b32 s1, s2
	s_cbranch_execz .LBB15_12
; %bb.11:                               ;   in Loop: Header=BB15_8 Depth=1
	ds_read_b32 v5, v3 offset:4
	s_waitcnt lgkmcnt(0)
	v_add_f32_e32 v2, v2, v5
.LBB15_12:                              ;   in Loop: Header=BB15_8 Depth=1
	s_or_b32 exec_lo, exec_lo, s1
	s_cmp_lt_u32 s12, 4
	s_barrier
	buffer_gl0_inv
	s_cbranch_scc1 .LBB15_14
; %bb.13:                               ;   in Loop: Header=BB15_8 Depth=1
	s_mov_b32 s12, s13
	s_branch .LBB15_8
.LBB15_14:
	s_inst_prefetch 0x2
	v_or_b32_e32 v0, v0, v1
	s_mov_b32 s1, exec_lo
	v_cmpx_eq_u32_e32 0, v0
	s_cbranch_execz .LBB15_16
; %bb.15:
	v_cvt_f32_i32_e32 v0, s8
	v_div_scale_f32 v1, null, v0, v0, v2
	v_div_scale_f32 v5, vcc_lo, v2, v0, v2
	v_rcp_f32_e32 v3, v1
	v_fma_f32 v4, -v1, v3, 1.0
	v_fmac_f32_e32 v3, v4, v3
	v_mul_f32_e32 v4, v5, v3
	v_fma_f32 v6, -v1, v4, v5
	v_fmac_f32_e32 v4, v6, v3
	v_fma_f32 v1, -v1, v4, v5
	v_div_fmas_f32 v1, v1, v3, v4
	v_div_fixup_f32 v0, v1, v0, v2
	v_mov_b32_e32 v1, 0
	ds_write2_b32 v1, v1, v0 offset1:1
.LBB15_16:
	s_or_b32 exec_lo, exec_lo, s1
	v_mov_b32_e32 v0, 0
	s_waitcnt lgkmcnt(0)
	s_barrier
	buffer_gl0_inv
	ds_read2_b32 v[8:9], v0 offset1:1
.LBB15_17:
	s_waitcnt lgkmcnt(0)
	v_add_f32_e32 v0, s9, v9
	s_load_dwordx4 s[12:15], s[4:5], 0x28
	v_mul_f32_e32 v1, 0x4b800000, v0
	v_cmp_gt_f32_e32 vcc_lo, 0x800000, v0
	v_cndmask_b32_e32 v0, v0, v1, vcc_lo
	v_rsq_f32_e32 v0, v0
	v_mul_f32_e32 v1, 0x45800000, v0
	v_cndmask_b32_e32 v9, v0, v1, vcc_lo
	s_and_saveexec_b32 s8, s0
	s_cbranch_execz .LBB15_32
; %bb.18:
	s_load_dwordx4 s[0:3], s[4:5], 0x10
	v_mov_b32_e32 v12, v10
	s_waitcnt lgkmcnt(0)
	s_cmp_eq_u64 s[0:1], 0
	s_cselect_b32 s9, -1, 0
	s_cmp_eq_u64 s[2:3], 0
	s_cselect_b32 s21, -1, 0
	s_lshl_b64 s[4:5], s[18:19], 2
	v_cndmask_b32_e64 v13, 0, 1, s21
	s_add_u32 s14, s14, s4
	s_addc_u32 s15, s15, s5
	s_add_u32 s10, s10, s4
	s_addc_u32 s11, s11, s5
	s_ashr_i32 s17, s16, 31
	s_or_b32 s18, s9, s21
	s_lshl_b64 s[4:5], s[16:17], 4
	s_mov_b32 s17, 0
	s_branch .LBB15_20
.LBB15_19:                              ;   in Loop: Header=BB15_20 Depth=1
	v_add_nc_u32_e32 v12, s16, v12
	s_waitcnt vmcnt(0)
	v_add_co_u32 v0, s19, s14, v11
	s_add_u32 s14, s14, s4
	v_add_co_ci_u32_e64 v1, null, s15, 0, s19
	s_addc_u32 s15, s15, s5
	s_add_u32 s10, s10, s4
	s_addc_u32 s11, s11, s5
	v_cmp_le_i32_e32 vcc_lo, s20, v12
	s_add_u32 s2, s2, s4
	s_addc_u32 s3, s3, s5
	s_add_u32 s0, s0, s4
	s_addc_u32 s1, s1, s5
	s_or_b32 s17, vcc_lo, s17
	global_store_dwordx4 v[0:1], v[4:7], off
	s_andn2_b32 exec_lo, exec_lo, s17
	s_cbranch_execz .LBB15_32
.LBB15_20:                              ; =>This Inner Loop Header: Depth=1
	v_add_co_u32 v0, s19, s10, v11
	v_add_co_ci_u32_e64 v1, null, s11, 0, s19
	s_and_b32 vcc_lo, exec_lo, s18
	s_mov_b32 s19, -1
                                        ; implicit-def: $vgpr4
	global_load_dwordx4 v[0:3], v[0:1], off
	s_cbranch_vccz .LBB15_30
; %bb.21:                               ;   in Loop: Header=BB15_20 Depth=1
	s_and_b32 vcc_lo, exec_lo, s9
                                        ; implicit-def: $vgpr4
	s_cbranch_vccz .LBB15_27
; %bb.22:                               ;   in Loop: Header=BB15_20 Depth=1
	v_cmp_ne_u32_e32 vcc_lo, 1, v13
                                        ; implicit-def: $vgpr4
	s_cbranch_vccnz .LBB15_24
; %bb.23:                               ;   in Loop: Header=BB15_20 Depth=1
	s_waitcnt vmcnt(0)
	v_mul_f32_e32 v4, v9, v0
	v_mul_f32_e32 v5, v9, v1
	;; [unrolled: 1-line block ×4, first 2 shown]
	s_mov_b32 s19, 0
.LBB15_24:                              ;   in Loop: Header=BB15_20 Depth=1
	s_andn2_b32 vcc_lo, exec_lo, s19
	s_cbranch_vccnz .LBB15_26
; %bb.25:                               ;   in Loop: Header=BB15_20 Depth=1
	v_add_co_u32 v4, s19, s2, v11
	v_add_co_ci_u32_e64 v5, null, s3, 0, s19
	s_waitcnt vmcnt(0)
	v_sub_f32_e32 v14, v0, v8
	v_sub_f32_e32 v15, v1, v8
	;; [unrolled: 1-line block ×3, first 2 shown]
	global_load_dwordx4 v[4:7], v[4:5], off
	v_sub_f32_e32 v17, v3, v8
	s_waitcnt vmcnt(0)
	v_fma_f32 v4, v9, v14, v4
	v_fma_f32 v5, v9, v15, v5
	;; [unrolled: 1-line block ×3, first 2 shown]
	v_fmac_f32_e32 v7, v9, v17
.LBB15_26:                              ;   in Loop: Header=BB15_20 Depth=1
	s_mov_b32 s19, 0
.LBB15_27:                              ;   in Loop: Header=BB15_20 Depth=1
	s_andn2_b32 vcc_lo, exec_lo, s19
	s_cbranch_vccnz .LBB15_29
; %bb.28:                               ;   in Loop: Header=BB15_20 Depth=1
	v_add_co_u32 v4, s19, s0, v11
	v_add_co_ci_u32_e64 v5, null, s1, 0, s19
	s_waitcnt vmcnt(0)
	v_mul_f32_e32 v14, v9, v0
	v_mul_f32_e32 v15, v9, v1
	v_mul_f32_e32 v16, v9, v2
	global_load_dwordx4 v[4:7], v[4:5], off
	v_mul_f32_e32 v17, v9, v3
	s_waitcnt vmcnt(0)
	v_mul_f32_e32 v4, v14, v4
	v_mul_f32_e32 v5, v15, v5
	;; [unrolled: 1-line block ×4, first 2 shown]
.LBB15_29:                              ;   in Loop: Header=BB15_20 Depth=1
	s_mov_b32 s19, 0
.LBB15_30:                              ;   in Loop: Header=BB15_20 Depth=1
	s_andn2_b32 vcc_lo, exec_lo, s19
	s_cbranch_vccnz .LBB15_19
; %bb.31:                               ;   in Loop: Header=BB15_20 Depth=1
	v_add_co_u32 v4, s19, s0, v11
	v_add_co_ci_u32_e64 v5, null, s1, 0, s19
	s_waitcnt vmcnt(0)
	v_mul_f32_e32 v0, v9, v0
	v_mul_f32_e32 v1, v9, v1
	;; [unrolled: 1-line block ×3, first 2 shown]
	global_load_dwordx4 v[4:7], v[4:5], off
	v_mul_f32_e32 v3, v9, v3
	s_waitcnt vmcnt(0)
	v_mul_f32_e32 v4, v0, v4
	v_mul_f32_e32 v5, v1, v5
	;; [unrolled: 1-line block ×4, first 2 shown]
	s_branch .LBB15_19
.LBB15_32:
	s_or_b32 exec_lo, exec_lo, s8
	s_mov_b32 s0, exec_lo
	v_cmpx_eq_u32_e32 0, v10
	s_cbranch_execz .LBB15_34
; %bb.33:
	s_lshl_b64 s[0:1], s[6:7], 2
	v_mov_b32_e32 v0, 0
	s_waitcnt lgkmcnt(0)
	s_add_u32 s0, s12, s0
	s_addc_u32 s1, s13, s1
	global_store_dword v0, v9, s[0:1]
.LBB15_34:
	s_endpgm
	.section	.rodata,"a",@progbits
	.p2align	6, 0x0
	.amdhsa_kernel _ZN2at6native12_GLOBAL__N_128vectorized_layer_norm_kernelIffLb1EEEviT0_PKT_S6_S6_PS3_S7_PS4_
		.amdhsa_group_segment_fixed_size 0
		.amdhsa_private_segment_fixed_size 0
		.amdhsa_kernarg_size 312
		.amdhsa_user_sgpr_count 6
		.amdhsa_user_sgpr_private_segment_buffer 1
		.amdhsa_user_sgpr_dispatch_ptr 0
		.amdhsa_user_sgpr_queue_ptr 0
		.amdhsa_user_sgpr_kernarg_segment_ptr 1
		.amdhsa_user_sgpr_dispatch_id 0
		.amdhsa_user_sgpr_flat_scratch_init 0
		.amdhsa_user_sgpr_private_segment_size 0
		.amdhsa_wavefront_size32 1
		.amdhsa_uses_dynamic_stack 0
		.amdhsa_system_sgpr_private_segment_wavefront_offset 0
		.amdhsa_system_sgpr_workgroup_id_x 1
		.amdhsa_system_sgpr_workgroup_id_y 0
		.amdhsa_system_sgpr_workgroup_id_z 0
		.amdhsa_system_sgpr_workgroup_info 0
		.amdhsa_system_vgpr_workitem_id 1
		.amdhsa_next_free_vgpr 18
		.amdhsa_next_free_sgpr 22
		.amdhsa_reserve_vcc 1
		.amdhsa_reserve_flat_scratch 0
		.amdhsa_float_round_mode_32 0
		.amdhsa_float_round_mode_16_64 0
		.amdhsa_float_denorm_mode_32 3
		.amdhsa_float_denorm_mode_16_64 3
		.amdhsa_dx10_clamp 1
		.amdhsa_ieee_mode 1
		.amdhsa_fp16_overflow 0
		.amdhsa_workgroup_processor_mode 1
		.amdhsa_memory_ordered 1
		.amdhsa_forward_progress 1
		.amdhsa_shared_vgpr_count 0
		.amdhsa_exception_fp_ieee_invalid_op 0
		.amdhsa_exception_fp_denorm_src 0
		.amdhsa_exception_fp_ieee_div_zero 0
		.amdhsa_exception_fp_ieee_overflow 0
		.amdhsa_exception_fp_ieee_underflow 0
		.amdhsa_exception_fp_ieee_inexact 0
		.amdhsa_exception_int_div_zero 0
	.end_amdhsa_kernel
	.section	.text._ZN2at6native12_GLOBAL__N_128vectorized_layer_norm_kernelIffLb1EEEviT0_PKT_S6_S6_PS3_S7_PS4_,"axG",@progbits,_ZN2at6native12_GLOBAL__N_128vectorized_layer_norm_kernelIffLb1EEEviT0_PKT_S6_S6_PS3_S7_PS4_,comdat
.Lfunc_end15:
	.size	_ZN2at6native12_GLOBAL__N_128vectorized_layer_norm_kernelIffLb1EEEviT0_PKT_S6_S6_PS3_S7_PS4_, .Lfunc_end15-_ZN2at6native12_GLOBAL__N_128vectorized_layer_norm_kernelIffLb1EEEviT0_PKT_S6_S6_PS3_S7_PS4_
                                        ; -- End function
	.set _ZN2at6native12_GLOBAL__N_128vectorized_layer_norm_kernelIffLb1EEEviT0_PKT_S6_S6_PS3_S7_PS4_.num_vgpr, 18
	.set _ZN2at6native12_GLOBAL__N_128vectorized_layer_norm_kernelIffLb1EEEviT0_PKT_S6_S6_PS3_S7_PS4_.num_agpr, 0
	.set _ZN2at6native12_GLOBAL__N_128vectorized_layer_norm_kernelIffLb1EEEviT0_PKT_S6_S6_PS3_S7_PS4_.numbered_sgpr, 22
	.set _ZN2at6native12_GLOBAL__N_128vectorized_layer_norm_kernelIffLb1EEEviT0_PKT_S6_S6_PS3_S7_PS4_.num_named_barrier, 0
	.set _ZN2at6native12_GLOBAL__N_128vectorized_layer_norm_kernelIffLb1EEEviT0_PKT_S6_S6_PS3_S7_PS4_.private_seg_size, 0
	.set _ZN2at6native12_GLOBAL__N_128vectorized_layer_norm_kernelIffLb1EEEviT0_PKT_S6_S6_PS3_S7_PS4_.uses_vcc, 1
	.set _ZN2at6native12_GLOBAL__N_128vectorized_layer_norm_kernelIffLb1EEEviT0_PKT_S6_S6_PS3_S7_PS4_.uses_flat_scratch, 0
	.set _ZN2at6native12_GLOBAL__N_128vectorized_layer_norm_kernelIffLb1EEEviT0_PKT_S6_S6_PS3_S7_PS4_.has_dyn_sized_stack, 0
	.set _ZN2at6native12_GLOBAL__N_128vectorized_layer_norm_kernelIffLb1EEEviT0_PKT_S6_S6_PS3_S7_PS4_.has_recursion, 0
	.set _ZN2at6native12_GLOBAL__N_128vectorized_layer_norm_kernelIffLb1EEEviT0_PKT_S6_S6_PS3_S7_PS4_.has_indirect_call, 0
	.section	.AMDGPU.csdata,"",@progbits
; Kernel info:
; codeLenInByte = 1468
; TotalNumSgprs: 24
; NumVgprs: 18
; ScratchSize: 0
; MemoryBound: 0
; FloatMode: 240
; IeeeMode: 1
; LDSByteSize: 0 bytes/workgroup (compile time only)
; SGPRBlocks: 0
; VGPRBlocks: 2
; NumSGPRsForWavesPerEU: 24
; NumVGPRsForWavesPerEU: 18
; Occupancy: 16
; WaveLimiterHint : 0
; COMPUTE_PGM_RSRC2:SCRATCH_EN: 0
; COMPUTE_PGM_RSRC2:USER_SGPR: 6
; COMPUTE_PGM_RSRC2:TRAP_HANDLER: 0
; COMPUTE_PGM_RSRC2:TGID_X_EN: 1
; COMPUTE_PGM_RSRC2:TGID_Y_EN: 0
; COMPUTE_PGM_RSRC2:TGID_Z_EN: 0
; COMPUTE_PGM_RSRC2:TIDIG_COMP_CNT: 1
	.section	.text._ZN2at6native12_GLOBAL__N_124RowwiseMomentsCUDAKernelIffLb1EEEvlT0_PKT_PS3_S7_,"axG",@progbits,_ZN2at6native12_GLOBAL__N_124RowwiseMomentsCUDAKernelIffLb1EEEvlT0_PKT_PS3_S7_,comdat
	.globl	_ZN2at6native12_GLOBAL__N_124RowwiseMomentsCUDAKernelIffLb1EEEvlT0_PKT_PS3_S7_ ; -- Begin function _ZN2at6native12_GLOBAL__N_124RowwiseMomentsCUDAKernelIffLb1EEEvlT0_PKT_PS3_S7_
	.p2align	8
	.type	_ZN2at6native12_GLOBAL__N_124RowwiseMomentsCUDAKernelIffLb1EEEvlT0_PKT_PS3_S7_,@function
_ZN2at6native12_GLOBAL__N_124RowwiseMomentsCUDAKernelIffLb1EEEvlT0_PKT_PS3_S7_: ; @_ZN2at6native12_GLOBAL__N_124RowwiseMomentsCUDAKernelIffLb1EEEvlT0_PKT_PS3_S7_
; %bb.0:
	s_load_dwordx2 s[2:3], s[4:5], 0x0
	v_mov_b32_e32 v1, 0
	v_mov_b32_e32 v2, 0
	;; [unrolled: 1-line block ×3, first 2 shown]
	s_mov_b32 s7, 0
	s_mov_b32 s1, exec_lo
	v_mov_b32_e32 v8, v1
	v_mov_b32_e32 v9, v1
	s_waitcnt lgkmcnt(0)
	v_cmpx_gt_i64_e64 s[2:3], v[0:1]
	s_cbranch_execz .LBB16_4
; %bb.1:
	s_clause 0x1
	s_load_dword s0, s[4:5], 0x34
	s_load_dwordx2 s[8:9], s[4:5], 0x10
	s_mul_i32 s11, s3, s6
	s_mul_hi_u32 s12, s2, s6
	s_mul_i32 s10, s2, s6
	s_add_i32 s11, s12, s11
	v_lshlrev_b32_e32 v2, 2, v0
	s_lshl_b64 s[12:13], s[10:11], 2
	v_mov_b32_e32 v5, v1
	v_mov_b32_e32 v8, 0
	v_mov_b32_e32 v4, v0
	v_mov_b32_e32 v9, 0
	s_waitcnt lgkmcnt(0)
	s_and_b32 s10, s0, 0xffff
	s_add_u32 s0, s8, s12
	s_addc_u32 s8, s9, s13
	v_add_co_u32 v6, s0, s0, v2
	v_add_co_ci_u32_e64 v7, null, s8, 0, s0
	s_lshl_b32 s11, s10, 2
	s_mov_b64 s[8:9], 0
	s_mov_b32 s12, s7
.LBB16_2:                               ; =>This Inner Loop Header: Depth=1
	global_load_dword v2, v[6:7], off
	s_add_u32 s8, s8, 1
	s_addc_u32 s9, s9, 0
	s_flbit_i32_b32 s0, s9
	s_min_u32 s0, s0, 32
	s_lshl_b64 s[14:15], s[8:9], s0
	s_sub_i32 s0, 32, s0
	s_min_u32 s13, s14, 1
	s_or_b32 s13, s15, s13
	v_cvt_f32_u32_e32 v1, s13
	v_ldexp_f32 v1, v1, s0
	s_waitcnt vmcnt(0)
	v_sub_f32_e32 v10, v2, v9
	v_div_scale_f32 v3, null, v1, v1, v10
	v_div_scale_f32 v13, vcc_lo, v10, v1, v10
	v_rcp_f32_e32 v11, v3
	v_fma_f32 v12, -v3, v11, 1.0
	v_fmac_f32_e32 v11, v12, v11
	v_mul_f32_e32 v12, v13, v11
	v_fma_f32 v14, -v3, v12, v13
	v_fmac_f32_e32 v12, v14, v11
	v_fma_f32 v3, -v3, v12, v13
	v_div_fmas_f32 v3, v3, v11, v12
	v_add_co_u32 v4, vcc_lo, v4, s10
	v_add_co_ci_u32_e64 v5, null, 0, v5, vcc_lo
	v_div_fixup_f32 v3, v3, v1, v10
	v_add_co_u32 v6, vcc_lo, v6, s11
	v_cmp_le_i64_e64 s0, s[2:3], v[4:5]
	v_add_co_ci_u32_e64 v7, null, 0, v7, vcc_lo
	v_add_f32_e32 v9, v9, v3
	s_or_b32 s12, s0, s12
	v_sub_f32_e32 v11, v2, v9
	v_mov_b32_e32 v2, s8
	v_mov_b32_e32 v3, s9
	v_fmac_f32_e32 v8, v10, v11
	s_andn2_b32 exec_lo, exec_lo, s12
	s_cbranch_execnz .LBB16_2
; %bb.3:
	s_or_b32 exec_lo, exec_lo, s12
.LBB16_4:
	s_or_b32 exec_lo, exec_lo, s1
	v_mbcnt_lo_u32_b32 v11, -1, 0
	s_mov_b32 s0, exec_lo
	v_lshl_or_b32 v7, v11, 2, 64
	ds_bpermute_b32 v12, v7, v9
	ds_bpermute_b32 v6, v7, v8
	;; [unrolled: 1-line block ×5, first 2 shown]
	v_cmpx_neq_f32_e32 0, v1
	s_cbranch_execz .LBB16_8
; %bb.5:
	s_mov_b32 s1, exec_lo
	s_waitcnt lgkmcnt(0)
	v_cmpx_neq_f32_e32 0, v14
	s_cbranch_execz .LBB16_7
; %bb.6:
	v_add_f32_e32 v4, v1, v14
	v_add_f32_e32 v8, v8, v6
	v_div_scale_f32 v2, null, v4, v4, v14
	v_div_scale_f32 v10, vcc_lo, v14, v4, v14
	v_rcp_f32_e32 v3, v2
	v_fma_f32 v5, -v2, v3, 1.0
	v_fmac_f32_e32 v3, v5, v3
	v_mul_f32_e32 v5, v10, v3
	v_fma_f32 v13, -v2, v5, v10
	v_fmac_f32_e32 v5, v13, v3
	v_fma_f32 v2, -v2, v5, v10
	v_sub_f32_e32 v10, v12, v9
	v_div_fmas_f32 v2, v2, v3, v5
	v_mul_f32_e32 v3, v10, v10
	v_div_fixup_f32 v5, v2, v4, v14
	v_mul_f32_e32 v1, v1, v3
	v_mov_b32_e32 v2, -1
	v_mov_b32_e32 v3, -1
	v_fmac_f32_e32 v9, v10, v5
	v_fmac_f32_e32 v8, v1, v5
	v_mov_b32_e32 v1, v4
.LBB16_7:
	s_or_b32 exec_lo, exec_lo, s1
	v_mov_b32_e32 v5, v3
	v_mov_b32_e32 v14, v1
	;; [unrolled: 1-line block ×5, first 2 shown]
.LBB16_8:
	s_or_b32 exec_lo, exec_lo, s0
	v_cmp_gt_u32_e32 vcc_lo, 24, v11
	s_mov_b32 s0, exec_lo
	v_cndmask_b32_e64 v1, 0, 8, vcc_lo
	v_add_lshl_u32 v8, v1, v11, 2
	s_waitcnt lgkmcnt(4)
	ds_bpermute_b32 v13, v8, v12
	s_waitcnt lgkmcnt(4)
	ds_bpermute_b32 v10, v8, v6
	;; [unrolled: 2-line block ×5, first 2 shown]
	v_cmpx_neq_f32_e32 0, v14
	s_cbranch_execz .LBB16_12
; %bb.9:
	s_mov_b32 s1, exec_lo
	s_waitcnt lgkmcnt(0)
	v_cmpx_neq_f32_e32 0, v15
	s_cbranch_execz .LBB16_11
; %bb.10:
	v_add_f32_e32 v1, v14, v15
	v_add_f32_e32 v6, v6, v10
	v_div_scale_f32 v2, null, v1, v1, v15
	v_div_scale_f32 v5, vcc_lo, v15, v1, v15
	v_rcp_f32_e32 v3, v2
	v_fma_f32 v4, -v2, v3, 1.0
	v_fmac_f32_e32 v3, v4, v3
	v_mul_f32_e32 v4, v5, v3
	v_fma_f32 v9, -v2, v4, v5
	v_fmac_f32_e32 v4, v9, v3
	v_sub_f32_e32 v9, v13, v12
	v_fma_f32 v2, -v2, v4, v5
	v_div_fmas_f32 v2, v2, v3, v4
	v_mul_f32_e32 v3, v9, v9
	v_mov_b32_e32 v4, -1
	v_mov_b32_e32 v5, -1
	v_div_fixup_f32 v2, v2, v1, v15
	v_mul_f32_e32 v3, v14, v3
	v_mov_b32_e32 v14, v1
	v_fmac_f32_e32 v12, v9, v2
	v_fmac_f32_e32 v6, v3, v2
.LBB16_11:
	s_or_b32 exec_lo, exec_lo, s1
	v_mov_b32_e32 v1, v4
	v_mov_b32_e32 v15, v14
	;; [unrolled: 1-line block ×5, first 2 shown]
.LBB16_12:
	s_or_b32 exec_lo, exec_lo, s0
	v_cmp_gt_u32_e32 vcc_lo, 28, v11
	s_mov_b32 s0, exec_lo
	v_cndmask_b32_e64 v3, 0, 4, vcc_lo
	v_add_lshl_u32 v9, v3, v11, 2
	s_waitcnt lgkmcnt(4)
	ds_bpermute_b32 v14, v9, v13
	s_waitcnt lgkmcnt(4)
	ds_bpermute_b32 v12, v9, v10
	;; [unrolled: 2-line block ×5, first 2 shown]
	v_cmpx_neq_f32_e32 0, v15
	s_cbranch_execz .LBB16_16
; %bb.13:
	s_mov_b32 s1, exec_lo
	s_waitcnt lgkmcnt(0)
	v_cmpx_neq_f32_e32 0, v16
	s_cbranch_execz .LBB16_15
; %bb.14:
	v_add_f32_e32 v3, v15, v16
	v_add_f32_e32 v10, v10, v12
	v_div_scale_f32 v1, null, v3, v3, v16
	v_div_scale_f32 v5, vcc_lo, v16, v3, v16
	v_rcp_f32_e32 v2, v1
	v_fma_f32 v4, -v1, v2, 1.0
	v_fmac_f32_e32 v2, v4, v2
	v_mul_f32_e32 v4, v5, v2
	v_fma_f32 v6, -v1, v4, v5
	v_fmac_f32_e32 v4, v6, v2
	v_fma_f32 v1, -v1, v4, v5
	v_sub_f32_e32 v5, v14, v13
	v_div_fmas_f32 v1, v1, v2, v4
	v_mul_f32_e32 v2, v5, v5
	v_div_fixup_f32 v4, v1, v3, v16
	v_mul_f32_e32 v6, v15, v2
	v_mov_b32_e32 v1, -1
	v_mov_b32_e32 v2, -1
	v_mov_b32_e32 v15, v3
	v_fmac_f32_e32 v13, v5, v4
	v_fmac_f32_e32 v10, v6, v4
.LBB16_15:
	s_or_b32 exec_lo, exec_lo, s1
	v_mov_b32_e32 v4, v2
	v_mov_b32_e32 v16, v15
	;; [unrolled: 1-line block ×5, first 2 shown]
.LBB16_16:
	s_or_b32 exec_lo, exec_lo, s0
	v_cmp_gt_u32_e32 vcc_lo, 30, v11
	s_mov_b32 s0, exec_lo
	v_cndmask_b32_e64 v1, 0, 2, vcc_lo
	v_add_lshl_u32 v10, v1, v11, 2
	s_waitcnt lgkmcnt(4)
	ds_bpermute_b32 v15, v10, v14
	s_waitcnt lgkmcnt(4)
	ds_bpermute_b32 v13, v10, v12
	;; [unrolled: 2-line block ×5, first 2 shown]
	v_cmpx_neq_f32_e32 0, v16
	s_cbranch_execz .LBB16_20
; %bb.17:
	s_mov_b32 s1, exec_lo
	s_waitcnt lgkmcnt(0)
	v_cmpx_neq_f32_e32 0, v17
	s_cbranch_execz .LBB16_19
; %bb.18:
	v_add_f32_e32 v1, v16, v17
	v_add_f32_e32 v12, v12, v13
	v_div_scale_f32 v2, null, v1, v1, v17
	v_div_scale_f32 v5, vcc_lo, v17, v1, v17
	v_rcp_f32_e32 v3, v2
	v_fma_f32 v4, -v2, v3, 1.0
	v_fmac_f32_e32 v3, v4, v3
	v_mul_f32_e32 v4, v5, v3
	v_fma_f32 v6, -v2, v4, v5
	v_fmac_f32_e32 v4, v6, v3
	v_fma_f32 v2, -v2, v4, v5
	v_sub_f32_e32 v5, v15, v14
	v_div_fmas_f32 v2, v2, v3, v4
	v_mul_f32_e32 v3, v5, v5
	v_div_fixup_f32 v2, v2, v1, v17
	v_mul_f32_e32 v6, v16, v3
	v_mov_b32_e32 v3, -1
	v_mov_b32_e32 v4, -1
	v_mov_b32_e32 v16, v1
	v_fmac_f32_e32 v14, v5, v2
	v_fmac_f32_e32 v12, v6, v2
.LBB16_19:
	s_or_b32 exec_lo, exec_lo, s1
	v_mov_b32_e32 v6, v4
	v_mov_b32_e32 v17, v16
	;; [unrolled: 1-line block ×5, first 2 shown]
.LBB16_20:
	s_or_b32 exec_lo, exec_lo, s0
	v_cmp_ne_u32_e32 vcc_lo, 31, v11
	s_mov_b32 s0, exec_lo
	v_add_co_ci_u32_e64 v1, null, 0, v11, vcc_lo
	v_lshlrev_b32_e32 v11, 2, v1
	s_waitcnt lgkmcnt(4)
	ds_bpermute_b32 v1, v11, v15
	s_waitcnt lgkmcnt(4)
	ds_bpermute_b32 v2, v11, v13
	s_waitcnt lgkmcnt(4)
	ds_bpermute_b32 v3, v11, v5
	s_waitcnt lgkmcnt(4)
	ds_bpermute_b32 v4, v11, v6
	s_waitcnt lgkmcnt(4)
	ds_bpermute_b32 v12, v11, v17
	v_cmpx_neq_f32_e32 0, v17
	s_cbranch_execz .LBB16_24
; %bb.21:
	s_mov_b32 s1, exec_lo
	s_waitcnt lgkmcnt(0)
	v_cmpx_neq_f32_e32 0, v12
	s_cbranch_execz .LBB16_23
; %bb.22:
	v_add_f32_e32 v3, v17, v12
	v_sub_f32_e32 v1, v1, v15
	v_add_f32_e32 v13, v13, v2
	v_div_scale_f32 v4, null, v3, v3, v12
	v_div_scale_f32 v14, vcc_lo, v12, v3, v12
	v_rcp_f32_e32 v5, v4
	v_fma_f32 v6, -v4, v5, 1.0
	v_fmac_f32_e32 v5, v6, v5
	v_mul_f32_e32 v6, v14, v5
	v_fma_f32 v16, -v4, v6, v14
	v_fmac_f32_e32 v6, v16, v5
	v_fma_f32 v4, -v4, v6, v14
	v_div_fmas_f32 v4, v4, v5, v6
	v_mul_f32_e32 v5, v1, v1
	v_div_fixup_f32 v2, v4, v3, v12
	v_mul_f32_e32 v4, v17, v5
	v_mov_b32_e32 v5, -1
	v_mov_b32_e32 v6, -1
	v_mov_b32_e32 v17, v3
	v_fmac_f32_e32 v15, v1, v2
	v_fmac_f32_e32 v13, v4, v2
.LBB16_23:
	s_or_b32 exec_lo, exec_lo, s1
	v_mov_b32_e32 v3, v5
	v_mov_b32_e32 v12, v17
	;; [unrolled: 1-line block ×5, first 2 shown]
.LBB16_24:
	s_or_b32 exec_lo, exec_lo, s0
	v_and_b32_e32 v5, 31, v0
	s_mov_b32 s0, exec_lo
	s_waitcnt lgkmcnt(0)
	s_barrier
	buffer_gl0_inv
	v_cmpx_eq_u32_e32 0, v5
	s_cbranch_execz .LBB16_26
; %bb.25:
	v_lshrrev_b32_e32 v6, 5, v0
	v_mul_u32_u24_e32 v6, 24, v6
	ds_write2_b64 v6, v[1:2], v[3:4] offset1:1
	ds_write_b32 v6, v12 offset:16
.LBB16_26:
	s_or_b32 exec_lo, exec_lo, s0
	s_waitcnt lgkmcnt(0)
	s_barrier
	buffer_gl0_inv
	s_load_dword s0, s[4:5], 0x34
	v_mul_u32_u24_e32 v4, 24, v5
	v_mov_b32_e32 v1, 0
	v_mov_b32_e32 v2, 0
	s_waitcnt lgkmcnt(0)
	s_bfe_u32 s0, s0, 0xb0005
	v_cmp_gt_u32_e32 vcc_lo, s0, v0
	s_and_saveexec_b32 s0, vcc_lo
	s_cbranch_execnz .LBB16_55
; %bb.27:
	s_or_b32 exec_lo, exec_lo, s0
	s_and_saveexec_b32 s0, vcc_lo
	s_cbranch_execnz .LBB16_56
.LBB16_28:
	s_or_b32 exec_lo, exec_lo, s0
	v_mov_b32_e32 v3, 0
	s_and_saveexec_b32 s0, vcc_lo
.LBB16_29:
	ds_read_b32 v3, v4 offset:16
.LBB16_30:
	s_or_b32 exec_lo, exec_lo, s0
	s_mov_b32 s0, exec_lo
	v_cmpx_gt_u32_e32 32, v0
	s_cbranch_execz .LBB16_52
; %bb.31:
	s_waitcnt lgkmcnt(0)
	ds_bpermute_b32 v6, v7, v2
	ds_bpermute_b32 v4, v7, v1
	;; [unrolled: 1-line block ×3, first 2 shown]
	s_mov_b32 s1, exec_lo
	v_cmpx_neq_f32_e32 0, v3
	s_cbranch_execz .LBB16_35
; %bb.32:
	s_mov_b32 s2, exec_lo
	s_waitcnt lgkmcnt(0)
	v_cmpx_neq_f32_e32 0, v5
	s_cbranch_execz .LBB16_34
; %bb.33:
	v_add_f32_e32 v7, v3, v5
	v_sub_f32_e32 v6, v6, v2
	v_add_f32_e32 v1, v1, v4
	v_div_scale_f32 v12, null, v7, v7, v5
	v_div_scale_f32 v15, vcc_lo, v5, v7, v5
	v_rcp_f32_e32 v13, v12
	v_fma_f32 v14, -v12, v13, 1.0
	v_fmac_f32_e32 v13, v14, v13
	v_mul_f32_e32 v14, v15, v13
	v_fma_f32 v16, -v12, v14, v15
	v_fmac_f32_e32 v14, v16, v13
	v_fma_f32 v12, -v12, v14, v15
	v_div_fmas_f32 v12, v12, v13, v14
	v_mul_f32_e32 v13, v6, v6
	v_div_fixup_f32 v4, v12, v7, v5
	v_mul_f32_e32 v3, v3, v13
	v_fmac_f32_e32 v2, v6, v4
	v_fmac_f32_e32 v1, v3, v4
	v_mov_b32_e32 v3, v7
.LBB16_34:
	s_or_b32 exec_lo, exec_lo, s2
	v_mov_b32_e32 v5, v3
	v_mov_b32_e32 v4, v1
	;; [unrolled: 1-line block ×3, first 2 shown]
.LBB16_35:
	s_or_b32 exec_lo, exec_lo, s1
	s_waitcnt lgkmcnt(2)
	ds_bpermute_b32 v7, v8, v6
	s_waitcnt lgkmcnt(2)
	ds_bpermute_b32 v1, v8, v4
	;; [unrolled: 2-line block ×3, first 2 shown]
	s_mov_b32 s1, exec_lo
	v_cmpx_neq_f32_e32 0, v5
	s_cbranch_execz .LBB16_39
; %bb.36:
	s_mov_b32 s2, exec_lo
	s_waitcnt lgkmcnt(0)
	v_cmpx_neq_f32_e32 0, v3
	s_cbranch_execz .LBB16_38
; %bb.37:
	v_add_f32_e32 v2, v5, v3
	v_sub_f32_e32 v7, v7, v6
	v_add_f32_e32 v4, v4, v1
	v_div_scale_f32 v8, null, v2, v2, v3
	v_div_scale_f32 v14, vcc_lo, v3, v2, v3
	v_rcp_f32_e32 v12, v8
	v_fma_f32 v13, -v8, v12, 1.0
	v_fmac_f32_e32 v12, v13, v12
	v_mul_f32_e32 v13, v14, v12
	v_fma_f32 v15, -v8, v13, v14
	v_fmac_f32_e32 v13, v15, v12
	v_fma_f32 v8, -v8, v13, v14
	v_div_fmas_f32 v8, v8, v12, v13
	v_mul_f32_e32 v12, v7, v7
	v_div_fixup_f32 v1, v8, v2, v3
	v_mul_f32_e32 v3, v5, v12
	v_mov_b32_e32 v5, v2
	v_fmac_f32_e32 v6, v7, v1
	v_fmac_f32_e32 v4, v3, v1
.LBB16_38:
	s_or_b32 exec_lo, exec_lo, s2
	v_mov_b32_e32 v3, v5
	v_mov_b32_e32 v1, v4
	;; [unrolled: 1-line block ×3, first 2 shown]
.LBB16_39:
	s_or_b32 exec_lo, exec_lo, s1
	s_waitcnt lgkmcnt(2)
	ds_bpermute_b32 v8, v9, v7
	s_waitcnt lgkmcnt(2)
	ds_bpermute_b32 v2, v9, v1
	;; [unrolled: 2-line block ×3, first 2 shown]
	s_mov_b32 s1, exec_lo
	v_cmpx_neq_f32_e32 0, v3
	s_cbranch_execz .LBB16_43
; %bb.40:
	s_mov_b32 s2, exec_lo
	s_waitcnt lgkmcnt(0)
	v_cmpx_neq_f32_e32 0, v6
	s_cbranch_execz .LBB16_42
; %bb.41:
	v_add_f32_e32 v4, v3, v6
	v_sub_f32_e32 v8, v8, v7
	v_add_f32_e32 v1, v1, v2
	v_div_scale_f32 v5, null, v4, v4, v6
	v_div_scale_f32 v13, vcc_lo, v6, v4, v6
	v_rcp_f32_e32 v9, v5
	v_fma_f32 v12, -v5, v9, 1.0
	v_fmac_f32_e32 v9, v12, v9
	v_mul_f32_e32 v12, v13, v9
	v_fma_f32 v14, -v5, v12, v13
	v_fmac_f32_e32 v12, v14, v9
	v_fma_f32 v5, -v5, v12, v13
	v_div_fmas_f32 v5, v5, v9, v12
	v_mul_f32_e32 v9, v8, v8
	v_div_fixup_f32 v2, v5, v4, v6
	v_mul_f32_e32 v3, v3, v9
	v_fmac_f32_e32 v7, v8, v2
	v_fmac_f32_e32 v1, v3, v2
	v_mov_b32_e32 v3, v4
.LBB16_42:
	s_or_b32 exec_lo, exec_lo, s2
	v_mov_b32_e32 v6, v3
	v_mov_b32_e32 v2, v1
	v_mov_b32_e32 v8, v7
.LBB16_43:
	s_or_b32 exec_lo, exec_lo, s1
	s_waitcnt lgkmcnt(2)
	ds_bpermute_b32 v7, v10, v8
	s_waitcnt lgkmcnt(2)
	ds_bpermute_b32 v4, v10, v2
	;; [unrolled: 2-line block ×3, first 2 shown]
	s_mov_b32 s1, exec_lo
	v_cmpx_neq_f32_e32 0, v6
	s_cbranch_execz .LBB16_47
; %bb.44:
	s_mov_b32 s2, exec_lo
	s_waitcnt lgkmcnt(0)
	v_cmpx_neq_f32_e32 0, v5
	s_cbranch_execz .LBB16_46
; %bb.45:
	v_add_f32_e32 v1, v6, v5
	v_sub_f32_e32 v7, v7, v8
	v_add_f32_e32 v2, v2, v4
	v_div_scale_f32 v3, null, v1, v1, v5
	v_div_scale_f32 v12, vcc_lo, v5, v1, v5
	v_rcp_f32_e32 v9, v3
	v_fma_f32 v10, -v3, v9, 1.0
	v_fmac_f32_e32 v9, v10, v9
	v_mul_f32_e32 v10, v12, v9
	v_fma_f32 v13, -v3, v10, v12
	v_fmac_f32_e32 v10, v13, v9
	v_fma_f32 v3, -v3, v10, v12
	v_div_fmas_f32 v3, v3, v9, v10
	v_mul_f32_e32 v9, v7, v7
	v_div_fixup_f32 v3, v3, v1, v5
	v_mul_f32_e32 v4, v6, v9
	v_mov_b32_e32 v6, v1
	v_fmac_f32_e32 v8, v7, v3
	v_fmac_f32_e32 v2, v4, v3
.LBB16_46:
	s_or_b32 exec_lo, exec_lo, s2
	v_mov_b32_e32 v5, v6
	v_mov_b32_e32 v4, v2
	;; [unrolled: 1-line block ×3, first 2 shown]
.LBB16_47:
	s_or_b32 exec_lo, exec_lo, s1
	s_waitcnt lgkmcnt(2)
	ds_bpermute_b32 v2, v11, v7
	s_waitcnt lgkmcnt(2)
	ds_bpermute_b32 v1, v11, v4
	;; [unrolled: 2-line block ×3, first 2 shown]
	s_mov_b32 s1, exec_lo
	v_cmpx_neq_f32_e32 0, v5
	s_cbranch_execz .LBB16_51
; %bb.48:
	s_mov_b32 s2, exec_lo
	s_waitcnt lgkmcnt(0)
	v_cmpx_neq_f32_e32 0, v3
	s_cbranch_execz .LBB16_50
; %bb.49:
	v_add_f32_e32 v6, v5, v3
	v_sub_f32_e32 v2, v2, v7
	v_add_f32_e32 v4, v4, v1
	v_div_scale_f32 v8, null, v6, v6, v3
	v_div_scale_f32 v11, vcc_lo, v3, v6, v3
	v_rcp_f32_e32 v9, v8
	v_fma_f32 v10, -v8, v9, 1.0
	v_fmac_f32_e32 v9, v10, v9
	v_mul_f32_e32 v10, v11, v9
	v_fma_f32 v12, -v8, v10, v11
	v_fmac_f32_e32 v10, v12, v9
	v_fma_f32 v8, -v8, v10, v11
	v_div_fmas_f32 v8, v8, v9, v10
	v_mul_f32_e32 v9, v2, v2
	v_div_fixup_f32 v1, v8, v6, v3
	v_mul_f32_e32 v3, v5, v9
	v_mov_b32_e32 v5, v6
	v_fmac_f32_e32 v7, v2, v1
	v_fmac_f32_e32 v4, v3, v1
.LBB16_50:
	s_or_b32 exec_lo, exec_lo, s2
	v_mov_b32_e32 v3, v5
	v_mov_b32_e32 v1, v4
	;; [unrolled: 1-line block ×3, first 2 shown]
.LBB16_51:
	s_or_b32 exec_lo, exec_lo, s1
.LBB16_52:
	s_or_b32 exec_lo, exec_lo, s0
	s_mov_b32 s0, exec_lo
	v_cmpx_eq_u32_e32 0, v0
	s_cbranch_execz .LBB16_54
; %bb.53:
	s_waitcnt lgkmcnt(0)
	v_max_f32_e32 v0, v3, v3
	s_clause 0x1
	s_load_dword s2, s[4:5], 0x8
	s_load_dwordx2 s[0:1], s[4:5], 0x20
	v_max_f32_e32 v0, 0, v0
	v_div_scale_f32 v3, null, v0, v0, v1
	v_div_scale_f32 v6, vcc_lo, v1, v0, v1
	v_rcp_f32_e32 v4, v3
	v_fma_f32 v5, -v3, v4, 1.0
	v_fmac_f32_e32 v4, v5, v4
	v_mul_f32_e32 v5, v6, v4
	v_fma_f32 v7, -v3, v5, v6
	v_fmac_f32_e32 v5, v7, v4
	v_fma_f32 v3, -v3, v5, v6
	v_div_fmas_f32 v3, v3, v4, v5
	v_div_fixup_f32 v0, v3, v0, v1
	v_fmac_f32_e32 v0, v2, v2
	s_waitcnt lgkmcnt(0)
	v_add_f32_e32 v0, s2, v0
	s_lshl_b64 s[2:3], s[6:7], 2
	s_add_u32 s0, s0, s2
	s_addc_u32 s1, s1, s3
	v_mul_f32_e32 v1, 0x4b800000, v0
	v_cmp_gt_f32_e32 vcc_lo, 0x800000, v0
	v_cndmask_b32_e32 v0, v0, v1, vcc_lo
	v_rsq_f32_e32 v0, v0
	v_mul_f32_e32 v1, 0x45800000, v0
	v_cndmask_b32_e32 v0, v0, v1, vcc_lo
	v_mov_b32_e32 v1, 0
	global_store_dword v1, v0, s[0:1]
.LBB16_54:
	s_endpgm
.LBB16_55:
	ds_read_b32 v2, v4
	s_or_b32 exec_lo, exec_lo, s0
	s_and_saveexec_b32 s0, vcc_lo
	s_cbranch_execz .LBB16_28
.LBB16_56:
	ds_read_b32 v1, v4 offset:4
	s_or_b32 exec_lo, exec_lo, s0
	v_mov_b32_e32 v3, 0
	s_and_saveexec_b32 s0, vcc_lo
	s_cbranch_execnz .LBB16_29
	s_branch .LBB16_30
	.section	.rodata,"a",@progbits
	.p2align	6, 0x0
	.amdhsa_kernel _ZN2at6native12_GLOBAL__N_124RowwiseMomentsCUDAKernelIffLb1EEEvlT0_PKT_PS3_S7_
		.amdhsa_group_segment_fixed_size 768
		.amdhsa_private_segment_fixed_size 0
		.amdhsa_kernarg_size 296
		.amdhsa_user_sgpr_count 6
		.amdhsa_user_sgpr_private_segment_buffer 1
		.amdhsa_user_sgpr_dispatch_ptr 0
		.amdhsa_user_sgpr_queue_ptr 0
		.amdhsa_user_sgpr_kernarg_segment_ptr 1
		.amdhsa_user_sgpr_dispatch_id 0
		.amdhsa_user_sgpr_flat_scratch_init 0
		.amdhsa_user_sgpr_private_segment_size 0
		.amdhsa_wavefront_size32 1
		.amdhsa_uses_dynamic_stack 0
		.amdhsa_system_sgpr_private_segment_wavefront_offset 0
		.amdhsa_system_sgpr_workgroup_id_x 1
		.amdhsa_system_sgpr_workgroup_id_y 0
		.amdhsa_system_sgpr_workgroup_id_z 0
		.amdhsa_system_sgpr_workgroup_info 0
		.amdhsa_system_vgpr_workitem_id 0
		.amdhsa_next_free_vgpr 18
		.amdhsa_next_free_sgpr 16
		.amdhsa_reserve_vcc 1
		.amdhsa_reserve_flat_scratch 0
		.amdhsa_float_round_mode_32 0
		.amdhsa_float_round_mode_16_64 0
		.amdhsa_float_denorm_mode_32 3
		.amdhsa_float_denorm_mode_16_64 3
		.amdhsa_dx10_clamp 1
		.amdhsa_ieee_mode 1
		.amdhsa_fp16_overflow 0
		.amdhsa_workgroup_processor_mode 1
		.amdhsa_memory_ordered 1
		.amdhsa_forward_progress 1
		.amdhsa_shared_vgpr_count 0
		.amdhsa_exception_fp_ieee_invalid_op 0
		.amdhsa_exception_fp_denorm_src 0
		.amdhsa_exception_fp_ieee_div_zero 0
		.amdhsa_exception_fp_ieee_overflow 0
		.amdhsa_exception_fp_ieee_underflow 0
		.amdhsa_exception_fp_ieee_inexact 0
		.amdhsa_exception_int_div_zero 0
	.end_amdhsa_kernel
	.section	.text._ZN2at6native12_GLOBAL__N_124RowwiseMomentsCUDAKernelIffLb1EEEvlT0_PKT_PS3_S7_,"axG",@progbits,_ZN2at6native12_GLOBAL__N_124RowwiseMomentsCUDAKernelIffLb1EEEvlT0_PKT_PS3_S7_,comdat
.Lfunc_end16:
	.size	_ZN2at6native12_GLOBAL__N_124RowwiseMomentsCUDAKernelIffLb1EEEvlT0_PKT_PS3_S7_, .Lfunc_end16-_ZN2at6native12_GLOBAL__N_124RowwiseMomentsCUDAKernelIffLb1EEEvlT0_PKT_PS3_S7_
                                        ; -- End function
	.set _ZN2at6native12_GLOBAL__N_124RowwiseMomentsCUDAKernelIffLb1EEEvlT0_PKT_PS3_S7_.num_vgpr, 18
	.set _ZN2at6native12_GLOBAL__N_124RowwiseMomentsCUDAKernelIffLb1EEEvlT0_PKT_PS3_S7_.num_agpr, 0
	.set _ZN2at6native12_GLOBAL__N_124RowwiseMomentsCUDAKernelIffLb1EEEvlT0_PKT_PS3_S7_.numbered_sgpr, 16
	.set _ZN2at6native12_GLOBAL__N_124RowwiseMomentsCUDAKernelIffLb1EEEvlT0_PKT_PS3_S7_.num_named_barrier, 0
	.set _ZN2at6native12_GLOBAL__N_124RowwiseMomentsCUDAKernelIffLb1EEEvlT0_PKT_PS3_S7_.private_seg_size, 0
	.set _ZN2at6native12_GLOBAL__N_124RowwiseMomentsCUDAKernelIffLb1EEEvlT0_PKT_PS3_S7_.uses_vcc, 1
	.set _ZN2at6native12_GLOBAL__N_124RowwiseMomentsCUDAKernelIffLb1EEEvlT0_PKT_PS3_S7_.uses_flat_scratch, 0
	.set _ZN2at6native12_GLOBAL__N_124RowwiseMomentsCUDAKernelIffLb1EEEvlT0_PKT_PS3_S7_.has_dyn_sized_stack, 0
	.set _ZN2at6native12_GLOBAL__N_124RowwiseMomentsCUDAKernelIffLb1EEEvlT0_PKT_PS3_S7_.has_recursion, 0
	.set _ZN2at6native12_GLOBAL__N_124RowwiseMomentsCUDAKernelIffLb1EEEvlT0_PKT_PS3_S7_.has_indirect_call, 0
	.section	.AMDGPU.csdata,"",@progbits
; Kernel info:
; codeLenInByte = 2928
; TotalNumSgprs: 18
; NumVgprs: 18
; ScratchSize: 0
; MemoryBound: 0
; FloatMode: 240
; IeeeMode: 1
; LDSByteSize: 768 bytes/workgroup (compile time only)
; SGPRBlocks: 0
; VGPRBlocks: 2
; NumSGPRsForWavesPerEU: 18
; NumVGPRsForWavesPerEU: 18
; Occupancy: 16
; WaveLimiterHint : 0
; COMPUTE_PGM_RSRC2:SCRATCH_EN: 0
; COMPUTE_PGM_RSRC2:USER_SGPR: 6
; COMPUTE_PGM_RSRC2:TRAP_HANDLER: 0
; COMPUTE_PGM_RSRC2:TGID_X_EN: 1
; COMPUTE_PGM_RSRC2:TGID_Y_EN: 0
; COMPUTE_PGM_RSRC2:TGID_Z_EN: 0
; COMPUTE_PGM_RSRC2:TIDIG_COMP_CNT: 0
	.section	.text._ZN2at6native12_GLOBAL__N_126LayerNormForwardCUDAKernelIffLb1EEEvlPKT_PKT0_S8_S5_S5_PS3_,"axG",@progbits,_ZN2at6native12_GLOBAL__N_126LayerNormForwardCUDAKernelIffLb1EEEvlPKT_PKT0_S8_S5_S5_PS3_,comdat
	.globl	_ZN2at6native12_GLOBAL__N_126LayerNormForwardCUDAKernelIffLb1EEEvlPKT_PKT0_S8_S5_S5_PS3_ ; -- Begin function _ZN2at6native12_GLOBAL__N_126LayerNormForwardCUDAKernelIffLb1EEEvlPKT_PKT0_S8_S5_S5_PS3_
	.p2align	8
	.type	_ZN2at6native12_GLOBAL__N_126LayerNormForwardCUDAKernelIffLb1EEEvlPKT_PKT0_S8_S5_S5_PS3_,@function
_ZN2at6native12_GLOBAL__N_126LayerNormForwardCUDAKernelIffLb1EEEvlPKT_PKT0_S8_S5_S5_PS3_: ; @_ZN2at6native12_GLOBAL__N_126LayerNormForwardCUDAKernelIffLb1EEEvlPKT_PKT0_S8_S5_S5_PS3_
; %bb.0:
	s_load_dwordx4 s[8:11], s[4:5], 0x0
	v_mov_b32_e32 v1, 0
	s_mov_b32 s0, exec_lo
	s_waitcnt lgkmcnt(0)
	v_cmpx_gt_i64_e64 s[8:9], v[0:1]
	s_cbranch_execz .LBB17_6
; %bb.1:
	s_clause 0x2
	s_load_dwordx4 s[0:3], s[4:5], 0x18
	s_load_dword s13, s[4:5], 0x44
	s_load_dwordx2 s[14:15], s[4:5], 0x30
	s_mov_b32 s7, 0
	s_mul_i32 s17, s9, s6
	s_mul_hi_u32 s18, s8, s6
	s_mul_i32 s16, s8, s6
	v_mov_b32_e32 v3, v1
	v_lshlrev_b32_e32 v4, 2, v0
	v_mov_b32_e32 v5, v1
	v_mov_b32_e32 v2, v0
	s_waitcnt lgkmcnt(0)
	s_cmp_lg_u64 s[2:3], 0
	s_cselect_b32 s12, -1, 0
	s_lshl_b64 s[4:5], s[6:7], 2
	s_add_u32 s4, s0, s4
	s_addc_u32 s5, s1, s5
	s_add_i32 s17, s18, s17
	s_and_b32 s1, s13, 0xffff
	s_lshl_b64 s[16:17], s[16:17], 2
	s_add_u32 s6, s10, s16
	s_addc_u32 s10, s11, s17
	s_lshl_b32 s11, s1, 2
	s_add_u32 s13, s14, s16
	s_addc_u32 s14, s15, s17
	s_inst_prefetch 0x1
	s_branch .LBB17_4
	.p2align	6
.LBB17_2:                               ;   in Loop: Header=BB17_4 Depth=1
	v_add_co_u32 v6, vcc_lo, s2, v4
	v_add_co_ci_u32_e64 v7, null, s3, v5, vcc_lo
	global_load_dword v0, v[6:7], off
.LBB17_3:                               ;   in Loop: Header=BB17_4 Depth=1
	v_add_co_u32 v6, vcc_lo, s6, v4
	v_add_co_ci_u32_e64 v7, null, s10, v5, vcc_lo
	v_add_co_u32 v2, vcc_lo, v2, s1
	global_load_dword v8, v1, s[4:5]
	global_load_dword v6, v[6:7], off
	v_add_co_ci_u32_e64 v3, null, 0, v3, vcc_lo
	s_waitcnt vmcnt(0)
	v_mul_f32_e32 v8, v6, v8
	v_add_co_u32 v6, vcc_lo, s13, v4
	v_add_co_ci_u32_e64 v7, null, s14, v5, vcc_lo
	v_cmp_le_i64_e32 vcc_lo, s[8:9], v[2:3]
	v_add_co_u32 v4, s0, v4, s11
	v_mul_f32_e32 v0, v0, v8
	v_add_co_ci_u32_e64 v5, null, 0, v5, s0
	s_or_b32 s7, vcc_lo, s7
	global_store_dword v[6:7], v0, off
	s_andn2_b32 exec_lo, exec_lo, s7
	s_cbranch_execz .LBB17_6
.LBB17_4:                               ; =>This Inner Loop Header: Depth=1
	s_andn2_b32 vcc_lo, exec_lo, s12
	s_cbranch_vccz .LBB17_2
; %bb.5:                                ;   in Loop: Header=BB17_4 Depth=1
	v_mov_b32_e32 v0, 1.0
	s_branch .LBB17_3
.LBB17_6:
	s_inst_prefetch 0x2
	s_endpgm
	.section	.rodata,"a",@progbits
	.p2align	6, 0x0
	.amdhsa_kernel _ZN2at6native12_GLOBAL__N_126LayerNormForwardCUDAKernelIffLb1EEEvlPKT_PKT0_S8_S5_S5_PS3_
		.amdhsa_group_segment_fixed_size 0
		.amdhsa_private_segment_fixed_size 0
		.amdhsa_kernarg_size 312
		.amdhsa_user_sgpr_count 6
		.amdhsa_user_sgpr_private_segment_buffer 1
		.amdhsa_user_sgpr_dispatch_ptr 0
		.amdhsa_user_sgpr_queue_ptr 0
		.amdhsa_user_sgpr_kernarg_segment_ptr 1
		.amdhsa_user_sgpr_dispatch_id 0
		.amdhsa_user_sgpr_flat_scratch_init 0
		.amdhsa_user_sgpr_private_segment_size 0
		.amdhsa_wavefront_size32 1
		.amdhsa_uses_dynamic_stack 0
		.amdhsa_system_sgpr_private_segment_wavefront_offset 0
		.amdhsa_system_sgpr_workgroup_id_x 1
		.amdhsa_system_sgpr_workgroup_id_y 0
		.amdhsa_system_sgpr_workgroup_id_z 0
		.amdhsa_system_sgpr_workgroup_info 0
		.amdhsa_system_vgpr_workitem_id 0
		.amdhsa_next_free_vgpr 9
		.amdhsa_next_free_sgpr 19
		.amdhsa_reserve_vcc 1
		.amdhsa_reserve_flat_scratch 0
		.amdhsa_float_round_mode_32 0
		.amdhsa_float_round_mode_16_64 0
		.amdhsa_float_denorm_mode_32 3
		.amdhsa_float_denorm_mode_16_64 3
		.amdhsa_dx10_clamp 1
		.amdhsa_ieee_mode 1
		.amdhsa_fp16_overflow 0
		.amdhsa_workgroup_processor_mode 1
		.amdhsa_memory_ordered 1
		.amdhsa_forward_progress 1
		.amdhsa_shared_vgpr_count 0
		.amdhsa_exception_fp_ieee_invalid_op 0
		.amdhsa_exception_fp_denorm_src 0
		.amdhsa_exception_fp_ieee_div_zero 0
		.amdhsa_exception_fp_ieee_overflow 0
		.amdhsa_exception_fp_ieee_underflow 0
		.amdhsa_exception_fp_ieee_inexact 0
		.amdhsa_exception_int_div_zero 0
	.end_amdhsa_kernel
	.section	.text._ZN2at6native12_GLOBAL__N_126LayerNormForwardCUDAKernelIffLb1EEEvlPKT_PKT0_S8_S5_S5_PS3_,"axG",@progbits,_ZN2at6native12_GLOBAL__N_126LayerNormForwardCUDAKernelIffLb1EEEvlPKT_PKT0_S8_S5_S5_PS3_,comdat
.Lfunc_end17:
	.size	_ZN2at6native12_GLOBAL__N_126LayerNormForwardCUDAKernelIffLb1EEEvlPKT_PKT0_S8_S5_S5_PS3_, .Lfunc_end17-_ZN2at6native12_GLOBAL__N_126LayerNormForwardCUDAKernelIffLb1EEEvlPKT_PKT0_S8_S5_S5_PS3_
                                        ; -- End function
	.set _ZN2at6native12_GLOBAL__N_126LayerNormForwardCUDAKernelIffLb1EEEvlPKT_PKT0_S8_S5_S5_PS3_.num_vgpr, 9
	.set _ZN2at6native12_GLOBAL__N_126LayerNormForwardCUDAKernelIffLb1EEEvlPKT_PKT0_S8_S5_S5_PS3_.num_agpr, 0
	.set _ZN2at6native12_GLOBAL__N_126LayerNormForwardCUDAKernelIffLb1EEEvlPKT_PKT0_S8_S5_S5_PS3_.numbered_sgpr, 19
	.set _ZN2at6native12_GLOBAL__N_126LayerNormForwardCUDAKernelIffLb1EEEvlPKT_PKT0_S8_S5_S5_PS3_.num_named_barrier, 0
	.set _ZN2at6native12_GLOBAL__N_126LayerNormForwardCUDAKernelIffLb1EEEvlPKT_PKT0_S8_S5_S5_PS3_.private_seg_size, 0
	.set _ZN2at6native12_GLOBAL__N_126LayerNormForwardCUDAKernelIffLb1EEEvlPKT_PKT0_S8_S5_S5_PS3_.uses_vcc, 1
	.set _ZN2at6native12_GLOBAL__N_126LayerNormForwardCUDAKernelIffLb1EEEvlPKT_PKT0_S8_S5_S5_PS3_.uses_flat_scratch, 0
	.set _ZN2at6native12_GLOBAL__N_126LayerNormForwardCUDAKernelIffLb1EEEvlPKT_PKT0_S8_S5_S5_PS3_.has_dyn_sized_stack, 0
	.set _ZN2at6native12_GLOBAL__N_126LayerNormForwardCUDAKernelIffLb1EEEvlPKT_PKT0_S8_S5_S5_PS3_.has_recursion, 0
	.set _ZN2at6native12_GLOBAL__N_126LayerNormForwardCUDAKernelIffLb1EEEvlPKT_PKT0_S8_S5_S5_PS3_.has_indirect_call, 0
	.section	.AMDGPU.csdata,"",@progbits
; Kernel info:
; codeLenInByte = 356
; TotalNumSgprs: 21
; NumVgprs: 9
; ScratchSize: 0
; MemoryBound: 0
; FloatMode: 240
; IeeeMode: 1
; LDSByteSize: 0 bytes/workgroup (compile time only)
; SGPRBlocks: 0
; VGPRBlocks: 1
; NumSGPRsForWavesPerEU: 21
; NumVGPRsForWavesPerEU: 9
; Occupancy: 16
; WaveLimiterHint : 0
; COMPUTE_PGM_RSRC2:SCRATCH_EN: 0
; COMPUTE_PGM_RSRC2:USER_SGPR: 6
; COMPUTE_PGM_RSRC2:TRAP_HANDLER: 0
; COMPUTE_PGM_RSRC2:TGID_X_EN: 1
; COMPUTE_PGM_RSRC2:TGID_Y_EN: 0
; COMPUTE_PGM_RSRC2:TGID_Z_EN: 0
; COMPUTE_PGM_RSRC2:TIDIG_COMP_CNT: 0
	.section	.text._ZN2at6native12_GLOBAL__N_128vectorized_layer_norm_kernelIN3c104HalfEfLb1EEEviT0_PKT_S8_S8_PS5_S9_PS6_,"axG",@progbits,_ZN2at6native12_GLOBAL__N_128vectorized_layer_norm_kernelIN3c104HalfEfLb1EEEviT0_PKT_S8_S8_PS5_S9_PS6_,comdat
	.globl	_ZN2at6native12_GLOBAL__N_128vectorized_layer_norm_kernelIN3c104HalfEfLb1EEEviT0_PKT_S8_S8_PS5_S9_PS6_ ; -- Begin function _ZN2at6native12_GLOBAL__N_128vectorized_layer_norm_kernelIN3c104HalfEfLb1EEEviT0_PKT_S8_S8_PS5_S9_PS6_
	.p2align	8
	.type	_ZN2at6native12_GLOBAL__N_128vectorized_layer_norm_kernelIN3c104HalfEfLb1EEEviT0_PKT_S8_S8_PS5_S9_PS6_,@function
_ZN2at6native12_GLOBAL__N_128vectorized_layer_norm_kernelIN3c104HalfEfLb1EEEviT0_PKT_S8_S8_PS5_S9_PS6_: ; @_ZN2at6native12_GLOBAL__N_128vectorized_layer_norm_kernelIN3c104HalfEfLb1EEEviT0_PKT_S8_S8_PS5_S9_PS6_
; %bb.0:
	s_clause 0x1
	s_load_dwordx4 s[8:11], s[4:5], 0x0
	s_load_dword s1, s[4:5], 0x44
	v_mov_b32_e32 v4, 0
	s_mov_b32 s7, 0
	s_waitcnt lgkmcnt(0)
	s_ashr_i32 s0, s8, 31
	s_and_b32 s2, s1, 0xffff
	s_lshr_b32 s12, s0, 30
	v_mul_u32_u24_e32 v2, s2, v1
	v_mad_u32_u24 v7, v1, s2, v0
	s_add_i32 s12, s8, s12
	s_mul_hi_u32 s3, s8, s6
	s_mul_i32 s0, s0, s6
	s_ashr_i32 s20, s12, 2
	s_add_i32 s19, s3, s0
	v_cmp_gt_i32_e64 s0, s20, v7
	v_add_lshl_u32 v8, v2, v0, 3
	s_lshr_b32 s12, s1, 16
	s_mul_i32 s18, s8, s6
	s_mul_i32 s16, s12, s2
	s_and_saveexec_b32 s13, s0
	s_cbranch_execz .LBB18_4
; %bb.1:
	s_lshl_b64 s[2:3], s[18:19], 1
	v_mov_b32_e32 v4, 0
	s_add_u32 s1, s10, s2
	s_addc_u32 s2, s11, s3
	v_add_co_u32 v2, s1, s1, v8
	v_add_co_ci_u32_e64 v3, null, s2, 0, s1
	v_mov_b32_e32 v5, v7
	v_add_co_u32 v2, vcc_lo, v2, 4
	v_add_co_ci_u32_e64 v3, null, 0, v3, vcc_lo
	s_ashr_i32 s17, s16, 31
	s_mov_b32 s14, s7
	s_lshl_b64 s[2:3], s[16:17], 3
	.p2align	6
.LBB18_2:                               ; =>This Inner Loop Header: Depth=1
	global_load_dwordx2 v[9:10], v[2:3], off offset:-4
	v_add_nc_u32_e32 v5, s16, v5
	v_add_co_u32 v2, vcc_lo, v2, s2
	v_add_co_ci_u32_e64 v3, null, s3, v3, vcc_lo
	v_cmp_le_i32_e64 s1, s20, v5
	s_or_b32 s14, s1, s14
	s_waitcnt vmcnt(0)
	v_fma_mix_f32 v4, v9, v9, v4 op_sel_hi:[1,1,0]
	v_fma_mix_f32 v4, v9, v9, v4 op_sel:[1,1,0] op_sel_hi:[1,1,0]
	v_fma_mix_f32 v4, v10, v10, v4 op_sel_hi:[1,1,0]
	v_fma_mix_f32 v4, v10, v10, v4 op_sel:[1,1,0] op_sel_hi:[1,1,0]
	s_andn2_b32 exec_lo, exec_lo, s14
	s_cbranch_execnz .LBB18_2
; %bb.3:
	s_or_b32 exec_lo, exec_lo, s14
.LBB18_4:
	s_or_b32 exec_lo, exec_lo, s13
	v_mbcnt_lo_u32_b32 v2, -1, 0
	s_cmp_lt_u32 s12, 2
	s_mov_b32 s1, -1
	v_lshlrev_b32_e32 v3, 2, v2
	v_cmp_gt_u32_e32 vcc_lo, 24, v2
	v_or_b32_e32 v3, 64, v3
	v_cndmask_b32_e64 v5, 0, 8, vcc_lo
	v_cmp_gt_u32_e32 vcc_lo, 28, v2
	ds_bpermute_b32 v3, v3, v4
	v_add_lshl_u32 v5, v5, v2, 2
	s_waitcnt lgkmcnt(0)
	v_add_f32_e32 v3, v4, v3
	ds_bpermute_b32 v4, v5, v3
	v_cndmask_b32_e64 v5, 0, 4, vcc_lo
	v_cmp_gt_u32_e32 vcc_lo, 30, v2
	v_add_lshl_u32 v5, v5, v2, 2
	s_waitcnt lgkmcnt(0)
	v_add_f32_e32 v3, v3, v4
	ds_bpermute_b32 v4, v5, v3
	v_cndmask_b32_e64 v5, 0, 2, vcc_lo
	v_cmp_ne_u32_e32 vcc_lo, 31, v2
	v_add_lshl_u32 v5, v5, v2, 2
	v_add_co_ci_u32_e64 v2, null, 0, v2, vcc_lo
	v_lshlrev_b32_e32 v2, 2, v2
	s_waitcnt lgkmcnt(0)
	v_add_f32_e32 v3, v3, v4
	ds_bpermute_b32 v4, v5, v3
	s_waitcnt lgkmcnt(0)
	v_add_f32_e32 v3, v3, v4
	ds_bpermute_b32 v2, v2, v3
	s_waitcnt lgkmcnt(0)
	v_add_f32_e32 v4, v3, v2
                                        ; implicit-def: $vgpr3
	s_cbranch_scc0 .LBB18_6
; %bb.5:
	v_mov_b32_e32 v2, 0
	v_cvt_f32_i32_e32 v3, s8
	s_mov_b32 s1, 0
	ds_bpermute_b32 v2, v2, v4
	s_waitcnt lgkmcnt(0)
	v_div_scale_f32 v5, null, v3, v3, v2
	v_rcp_f32_e32 v6, v5
	v_fma_f32 v9, -v5, v6, 1.0
	v_fmac_f32_e32 v6, v9, v6
	v_div_scale_f32 v9, vcc_lo, v2, v3, v2
	v_mul_f32_e32 v10, v9, v6
	v_fma_f32 v11, -v5, v10, v9
	v_fmac_f32_e32 v10, v11, v6
	v_fma_f32 v5, -v5, v10, v9
	v_div_fmas_f32 v5, v5, v6, v10
	v_div_fixup_f32 v3, v5, v3, v2
.LBB18_6:
	v_mov_b32_e32 v2, 0
	s_andn2_b32 vcc_lo, exec_lo, s1
	s_cbranch_vccnz .LBB18_17
; %bb.7:
	v_lshlrev_b32_e32 v2, 3, v1
	v_mov_b32_e32 v3, 0
	s_lshl_b32 s1, s12, 2
	v_cmp_eq_u32_e32 vcc_lo, 0, v0
	s_add_i32 s3, s1, 0
	v_add_nc_u32_e32 v2, 0, v2
	s_inst_prefetch 0x1
	.p2align	6
.LBB18_8:                               ; =>This Inner Loop Header: Depth=1
	s_lshr_b32 s13, s12, 1
	s_and_b32 s2, s12, 0xfffe
	v_cmp_le_u32_e64 s1, s13, v1
	v_cmp_gt_u32_e64 s2, s2, v1
	s_and_b32 s1, vcc_lo, s1
	s_and_b32 s2, s1, s2
	s_and_saveexec_b32 s1, s2
	s_cbranch_execz .LBB18_10
; %bb.9:                                ;   in Loop: Header=BB18_8 Depth=1
	v_subrev_nc_u32_e32 v5, s13, v1
	v_lshl_add_u32 v6, v5, 3, 0
	v_lshl_add_u32 v5, v5, 2, s3
	ds_write2_b32 v6, v3, v4 offset1:1
	ds_write_b32 v5, v3
.LBB18_10:                              ;   in Loop: Header=BB18_8 Depth=1
	s_or_b32 exec_lo, exec_lo, s1
	v_cmp_gt_u32_e64 s1, s13, v1
	s_waitcnt lgkmcnt(0)
	s_barrier
	buffer_gl0_inv
	s_and_b32 s2, vcc_lo, s1
	s_and_saveexec_b32 s1, s2
	s_cbranch_execz .LBB18_12
; %bb.11:                               ;   in Loop: Header=BB18_8 Depth=1
	ds_read_b32 v5, v2 offset:4
	s_waitcnt lgkmcnt(0)
	v_add_f32_e32 v4, v4, v5
.LBB18_12:                              ;   in Loop: Header=BB18_8 Depth=1
	s_or_b32 exec_lo, exec_lo, s1
	s_cmp_lt_u32 s12, 4
	s_barrier
	buffer_gl0_inv
	s_cbranch_scc1 .LBB18_14
; %bb.13:                               ;   in Loop: Header=BB18_8 Depth=1
	s_mov_b32 s12, s13
	s_branch .LBB18_8
.LBB18_14:
	s_inst_prefetch 0x2
	v_or_b32_e32 v0, v0, v1
	s_mov_b32 s1, exec_lo
	v_cmpx_eq_u32_e32 0, v0
	s_cbranch_execz .LBB18_16
; %bb.15:
	v_cvt_f32_i32_e32 v0, s8
	v_div_scale_f32 v1, null, v0, v0, v4
	v_div_scale_f32 v5, vcc_lo, v4, v0, v4
	v_rcp_f32_e32 v2, v1
	v_fma_f32 v3, -v1, v2, 1.0
	v_fmac_f32_e32 v2, v3, v2
	v_mul_f32_e32 v3, v5, v2
	v_fma_f32 v6, -v1, v3, v5
	v_fmac_f32_e32 v3, v6, v2
	v_fma_f32 v1, -v1, v3, v5
	v_div_fmas_f32 v1, v1, v2, v3
	v_div_fixup_f32 v0, v1, v0, v4
	v_mov_b32_e32 v1, 0
	ds_write2_b32 v1, v1, v0 offset1:1
.LBB18_16:
	s_or_b32 exec_lo, exec_lo, s1
	v_mov_b32_e32 v0, 0
	s_waitcnt lgkmcnt(0)
	s_barrier
	buffer_gl0_inv
	ds_read2_b32 v[2:3], v0 offset1:1
.LBB18_17:
	s_waitcnt lgkmcnt(0)
	v_add_f32_e32 v0, s9, v3
	s_load_dwordx4 s[12:15], s[4:5], 0x28
	v_mul_f32_e32 v1, 0x4b800000, v0
	v_cmp_gt_f32_e32 vcc_lo, 0x800000, v0
	v_cndmask_b32_e32 v0, v0, v1, vcc_lo
	v_rsq_f32_e32 v0, v0
	v_mul_f32_e32 v1, 0x45800000, v0
	v_cndmask_b32_e32 v9, v0, v1, vcc_lo
	s_and_saveexec_b32 s8, s0
	s_cbranch_execz .LBB18_32
; %bb.18:
	s_load_dwordx4 s[0:3], s[4:5], 0x10
	v_mov_b32_e32 v10, v9
	v_mov_b32_e32 v11, 0
	;; [unrolled: 1-line block ×3, first 2 shown]
	s_waitcnt lgkmcnt(0)
	s_cmp_eq_u64 s[0:1], 0
	s_cselect_b32 s9, -1, 0
	s_cmp_eq_u64 s[2:3], 0
	s_cselect_b32 s4, -1, 0
	s_lshl_b64 s[22:23], s[18:19], 1
	v_cndmask_b32_e64 v13, 0, 1, s4
	s_add_u32 s14, s14, s22
	s_addc_u32 s15, s15, s23
	s_ashr_i32 s17, s16, 31
	s_or_b32 s18, s9, s4
	s_lshl_b64 s[4:5], s[16:17], 3
	s_add_u32 s10, s10, s22
	s_addc_u32 s11, s11, s23
	s_add_u32 s10, s10, 4
	s_addc_u32 s11, s11, 0
	s_add_u32 s17, s0, 4
	s_addc_u32 s1, s1, 0
	s_mov_b32 s19, 0
	s_branch .LBB18_20
.LBB18_19:                              ;   in Loop: Header=BB18_20 Depth=1
	v_add_nc_u32_e32 v12, s16, v12
	v_cvt_f16_f32_e32 v14, v4
	v_cvt_f16_f32_e32 v3, v3
	;; [unrolled: 1-line block ×4, first 2 shown]
	s_waitcnt vmcnt(0)
	v_add_co_u32 v0, vcc_lo, s14, v8
	v_add_co_ci_u32_e64 v1, null, s15, v11, vcc_lo
	v_cmp_le_i32_e32 vcc_lo, s20, v12
	v_add_co_u32 v8, s0, v8, s4
	v_pack_b32_f16 v4, v5, v4
	v_pack_b32_f16 v3, v3, v14
	v_add_co_ci_u32_e64 v11, null, s5, v11, s0
	s_or_b32 s19, vcc_lo, s19
	global_store_dwordx2 v[0:1], v[3:4], off
	s_andn2_b32 exec_lo, exec_lo, s19
	s_cbranch_execz .LBB18_32
.LBB18_20:                              ; =>This Inner Loop Header: Depth=1
	v_add_co_u32 v0, vcc_lo, s10, v8
	v_add_co_ci_u32_e64 v1, null, s11, v11, vcc_lo
	s_and_b32 vcc_lo, exec_lo, s18
	s_mov_b32 s0, -1
                                        ; implicit-def: $vgpr5_vgpr6
                                        ; implicit-def: $vgpr3_vgpr4
	global_load_dwordx2 v[0:1], v[0:1], off offset:-4
	s_cbranch_vccz .LBB18_30
; %bb.21:                               ;   in Loop: Header=BB18_20 Depth=1
	s_and_b32 vcc_lo, exec_lo, s9
                                        ; implicit-def: $vgpr5_vgpr6
                                        ; implicit-def: $vgpr3_vgpr4
	s_cbranch_vccz .LBB18_27
; %bb.22:                               ;   in Loop: Header=BB18_20 Depth=1
	v_cmp_ne_u32_e32 vcc_lo, 1, v13
                                        ; implicit-def: $vgpr5_vgpr6
                                        ; implicit-def: $vgpr3_vgpr4
	s_cbranch_vccnz .LBB18_24
; %bb.23:                               ;   in Loop: Header=BB18_20 Depth=1
	s_waitcnt vmcnt(0)
	v_cvt_f32_f16_e32 v3, v0
	v_cvt_f32_f16_sdwa v4, v0 dst_sel:DWORD dst_unused:UNUSED_PAD src0_sel:WORD_1
	v_cvt_f32_f16_e32 v5, v1
	v_cvt_f32_f16_sdwa v6, v1 dst_sel:DWORD dst_unused:UNUSED_PAD src0_sel:WORD_1
	s_mov_b32 s0, 0
	v_mul_f32_e32 v3, v9, v3
	v_mul_f32_e32 v4, v10, v4
	;; [unrolled: 1-line block ×4, first 2 shown]
.LBB18_24:                              ;   in Loop: Header=BB18_20 Depth=1
	s_andn2_b32 vcc_lo, exec_lo, s0
	s_cbranch_vccnz .LBB18_26
; %bb.25:                               ;   in Loop: Header=BB18_20 Depth=1
	v_add_co_u32 v3, vcc_lo, s2, v8
	v_add_co_ci_u32_e64 v4, null, s3, v11, vcc_lo
	s_waitcnt vmcnt(0)
	v_cvt_f32_f16_e32 v14, v1
	v_cvt_f32_f16_sdwa v15, v1 dst_sel:DWORD dst_unused:UNUSED_PAD src0_sel:WORD_1
	global_load_dwordx2 v[5:6], v[3:4], off
	v_cvt_f32_f16_e32 v3, v0
	v_cvt_f32_f16_sdwa v4, v0 dst_sel:DWORD dst_unused:UNUSED_PAD src0_sel:WORD_1
	v_sub_f32_e32 v14, v14, v2
	v_sub_f32_e32 v15, v15, v2
	;; [unrolled: 1-line block ×4, first 2 shown]
	s_waitcnt vmcnt(0)
	v_fma_mix_f32 v3, v9, v3, v5 op_sel_hi:[0,0,1]
	v_fma_mix_f32 v4, v10, v4, v5 op_sel:[0,0,1] op_sel_hi:[0,0,1]
	v_fma_mix_f32 v5, v9, v14, v6 op_sel_hi:[0,0,1]
	v_fma_mix_f32 v6, v10, v15, v6 op_sel:[0,0,1] op_sel_hi:[0,0,1]
.LBB18_26:                              ;   in Loop: Header=BB18_20 Depth=1
	s_mov_b32 s0, 0
.LBB18_27:                              ;   in Loop: Header=BB18_20 Depth=1
	s_andn2_b32 vcc_lo, exec_lo, s0
	s_cbranch_vccnz .LBB18_29
; %bb.28:                               ;   in Loop: Header=BB18_20 Depth=1
	v_add_co_u32 v3, vcc_lo, s17, v8
	v_add_co_ci_u32_e64 v4, null, s1, v11, vcc_lo
	s_waitcnt vmcnt(0)
	v_cvt_f32_f16_sdwa v5, v0 dst_sel:DWORD dst_unused:UNUSED_PAD src0_sel:WORD_1
	v_cvt_f32_f16_e32 v6, v0
	v_cvt_f32_f16_sdwa v14, v1 dst_sel:DWORD dst_unused:UNUSED_PAD src0_sel:WORD_1
	global_load_dwordx2 v[3:4], v[3:4], off offset:-4
	v_cvt_f32_f16_e32 v15, v1
	v_mul_f32_e32 v5, v10, v5
	v_mul_f32_e32 v6, v9, v6
	;; [unrolled: 1-line block ×4, first 2 shown]
	s_waitcnt vmcnt(0)
	v_cvt_f32_f16_e32 v16, v3
	v_cvt_f32_f16_sdwa v17, v3 dst_sel:DWORD dst_unused:UNUSED_PAD src0_sel:WORD_1
	v_cvt_f32_f16_e32 v18, v4
	v_cvt_f32_f16_sdwa v19, v4 dst_sel:DWORD dst_unused:UNUSED_PAD src0_sel:WORD_1
	v_mul_f32_e32 v3, v6, v16
	v_mul_f32_e32 v4, v5, v17
	;; [unrolled: 1-line block ×4, first 2 shown]
.LBB18_29:                              ;   in Loop: Header=BB18_20 Depth=1
	s_mov_b32 s0, 0
.LBB18_30:                              ;   in Loop: Header=BB18_20 Depth=1
	s_andn2_b32 vcc_lo, exec_lo, s0
	s_cbranch_vccnz .LBB18_19
; %bb.31:                               ;   in Loop: Header=BB18_20 Depth=1
	v_add_co_u32 v3, vcc_lo, s17, v8
	v_add_co_ci_u32_e64 v4, null, s1, v11, vcc_lo
	s_waitcnt vmcnt(0)
	v_cvt_f32_f16_sdwa v5, v0 dst_sel:DWORD dst_unused:UNUSED_PAD src0_sel:WORD_1
	v_cvt_f32_f16_e32 v0, v0
	v_cvt_f32_f16_sdwa v6, v1 dst_sel:DWORD dst_unused:UNUSED_PAD src0_sel:WORD_1
	global_load_dwordx2 v[3:4], v[3:4], off offset:-4
	v_cvt_f32_f16_e32 v1, v1
	v_mul_f32_e32 v5, v10, v5
	v_mul_f32_e32 v0, v9, v0
	;; [unrolled: 1-line block ×4, first 2 shown]
	s_waitcnt vmcnt(0)
	v_cvt_f32_f16_e32 v14, v3
	v_cvt_f32_f16_sdwa v15, v3 dst_sel:DWORD dst_unused:UNUSED_PAD src0_sel:WORD_1
	v_cvt_f32_f16_e32 v16, v4
	v_cvt_f32_f16_sdwa v17, v4 dst_sel:DWORD dst_unused:UNUSED_PAD src0_sel:WORD_1
	v_mul_f32_e32 v3, v0, v14
	v_mul_f32_e32 v4, v5, v15
	v_mul_f32_e32 v5, v1, v16
	v_mul_f32_e32 v6, v6, v17
	s_branch .LBB18_19
.LBB18_32:
	s_or_b32 exec_lo, exec_lo, s8
	s_mov_b32 s0, exec_lo
	v_cmpx_eq_u32_e32 0, v7
	s_cbranch_execz .LBB18_34
; %bb.33:
	s_lshl_b64 s[0:1], s[6:7], 2
	v_mov_b32_e32 v0, 0
	s_waitcnt lgkmcnt(0)
	s_add_u32 s0, s12, s0
	s_addc_u32 s1, s13, s1
	global_store_dword v0, v9, s[0:1]
.LBB18_34:
	s_endpgm
	.section	.rodata,"a",@progbits
	.p2align	6, 0x0
	.amdhsa_kernel _ZN2at6native12_GLOBAL__N_128vectorized_layer_norm_kernelIN3c104HalfEfLb1EEEviT0_PKT_S8_S8_PS5_S9_PS6_
		.amdhsa_group_segment_fixed_size 0
		.amdhsa_private_segment_fixed_size 0
		.amdhsa_kernarg_size 312
		.amdhsa_user_sgpr_count 6
		.amdhsa_user_sgpr_private_segment_buffer 1
		.amdhsa_user_sgpr_dispatch_ptr 0
		.amdhsa_user_sgpr_queue_ptr 0
		.amdhsa_user_sgpr_kernarg_segment_ptr 1
		.amdhsa_user_sgpr_dispatch_id 0
		.amdhsa_user_sgpr_flat_scratch_init 0
		.amdhsa_user_sgpr_private_segment_size 0
		.amdhsa_wavefront_size32 1
		.amdhsa_uses_dynamic_stack 0
		.amdhsa_system_sgpr_private_segment_wavefront_offset 0
		.amdhsa_system_sgpr_workgroup_id_x 1
		.amdhsa_system_sgpr_workgroup_id_y 0
		.amdhsa_system_sgpr_workgroup_id_z 0
		.amdhsa_system_sgpr_workgroup_info 0
		.amdhsa_system_vgpr_workitem_id 1
		.amdhsa_next_free_vgpr 20
		.amdhsa_next_free_sgpr 24
		.amdhsa_reserve_vcc 1
		.amdhsa_reserve_flat_scratch 0
		.amdhsa_float_round_mode_32 0
		.amdhsa_float_round_mode_16_64 0
		.amdhsa_float_denorm_mode_32 3
		.amdhsa_float_denorm_mode_16_64 3
		.amdhsa_dx10_clamp 1
		.amdhsa_ieee_mode 1
		.amdhsa_fp16_overflow 0
		.amdhsa_workgroup_processor_mode 1
		.amdhsa_memory_ordered 1
		.amdhsa_forward_progress 1
		.amdhsa_shared_vgpr_count 0
		.amdhsa_exception_fp_ieee_invalid_op 0
		.amdhsa_exception_fp_denorm_src 0
		.amdhsa_exception_fp_ieee_div_zero 0
		.amdhsa_exception_fp_ieee_overflow 0
		.amdhsa_exception_fp_ieee_underflow 0
		.amdhsa_exception_fp_ieee_inexact 0
		.amdhsa_exception_int_div_zero 0
	.end_amdhsa_kernel
	.section	.text._ZN2at6native12_GLOBAL__N_128vectorized_layer_norm_kernelIN3c104HalfEfLb1EEEviT0_PKT_S8_S8_PS5_S9_PS6_,"axG",@progbits,_ZN2at6native12_GLOBAL__N_128vectorized_layer_norm_kernelIN3c104HalfEfLb1EEEviT0_PKT_S8_S8_PS5_S9_PS6_,comdat
.Lfunc_end18:
	.size	_ZN2at6native12_GLOBAL__N_128vectorized_layer_norm_kernelIN3c104HalfEfLb1EEEviT0_PKT_S8_S8_PS5_S9_PS6_, .Lfunc_end18-_ZN2at6native12_GLOBAL__N_128vectorized_layer_norm_kernelIN3c104HalfEfLb1EEEviT0_PKT_S8_S8_PS5_S9_PS6_
                                        ; -- End function
	.set _ZN2at6native12_GLOBAL__N_128vectorized_layer_norm_kernelIN3c104HalfEfLb1EEEviT0_PKT_S8_S8_PS5_S9_PS6_.num_vgpr, 20
	.set _ZN2at6native12_GLOBAL__N_128vectorized_layer_norm_kernelIN3c104HalfEfLb1EEEviT0_PKT_S8_S8_PS5_S9_PS6_.num_agpr, 0
	.set _ZN2at6native12_GLOBAL__N_128vectorized_layer_norm_kernelIN3c104HalfEfLb1EEEviT0_PKT_S8_S8_PS5_S9_PS6_.numbered_sgpr, 24
	.set _ZN2at6native12_GLOBAL__N_128vectorized_layer_norm_kernelIN3c104HalfEfLb1EEEviT0_PKT_S8_S8_PS5_S9_PS6_.num_named_barrier, 0
	.set _ZN2at6native12_GLOBAL__N_128vectorized_layer_norm_kernelIN3c104HalfEfLb1EEEviT0_PKT_S8_S8_PS5_S9_PS6_.private_seg_size, 0
	.set _ZN2at6native12_GLOBAL__N_128vectorized_layer_norm_kernelIN3c104HalfEfLb1EEEviT0_PKT_S8_S8_PS5_S9_PS6_.uses_vcc, 1
	.set _ZN2at6native12_GLOBAL__N_128vectorized_layer_norm_kernelIN3c104HalfEfLb1EEEviT0_PKT_S8_S8_PS5_S9_PS6_.uses_flat_scratch, 0
	.set _ZN2at6native12_GLOBAL__N_128vectorized_layer_norm_kernelIN3c104HalfEfLb1EEEviT0_PKT_S8_S8_PS5_S9_PS6_.has_dyn_sized_stack, 0
	.set _ZN2at6native12_GLOBAL__N_128vectorized_layer_norm_kernelIN3c104HalfEfLb1EEEviT0_PKT_S8_S8_PS5_S9_PS6_.has_recursion, 0
	.set _ZN2at6native12_GLOBAL__N_128vectorized_layer_norm_kernelIN3c104HalfEfLb1EEEviT0_PKT_S8_S8_PS5_S9_PS6_.has_indirect_call, 0
	.section	.AMDGPU.csdata,"",@progbits
; Kernel info:
; codeLenInByte = 1720
; TotalNumSgprs: 26
; NumVgprs: 20
; ScratchSize: 0
; MemoryBound: 0
; FloatMode: 240
; IeeeMode: 1
; LDSByteSize: 0 bytes/workgroup (compile time only)
; SGPRBlocks: 0
; VGPRBlocks: 2
; NumSGPRsForWavesPerEU: 26
; NumVGPRsForWavesPerEU: 20
; Occupancy: 16
; WaveLimiterHint : 0
; COMPUTE_PGM_RSRC2:SCRATCH_EN: 0
; COMPUTE_PGM_RSRC2:USER_SGPR: 6
; COMPUTE_PGM_RSRC2:TRAP_HANDLER: 0
; COMPUTE_PGM_RSRC2:TGID_X_EN: 1
; COMPUTE_PGM_RSRC2:TGID_Y_EN: 0
; COMPUTE_PGM_RSRC2:TGID_Z_EN: 0
; COMPUTE_PGM_RSRC2:TIDIG_COMP_CNT: 1
	.section	.text._ZN2at6native12_GLOBAL__N_124RowwiseMomentsCUDAKernelIN3c104HalfEfLb1EEEvlT0_PKT_PS5_S9_,"axG",@progbits,_ZN2at6native12_GLOBAL__N_124RowwiseMomentsCUDAKernelIN3c104HalfEfLb1EEEvlT0_PKT_PS5_S9_,comdat
	.globl	_ZN2at6native12_GLOBAL__N_124RowwiseMomentsCUDAKernelIN3c104HalfEfLb1EEEvlT0_PKT_PS5_S9_ ; -- Begin function _ZN2at6native12_GLOBAL__N_124RowwiseMomentsCUDAKernelIN3c104HalfEfLb1EEEvlT0_PKT_PS5_S9_
	.p2align	8
	.type	_ZN2at6native12_GLOBAL__N_124RowwiseMomentsCUDAKernelIN3c104HalfEfLb1EEEvlT0_PKT_PS5_S9_,@function
_ZN2at6native12_GLOBAL__N_124RowwiseMomentsCUDAKernelIN3c104HalfEfLb1EEEvlT0_PKT_PS5_S9_: ; @_ZN2at6native12_GLOBAL__N_124RowwiseMomentsCUDAKernelIN3c104HalfEfLb1EEEvlT0_PKT_PS5_S9_
; %bb.0:
	s_load_dwordx2 s[2:3], s[4:5], 0x0
	v_mov_b32_e32 v1, 0
	v_mov_b32_e32 v2, 0
	;; [unrolled: 1-line block ×3, first 2 shown]
	s_mov_b32 s7, 0
	s_mov_b32 s1, exec_lo
	v_mov_b32_e32 v8, v1
	v_mov_b32_e32 v9, v1
	s_waitcnt lgkmcnt(0)
	v_cmpx_gt_i64_e64 s[2:3], v[0:1]
	s_cbranch_execz .LBB19_4
; %bb.1:
	s_clause 0x1
	s_load_dword s0, s[4:5], 0x34
	s_load_dwordx2 s[8:9], s[4:5], 0x10
	s_mul_i32 s11, s3, s6
	s_mul_hi_u32 s12, s2, s6
	s_mul_i32 s10, s2, s6
	s_add_i32 s11, s12, s11
	v_lshlrev_b32_e32 v2, 1, v0
	s_lshl_b64 s[12:13], s[10:11], 1
	v_mov_b32_e32 v5, v1
	v_mov_b32_e32 v8, 0
	;; [unrolled: 1-line block ×4, first 2 shown]
	s_waitcnt lgkmcnt(0)
	s_and_b32 s10, s0, 0xffff
	s_add_u32 s0, s8, s12
	s_addc_u32 s8, s9, s13
	v_add_co_u32 v6, s0, s0, v2
	v_add_co_ci_u32_e64 v7, null, s8, 0, s0
	s_lshl_b32 s11, s10, 1
	s_mov_b64 s[8:9], 0
	s_mov_b32 s12, s7
.LBB19_2:                               ; =>This Inner Loop Header: Depth=1
	global_load_ushort v1, v[6:7], off
	s_add_u32 s8, s8, 1
	s_addc_u32 s9, s9, 0
	s_flbit_i32_b32 s0, s9
	s_min_u32 s0, s0, 32
	s_lshl_b64 s[14:15], s[8:9], s0
	s_sub_i32 s0, 32, s0
	s_min_u32 s13, s14, 1
	s_or_b32 s13, s15, s13
	v_cvt_f32_u32_e32 v2, s13
	s_waitcnt vmcnt(0)
	v_cvt_f32_f16_e32 v3, v1
	v_ldexp_f32 v1, v2, s0
	v_sub_f32_e32 v10, v3, v9
	v_div_scale_f32 v2, null, v1, v1, v10
	v_div_scale_f32 v13, vcc_lo, v10, v1, v10
	v_rcp_f32_e32 v11, v2
	v_fma_f32 v12, -v2, v11, 1.0
	v_fmac_f32_e32 v11, v12, v11
	v_mul_f32_e32 v12, v13, v11
	v_fma_f32 v14, -v2, v12, v13
	v_fmac_f32_e32 v12, v14, v11
	v_fma_f32 v2, -v2, v12, v13
	v_div_fmas_f32 v2, v2, v11, v12
	v_add_co_u32 v4, vcc_lo, v4, s10
	v_add_co_ci_u32_e64 v5, null, 0, v5, vcc_lo
	v_div_fixup_f32 v2, v2, v1, v10
	v_add_co_u32 v6, vcc_lo, v6, s11
	v_cmp_le_i64_e64 s0, s[2:3], v[4:5]
	v_add_co_ci_u32_e64 v7, null, 0, v7, vcc_lo
	v_add_f32_e32 v9, v9, v2
	s_or_b32 s12, s0, s12
	v_sub_f32_e32 v11, v3, v9
	v_mov_b32_e32 v2, s8
	v_mov_b32_e32 v3, s9
	v_fmac_f32_e32 v8, v10, v11
	s_andn2_b32 exec_lo, exec_lo, s12
	s_cbranch_execnz .LBB19_2
; %bb.3:
	s_or_b32 exec_lo, exec_lo, s12
.LBB19_4:
	s_or_b32 exec_lo, exec_lo, s1
	v_mbcnt_lo_u32_b32 v11, -1, 0
	s_mov_b32 s0, exec_lo
	v_lshl_or_b32 v7, v11, 2, 64
	ds_bpermute_b32 v12, v7, v9
	ds_bpermute_b32 v6, v7, v8
	;; [unrolled: 1-line block ×5, first 2 shown]
	v_cmpx_neq_f32_e32 0, v1
	s_cbranch_execz .LBB19_8
; %bb.5:
	s_mov_b32 s1, exec_lo
	s_waitcnt lgkmcnt(0)
	v_cmpx_neq_f32_e32 0, v14
	s_cbranch_execz .LBB19_7
; %bb.6:
	v_add_f32_e32 v4, v1, v14
	v_add_f32_e32 v8, v8, v6
	v_div_scale_f32 v2, null, v4, v4, v14
	v_div_scale_f32 v10, vcc_lo, v14, v4, v14
	v_rcp_f32_e32 v3, v2
	v_fma_f32 v5, -v2, v3, 1.0
	v_fmac_f32_e32 v3, v5, v3
	v_mul_f32_e32 v5, v10, v3
	v_fma_f32 v13, -v2, v5, v10
	v_fmac_f32_e32 v5, v13, v3
	v_fma_f32 v2, -v2, v5, v10
	v_sub_f32_e32 v10, v12, v9
	v_div_fmas_f32 v2, v2, v3, v5
	v_mul_f32_e32 v3, v10, v10
	v_div_fixup_f32 v5, v2, v4, v14
	v_mul_f32_e32 v1, v1, v3
	v_mov_b32_e32 v2, -1
	v_mov_b32_e32 v3, -1
	v_fmac_f32_e32 v9, v10, v5
	v_fmac_f32_e32 v8, v1, v5
	v_mov_b32_e32 v1, v4
.LBB19_7:
	s_or_b32 exec_lo, exec_lo, s1
	v_mov_b32_e32 v5, v3
	v_mov_b32_e32 v14, v1
	;; [unrolled: 1-line block ×5, first 2 shown]
.LBB19_8:
	s_or_b32 exec_lo, exec_lo, s0
	v_cmp_gt_u32_e32 vcc_lo, 24, v11
	s_mov_b32 s0, exec_lo
	v_cndmask_b32_e64 v1, 0, 8, vcc_lo
	v_add_lshl_u32 v8, v1, v11, 2
	s_waitcnt lgkmcnt(4)
	ds_bpermute_b32 v13, v8, v12
	s_waitcnt lgkmcnt(4)
	ds_bpermute_b32 v10, v8, v6
	s_waitcnt lgkmcnt(4)
	ds_bpermute_b32 v1, v8, v4
	s_waitcnt lgkmcnt(4)
	ds_bpermute_b32 v2, v8, v5
	s_waitcnt lgkmcnt(4)
	ds_bpermute_b32 v15, v8, v14
	v_cmpx_neq_f32_e32 0, v14
	s_cbranch_execz .LBB19_12
; %bb.9:
	s_mov_b32 s1, exec_lo
	s_waitcnt lgkmcnt(0)
	v_cmpx_neq_f32_e32 0, v15
	s_cbranch_execz .LBB19_11
; %bb.10:
	v_add_f32_e32 v1, v14, v15
	v_add_f32_e32 v6, v6, v10
	v_div_scale_f32 v2, null, v1, v1, v15
	v_div_scale_f32 v5, vcc_lo, v15, v1, v15
	v_rcp_f32_e32 v3, v2
	v_fma_f32 v4, -v2, v3, 1.0
	v_fmac_f32_e32 v3, v4, v3
	v_mul_f32_e32 v4, v5, v3
	v_fma_f32 v9, -v2, v4, v5
	v_fmac_f32_e32 v4, v9, v3
	v_sub_f32_e32 v9, v13, v12
	v_fma_f32 v2, -v2, v4, v5
	v_div_fmas_f32 v2, v2, v3, v4
	v_mul_f32_e32 v3, v9, v9
	v_mov_b32_e32 v4, -1
	v_mov_b32_e32 v5, -1
	v_div_fixup_f32 v2, v2, v1, v15
	v_mul_f32_e32 v3, v14, v3
	v_mov_b32_e32 v14, v1
	v_fmac_f32_e32 v12, v9, v2
	v_fmac_f32_e32 v6, v3, v2
.LBB19_11:
	s_or_b32 exec_lo, exec_lo, s1
	v_mov_b32_e32 v1, v4
	v_mov_b32_e32 v15, v14
	;; [unrolled: 1-line block ×5, first 2 shown]
.LBB19_12:
	s_or_b32 exec_lo, exec_lo, s0
	v_cmp_gt_u32_e32 vcc_lo, 28, v11
	s_mov_b32 s0, exec_lo
	v_cndmask_b32_e64 v3, 0, 4, vcc_lo
	v_add_lshl_u32 v9, v3, v11, 2
	s_waitcnt lgkmcnt(4)
	ds_bpermute_b32 v14, v9, v13
	s_waitcnt lgkmcnt(4)
	ds_bpermute_b32 v12, v9, v10
	;; [unrolled: 2-line block ×5, first 2 shown]
	v_cmpx_neq_f32_e32 0, v15
	s_cbranch_execz .LBB19_16
; %bb.13:
	s_mov_b32 s1, exec_lo
	s_waitcnt lgkmcnt(0)
	v_cmpx_neq_f32_e32 0, v16
	s_cbranch_execz .LBB19_15
; %bb.14:
	v_add_f32_e32 v3, v15, v16
	v_add_f32_e32 v10, v10, v12
	v_div_scale_f32 v1, null, v3, v3, v16
	v_div_scale_f32 v5, vcc_lo, v16, v3, v16
	v_rcp_f32_e32 v2, v1
	v_fma_f32 v4, -v1, v2, 1.0
	v_fmac_f32_e32 v2, v4, v2
	v_mul_f32_e32 v4, v5, v2
	v_fma_f32 v6, -v1, v4, v5
	v_fmac_f32_e32 v4, v6, v2
	v_fma_f32 v1, -v1, v4, v5
	v_sub_f32_e32 v5, v14, v13
	v_div_fmas_f32 v1, v1, v2, v4
	v_mul_f32_e32 v2, v5, v5
	v_div_fixup_f32 v4, v1, v3, v16
	v_mul_f32_e32 v6, v15, v2
	v_mov_b32_e32 v1, -1
	v_mov_b32_e32 v2, -1
	v_mov_b32_e32 v15, v3
	v_fmac_f32_e32 v13, v5, v4
	v_fmac_f32_e32 v10, v6, v4
.LBB19_15:
	s_or_b32 exec_lo, exec_lo, s1
	v_mov_b32_e32 v4, v2
	v_mov_b32_e32 v16, v15
	;; [unrolled: 1-line block ×5, first 2 shown]
.LBB19_16:
	s_or_b32 exec_lo, exec_lo, s0
	v_cmp_gt_u32_e32 vcc_lo, 30, v11
	s_mov_b32 s0, exec_lo
	v_cndmask_b32_e64 v1, 0, 2, vcc_lo
	v_add_lshl_u32 v10, v1, v11, 2
	s_waitcnt lgkmcnt(4)
	ds_bpermute_b32 v15, v10, v14
	s_waitcnt lgkmcnt(4)
	ds_bpermute_b32 v13, v10, v12
	;; [unrolled: 2-line block ×5, first 2 shown]
	v_cmpx_neq_f32_e32 0, v16
	s_cbranch_execz .LBB19_20
; %bb.17:
	s_mov_b32 s1, exec_lo
	s_waitcnt lgkmcnt(0)
	v_cmpx_neq_f32_e32 0, v17
	s_cbranch_execz .LBB19_19
; %bb.18:
	v_add_f32_e32 v1, v16, v17
	v_add_f32_e32 v12, v12, v13
	v_div_scale_f32 v2, null, v1, v1, v17
	v_div_scale_f32 v5, vcc_lo, v17, v1, v17
	v_rcp_f32_e32 v3, v2
	v_fma_f32 v4, -v2, v3, 1.0
	v_fmac_f32_e32 v3, v4, v3
	v_mul_f32_e32 v4, v5, v3
	v_fma_f32 v6, -v2, v4, v5
	v_fmac_f32_e32 v4, v6, v3
	v_fma_f32 v2, -v2, v4, v5
	v_sub_f32_e32 v5, v15, v14
	v_div_fmas_f32 v2, v2, v3, v4
	v_mul_f32_e32 v3, v5, v5
	v_div_fixup_f32 v2, v2, v1, v17
	v_mul_f32_e32 v6, v16, v3
	v_mov_b32_e32 v3, -1
	v_mov_b32_e32 v4, -1
	v_mov_b32_e32 v16, v1
	v_fmac_f32_e32 v14, v5, v2
	v_fmac_f32_e32 v12, v6, v2
.LBB19_19:
	s_or_b32 exec_lo, exec_lo, s1
	v_mov_b32_e32 v6, v4
	v_mov_b32_e32 v17, v16
	;; [unrolled: 1-line block ×5, first 2 shown]
.LBB19_20:
	s_or_b32 exec_lo, exec_lo, s0
	v_cmp_ne_u32_e32 vcc_lo, 31, v11
	s_mov_b32 s0, exec_lo
	v_add_co_ci_u32_e64 v1, null, 0, v11, vcc_lo
	v_lshlrev_b32_e32 v11, 2, v1
	s_waitcnt lgkmcnt(4)
	ds_bpermute_b32 v1, v11, v15
	s_waitcnt lgkmcnt(4)
	ds_bpermute_b32 v2, v11, v13
	;; [unrolled: 2-line block ×5, first 2 shown]
	v_cmpx_neq_f32_e32 0, v17
	s_cbranch_execz .LBB19_24
; %bb.21:
	s_mov_b32 s1, exec_lo
	s_waitcnt lgkmcnt(0)
	v_cmpx_neq_f32_e32 0, v12
	s_cbranch_execz .LBB19_23
; %bb.22:
	v_add_f32_e32 v3, v17, v12
	v_sub_f32_e32 v1, v1, v15
	v_add_f32_e32 v13, v13, v2
	v_div_scale_f32 v4, null, v3, v3, v12
	v_div_scale_f32 v14, vcc_lo, v12, v3, v12
	v_rcp_f32_e32 v5, v4
	v_fma_f32 v6, -v4, v5, 1.0
	v_fmac_f32_e32 v5, v6, v5
	v_mul_f32_e32 v6, v14, v5
	v_fma_f32 v16, -v4, v6, v14
	v_fmac_f32_e32 v6, v16, v5
	v_fma_f32 v4, -v4, v6, v14
	v_div_fmas_f32 v4, v4, v5, v6
	v_mul_f32_e32 v5, v1, v1
	v_div_fixup_f32 v2, v4, v3, v12
	v_mul_f32_e32 v4, v17, v5
	v_mov_b32_e32 v5, -1
	v_mov_b32_e32 v6, -1
	v_mov_b32_e32 v17, v3
	v_fmac_f32_e32 v15, v1, v2
	v_fmac_f32_e32 v13, v4, v2
.LBB19_23:
	s_or_b32 exec_lo, exec_lo, s1
	v_mov_b32_e32 v3, v5
	v_mov_b32_e32 v12, v17
	;; [unrolled: 1-line block ×5, first 2 shown]
.LBB19_24:
	s_or_b32 exec_lo, exec_lo, s0
	v_and_b32_e32 v5, 31, v0
	s_mov_b32 s0, exec_lo
	s_waitcnt lgkmcnt(0)
	s_barrier
	buffer_gl0_inv
	v_cmpx_eq_u32_e32 0, v5
	s_cbranch_execz .LBB19_26
; %bb.25:
	v_lshrrev_b32_e32 v6, 5, v0
	v_mul_u32_u24_e32 v6, 24, v6
	ds_write2_b64 v6, v[1:2], v[3:4] offset1:1
	ds_write_b32 v6, v12 offset:16
.LBB19_26:
	s_or_b32 exec_lo, exec_lo, s0
	s_waitcnt lgkmcnt(0)
	s_barrier
	buffer_gl0_inv
	s_load_dword s0, s[4:5], 0x34
	v_mul_u32_u24_e32 v4, 24, v5
	v_mov_b32_e32 v1, 0
	v_mov_b32_e32 v2, 0
	s_waitcnt lgkmcnt(0)
	s_bfe_u32 s0, s0, 0xb0005
	v_cmp_gt_u32_e32 vcc_lo, s0, v0
	s_and_saveexec_b32 s0, vcc_lo
	s_cbranch_execnz .LBB19_55
; %bb.27:
	s_or_b32 exec_lo, exec_lo, s0
	s_and_saveexec_b32 s0, vcc_lo
	s_cbranch_execnz .LBB19_56
.LBB19_28:
	s_or_b32 exec_lo, exec_lo, s0
	v_mov_b32_e32 v3, 0
	s_and_saveexec_b32 s0, vcc_lo
.LBB19_29:
	ds_read_b32 v3, v4 offset:16
.LBB19_30:
	s_or_b32 exec_lo, exec_lo, s0
	s_mov_b32 s0, exec_lo
	v_cmpx_gt_u32_e32 32, v0
	s_cbranch_execz .LBB19_52
; %bb.31:
	s_waitcnt lgkmcnt(0)
	ds_bpermute_b32 v6, v7, v2
	ds_bpermute_b32 v4, v7, v1
	;; [unrolled: 1-line block ×3, first 2 shown]
	s_mov_b32 s1, exec_lo
	v_cmpx_neq_f32_e32 0, v3
	s_cbranch_execz .LBB19_35
; %bb.32:
	s_mov_b32 s2, exec_lo
	s_waitcnt lgkmcnt(0)
	v_cmpx_neq_f32_e32 0, v5
	s_cbranch_execz .LBB19_34
; %bb.33:
	v_add_f32_e32 v7, v3, v5
	v_sub_f32_e32 v6, v6, v2
	v_add_f32_e32 v1, v1, v4
	v_div_scale_f32 v12, null, v7, v7, v5
	v_div_scale_f32 v15, vcc_lo, v5, v7, v5
	v_rcp_f32_e32 v13, v12
	v_fma_f32 v14, -v12, v13, 1.0
	v_fmac_f32_e32 v13, v14, v13
	v_mul_f32_e32 v14, v15, v13
	v_fma_f32 v16, -v12, v14, v15
	v_fmac_f32_e32 v14, v16, v13
	v_fma_f32 v12, -v12, v14, v15
	v_div_fmas_f32 v12, v12, v13, v14
	v_mul_f32_e32 v13, v6, v6
	v_div_fixup_f32 v4, v12, v7, v5
	v_mul_f32_e32 v3, v3, v13
	v_fmac_f32_e32 v2, v6, v4
	v_fmac_f32_e32 v1, v3, v4
	v_mov_b32_e32 v3, v7
.LBB19_34:
	s_or_b32 exec_lo, exec_lo, s2
	v_mov_b32_e32 v5, v3
	v_mov_b32_e32 v4, v1
	;; [unrolled: 1-line block ×3, first 2 shown]
.LBB19_35:
	s_or_b32 exec_lo, exec_lo, s1
	s_waitcnt lgkmcnt(2)
	ds_bpermute_b32 v7, v8, v6
	s_waitcnt lgkmcnt(2)
	ds_bpermute_b32 v1, v8, v4
	s_waitcnt lgkmcnt(2)
	ds_bpermute_b32 v3, v8, v5
	s_mov_b32 s1, exec_lo
	v_cmpx_neq_f32_e32 0, v5
	s_cbranch_execz .LBB19_39
; %bb.36:
	s_mov_b32 s2, exec_lo
	s_waitcnt lgkmcnt(0)
	v_cmpx_neq_f32_e32 0, v3
	s_cbranch_execz .LBB19_38
; %bb.37:
	v_add_f32_e32 v2, v5, v3
	v_sub_f32_e32 v7, v7, v6
	v_add_f32_e32 v4, v4, v1
	v_div_scale_f32 v8, null, v2, v2, v3
	v_div_scale_f32 v14, vcc_lo, v3, v2, v3
	v_rcp_f32_e32 v12, v8
	v_fma_f32 v13, -v8, v12, 1.0
	v_fmac_f32_e32 v12, v13, v12
	v_mul_f32_e32 v13, v14, v12
	v_fma_f32 v15, -v8, v13, v14
	v_fmac_f32_e32 v13, v15, v12
	v_fma_f32 v8, -v8, v13, v14
	v_div_fmas_f32 v8, v8, v12, v13
	v_mul_f32_e32 v12, v7, v7
	v_div_fixup_f32 v1, v8, v2, v3
	v_mul_f32_e32 v3, v5, v12
	v_mov_b32_e32 v5, v2
	v_fmac_f32_e32 v6, v7, v1
	v_fmac_f32_e32 v4, v3, v1
.LBB19_38:
	s_or_b32 exec_lo, exec_lo, s2
	v_mov_b32_e32 v3, v5
	v_mov_b32_e32 v1, v4
	;; [unrolled: 1-line block ×3, first 2 shown]
.LBB19_39:
	s_or_b32 exec_lo, exec_lo, s1
	s_waitcnt lgkmcnt(2)
	ds_bpermute_b32 v8, v9, v7
	s_waitcnt lgkmcnt(2)
	ds_bpermute_b32 v2, v9, v1
	s_waitcnt lgkmcnt(2)
	ds_bpermute_b32 v6, v9, v3
	s_mov_b32 s1, exec_lo
	v_cmpx_neq_f32_e32 0, v3
	s_cbranch_execz .LBB19_43
; %bb.40:
	s_mov_b32 s2, exec_lo
	s_waitcnt lgkmcnt(0)
	v_cmpx_neq_f32_e32 0, v6
	s_cbranch_execz .LBB19_42
; %bb.41:
	v_add_f32_e32 v4, v3, v6
	v_sub_f32_e32 v8, v8, v7
	v_add_f32_e32 v1, v1, v2
	v_div_scale_f32 v5, null, v4, v4, v6
	v_div_scale_f32 v13, vcc_lo, v6, v4, v6
	v_rcp_f32_e32 v9, v5
	v_fma_f32 v12, -v5, v9, 1.0
	v_fmac_f32_e32 v9, v12, v9
	v_mul_f32_e32 v12, v13, v9
	v_fma_f32 v14, -v5, v12, v13
	v_fmac_f32_e32 v12, v14, v9
	v_fma_f32 v5, -v5, v12, v13
	v_div_fmas_f32 v5, v5, v9, v12
	v_mul_f32_e32 v9, v8, v8
	v_div_fixup_f32 v2, v5, v4, v6
	v_mul_f32_e32 v3, v3, v9
	v_fmac_f32_e32 v7, v8, v2
	v_fmac_f32_e32 v1, v3, v2
	v_mov_b32_e32 v3, v4
.LBB19_42:
	s_or_b32 exec_lo, exec_lo, s2
	v_mov_b32_e32 v6, v3
	v_mov_b32_e32 v2, v1
	;; [unrolled: 1-line block ×3, first 2 shown]
.LBB19_43:
	s_or_b32 exec_lo, exec_lo, s1
	s_waitcnt lgkmcnt(2)
	ds_bpermute_b32 v7, v10, v8
	s_waitcnt lgkmcnt(2)
	ds_bpermute_b32 v4, v10, v2
	;; [unrolled: 2-line block ×3, first 2 shown]
	s_mov_b32 s1, exec_lo
	v_cmpx_neq_f32_e32 0, v6
	s_cbranch_execz .LBB19_47
; %bb.44:
	s_mov_b32 s2, exec_lo
	s_waitcnt lgkmcnt(0)
	v_cmpx_neq_f32_e32 0, v5
	s_cbranch_execz .LBB19_46
; %bb.45:
	v_add_f32_e32 v1, v6, v5
	v_sub_f32_e32 v7, v7, v8
	v_add_f32_e32 v2, v2, v4
	v_div_scale_f32 v3, null, v1, v1, v5
	v_div_scale_f32 v12, vcc_lo, v5, v1, v5
	v_rcp_f32_e32 v9, v3
	v_fma_f32 v10, -v3, v9, 1.0
	v_fmac_f32_e32 v9, v10, v9
	v_mul_f32_e32 v10, v12, v9
	v_fma_f32 v13, -v3, v10, v12
	v_fmac_f32_e32 v10, v13, v9
	v_fma_f32 v3, -v3, v10, v12
	v_div_fmas_f32 v3, v3, v9, v10
	v_mul_f32_e32 v9, v7, v7
	v_div_fixup_f32 v3, v3, v1, v5
	v_mul_f32_e32 v4, v6, v9
	v_mov_b32_e32 v6, v1
	v_fmac_f32_e32 v8, v7, v3
	v_fmac_f32_e32 v2, v4, v3
.LBB19_46:
	s_or_b32 exec_lo, exec_lo, s2
	v_mov_b32_e32 v5, v6
	v_mov_b32_e32 v4, v2
	;; [unrolled: 1-line block ×3, first 2 shown]
.LBB19_47:
	s_or_b32 exec_lo, exec_lo, s1
	s_waitcnt lgkmcnt(2)
	ds_bpermute_b32 v2, v11, v7
	s_waitcnt lgkmcnt(2)
	ds_bpermute_b32 v1, v11, v4
	;; [unrolled: 2-line block ×3, first 2 shown]
	s_mov_b32 s1, exec_lo
	v_cmpx_neq_f32_e32 0, v5
	s_cbranch_execz .LBB19_51
; %bb.48:
	s_mov_b32 s2, exec_lo
	s_waitcnt lgkmcnt(0)
	v_cmpx_neq_f32_e32 0, v3
	s_cbranch_execz .LBB19_50
; %bb.49:
	v_add_f32_e32 v6, v5, v3
	v_sub_f32_e32 v2, v2, v7
	v_add_f32_e32 v4, v4, v1
	v_div_scale_f32 v8, null, v6, v6, v3
	v_div_scale_f32 v11, vcc_lo, v3, v6, v3
	v_rcp_f32_e32 v9, v8
	v_fma_f32 v10, -v8, v9, 1.0
	v_fmac_f32_e32 v9, v10, v9
	v_mul_f32_e32 v10, v11, v9
	v_fma_f32 v12, -v8, v10, v11
	v_fmac_f32_e32 v10, v12, v9
	v_fma_f32 v8, -v8, v10, v11
	v_div_fmas_f32 v8, v8, v9, v10
	v_mul_f32_e32 v9, v2, v2
	v_div_fixup_f32 v1, v8, v6, v3
	v_mul_f32_e32 v3, v5, v9
	v_mov_b32_e32 v5, v6
	v_fmac_f32_e32 v7, v2, v1
	v_fmac_f32_e32 v4, v3, v1
.LBB19_50:
	s_or_b32 exec_lo, exec_lo, s2
	v_mov_b32_e32 v3, v5
	v_mov_b32_e32 v1, v4
	;; [unrolled: 1-line block ×3, first 2 shown]
.LBB19_51:
	s_or_b32 exec_lo, exec_lo, s1
.LBB19_52:
	s_or_b32 exec_lo, exec_lo, s0
	s_mov_b32 s0, exec_lo
	v_cmpx_eq_u32_e32 0, v0
	s_cbranch_execz .LBB19_54
; %bb.53:
	s_waitcnt lgkmcnt(0)
	v_max_f32_e32 v0, v3, v3
	s_clause 0x1
	s_load_dword s2, s[4:5], 0x8
	s_load_dwordx2 s[0:1], s[4:5], 0x20
	v_max_f32_e32 v0, 0, v0
	v_div_scale_f32 v3, null, v0, v0, v1
	v_div_scale_f32 v6, vcc_lo, v1, v0, v1
	v_rcp_f32_e32 v4, v3
	v_fma_f32 v5, -v3, v4, 1.0
	v_fmac_f32_e32 v4, v5, v4
	v_mul_f32_e32 v5, v6, v4
	v_fma_f32 v7, -v3, v5, v6
	v_fmac_f32_e32 v5, v7, v4
	v_fma_f32 v3, -v3, v5, v6
	v_div_fmas_f32 v3, v3, v4, v5
	v_div_fixup_f32 v0, v3, v0, v1
	v_fmac_f32_e32 v0, v2, v2
	s_waitcnt lgkmcnt(0)
	v_add_f32_e32 v0, s2, v0
	s_lshl_b64 s[2:3], s[6:7], 2
	s_add_u32 s0, s0, s2
	s_addc_u32 s1, s1, s3
	v_mul_f32_e32 v1, 0x4b800000, v0
	v_cmp_gt_f32_e32 vcc_lo, 0x800000, v0
	v_cndmask_b32_e32 v0, v0, v1, vcc_lo
	v_rsq_f32_e32 v0, v0
	v_mul_f32_e32 v1, 0x45800000, v0
	v_cndmask_b32_e32 v0, v0, v1, vcc_lo
	v_mov_b32_e32 v1, 0
	global_store_dword v1, v0, s[0:1]
.LBB19_54:
	s_endpgm
.LBB19_55:
	ds_read_b32 v2, v4
	s_or_b32 exec_lo, exec_lo, s0
	s_and_saveexec_b32 s0, vcc_lo
	s_cbranch_execz .LBB19_28
.LBB19_56:
	ds_read_b32 v1, v4 offset:4
	s_or_b32 exec_lo, exec_lo, s0
	v_mov_b32_e32 v3, 0
	s_and_saveexec_b32 s0, vcc_lo
	s_cbranch_execnz .LBB19_29
	s_branch .LBB19_30
	.section	.rodata,"a",@progbits
	.p2align	6, 0x0
	.amdhsa_kernel _ZN2at6native12_GLOBAL__N_124RowwiseMomentsCUDAKernelIN3c104HalfEfLb1EEEvlT0_PKT_PS5_S9_
		.amdhsa_group_segment_fixed_size 768
		.amdhsa_private_segment_fixed_size 0
		.amdhsa_kernarg_size 296
		.amdhsa_user_sgpr_count 6
		.amdhsa_user_sgpr_private_segment_buffer 1
		.amdhsa_user_sgpr_dispatch_ptr 0
		.amdhsa_user_sgpr_queue_ptr 0
		.amdhsa_user_sgpr_kernarg_segment_ptr 1
		.amdhsa_user_sgpr_dispatch_id 0
		.amdhsa_user_sgpr_flat_scratch_init 0
		.amdhsa_user_sgpr_private_segment_size 0
		.amdhsa_wavefront_size32 1
		.amdhsa_uses_dynamic_stack 0
		.amdhsa_system_sgpr_private_segment_wavefront_offset 0
		.amdhsa_system_sgpr_workgroup_id_x 1
		.amdhsa_system_sgpr_workgroup_id_y 0
		.amdhsa_system_sgpr_workgroup_id_z 0
		.amdhsa_system_sgpr_workgroup_info 0
		.amdhsa_system_vgpr_workitem_id 0
		.amdhsa_next_free_vgpr 18
		.amdhsa_next_free_sgpr 16
		.amdhsa_reserve_vcc 1
		.amdhsa_reserve_flat_scratch 0
		.amdhsa_float_round_mode_32 0
		.amdhsa_float_round_mode_16_64 0
		.amdhsa_float_denorm_mode_32 3
		.amdhsa_float_denorm_mode_16_64 3
		.amdhsa_dx10_clamp 1
		.amdhsa_ieee_mode 1
		.amdhsa_fp16_overflow 0
		.amdhsa_workgroup_processor_mode 1
		.amdhsa_memory_ordered 1
		.amdhsa_forward_progress 1
		.amdhsa_shared_vgpr_count 0
		.amdhsa_exception_fp_ieee_invalid_op 0
		.amdhsa_exception_fp_denorm_src 0
		.amdhsa_exception_fp_ieee_div_zero 0
		.amdhsa_exception_fp_ieee_overflow 0
		.amdhsa_exception_fp_ieee_underflow 0
		.amdhsa_exception_fp_ieee_inexact 0
		.amdhsa_exception_int_div_zero 0
	.end_amdhsa_kernel
	.section	.text._ZN2at6native12_GLOBAL__N_124RowwiseMomentsCUDAKernelIN3c104HalfEfLb1EEEvlT0_PKT_PS5_S9_,"axG",@progbits,_ZN2at6native12_GLOBAL__N_124RowwiseMomentsCUDAKernelIN3c104HalfEfLb1EEEvlT0_PKT_PS5_S9_,comdat
.Lfunc_end19:
	.size	_ZN2at6native12_GLOBAL__N_124RowwiseMomentsCUDAKernelIN3c104HalfEfLb1EEEvlT0_PKT_PS5_S9_, .Lfunc_end19-_ZN2at6native12_GLOBAL__N_124RowwiseMomentsCUDAKernelIN3c104HalfEfLb1EEEvlT0_PKT_PS5_S9_
                                        ; -- End function
	.set _ZN2at6native12_GLOBAL__N_124RowwiseMomentsCUDAKernelIN3c104HalfEfLb1EEEvlT0_PKT_PS5_S9_.num_vgpr, 18
	.set _ZN2at6native12_GLOBAL__N_124RowwiseMomentsCUDAKernelIN3c104HalfEfLb1EEEvlT0_PKT_PS5_S9_.num_agpr, 0
	.set _ZN2at6native12_GLOBAL__N_124RowwiseMomentsCUDAKernelIN3c104HalfEfLb1EEEvlT0_PKT_PS5_S9_.numbered_sgpr, 16
	.set _ZN2at6native12_GLOBAL__N_124RowwiseMomentsCUDAKernelIN3c104HalfEfLb1EEEvlT0_PKT_PS5_S9_.num_named_barrier, 0
	.set _ZN2at6native12_GLOBAL__N_124RowwiseMomentsCUDAKernelIN3c104HalfEfLb1EEEvlT0_PKT_PS5_S9_.private_seg_size, 0
	.set _ZN2at6native12_GLOBAL__N_124RowwiseMomentsCUDAKernelIN3c104HalfEfLb1EEEvlT0_PKT_PS5_S9_.uses_vcc, 1
	.set _ZN2at6native12_GLOBAL__N_124RowwiseMomentsCUDAKernelIN3c104HalfEfLb1EEEvlT0_PKT_PS5_S9_.uses_flat_scratch, 0
	.set _ZN2at6native12_GLOBAL__N_124RowwiseMomentsCUDAKernelIN3c104HalfEfLb1EEEvlT0_PKT_PS5_S9_.has_dyn_sized_stack, 0
	.set _ZN2at6native12_GLOBAL__N_124RowwiseMomentsCUDAKernelIN3c104HalfEfLb1EEEvlT0_PKT_PS5_S9_.has_recursion, 0
	.set _ZN2at6native12_GLOBAL__N_124RowwiseMomentsCUDAKernelIN3c104HalfEfLb1EEEvlT0_PKT_PS5_S9_.has_indirect_call, 0
	.section	.AMDGPU.csdata,"",@progbits
; Kernel info:
; codeLenInByte = 2932
; TotalNumSgprs: 18
; NumVgprs: 18
; ScratchSize: 0
; MemoryBound: 0
; FloatMode: 240
; IeeeMode: 1
; LDSByteSize: 768 bytes/workgroup (compile time only)
; SGPRBlocks: 0
; VGPRBlocks: 2
; NumSGPRsForWavesPerEU: 18
; NumVGPRsForWavesPerEU: 18
; Occupancy: 16
; WaveLimiterHint : 0
; COMPUTE_PGM_RSRC2:SCRATCH_EN: 0
; COMPUTE_PGM_RSRC2:USER_SGPR: 6
; COMPUTE_PGM_RSRC2:TRAP_HANDLER: 0
; COMPUTE_PGM_RSRC2:TGID_X_EN: 1
; COMPUTE_PGM_RSRC2:TGID_Y_EN: 0
; COMPUTE_PGM_RSRC2:TGID_Z_EN: 0
; COMPUTE_PGM_RSRC2:TIDIG_COMP_CNT: 0
	.section	.text._ZN2at6native12_GLOBAL__N_126LayerNormForwardCUDAKernelIN3c104HalfEfLb1EEEvlPKT_PKT0_SA_S7_S7_PS5_,"axG",@progbits,_ZN2at6native12_GLOBAL__N_126LayerNormForwardCUDAKernelIN3c104HalfEfLb1EEEvlPKT_PKT0_SA_S7_S7_PS5_,comdat
	.globl	_ZN2at6native12_GLOBAL__N_126LayerNormForwardCUDAKernelIN3c104HalfEfLb1EEEvlPKT_PKT0_SA_S7_S7_PS5_ ; -- Begin function _ZN2at6native12_GLOBAL__N_126LayerNormForwardCUDAKernelIN3c104HalfEfLb1EEEvlPKT_PKT0_SA_S7_S7_PS5_
	.p2align	8
	.type	_ZN2at6native12_GLOBAL__N_126LayerNormForwardCUDAKernelIN3c104HalfEfLb1EEEvlPKT_PKT0_SA_S7_S7_PS5_,@function
_ZN2at6native12_GLOBAL__N_126LayerNormForwardCUDAKernelIN3c104HalfEfLb1EEEvlPKT_PKT0_SA_S7_S7_PS5_: ; @_ZN2at6native12_GLOBAL__N_126LayerNormForwardCUDAKernelIN3c104HalfEfLb1EEEvlPKT_PKT0_SA_S7_S7_PS5_
; %bb.0:
	s_load_dwordx4 s[8:11], s[4:5], 0x0
	v_mov_b32_e32 v1, 0
	s_mov_b32 s0, exec_lo
	s_waitcnt lgkmcnt(0)
	v_cmpx_gt_i64_e64 s[8:9], v[0:1]
	s_cbranch_execz .LBB20_6
; %bb.1:
	s_clause 0x2
	s_load_dwordx4 s[0:3], s[4:5], 0x18
	s_load_dword s16, s[4:5], 0x44
	s_load_dwordx2 s[12:13], s[4:5], 0x30
	s_mov_b32 s7, 0
	s_mul_hi_u32 s5, s8, s6
	v_lshlrev_b32_e32 v2, 1, v0
	v_mov_b32_e32 v3, v1
	s_waitcnt lgkmcnt(0)
	s_cmp_lg_u64 s[2:3], 0
	s_cselect_b32 s4, -1, 0
	s_lshl_b64 s[14:15], s[6:7], 2
	s_add_u32 s0, s0, s14
	s_addc_u32 s1, s1, s15
	s_mul_i32 s14, s8, s6
	s_load_dword s1, s[0:1], 0x0
	s_mul_i32 s0, s9, s6
	s_add_i32 s15, s5, s0
	s_and_b32 s5, s16, 0xffff
	s_lshl_b64 s[14:15], s[14:15], 1
	s_add_u32 s6, s10, s14
	s_addc_u32 s10, s11, s15
	s_lshl_b32 s11, s5, 1
	s_add_u32 s12, s12, s14
	s_addc_u32 s13, s13, s15
	s_inst_prefetch 0x1
	s_branch .LBB20_4
	.p2align	6
.LBB20_2:                               ;   in Loop: Header=BB20_4 Depth=1
	v_add_co_u32 v4, vcc_lo, s2, v2
	v_add_co_ci_u32_e64 v5, null, s3, v3, vcc_lo
	global_load_ushort v4, v[4:5], off
	s_waitcnt vmcnt(0)
	v_cvt_f32_f16_e32 v4, v4
.LBB20_3:                               ;   in Loop: Header=BB20_4 Depth=1
	v_add_co_u32 v5, vcc_lo, s6, v2
	v_add_co_ci_u32_e64 v6, null, s10, v3, vcc_lo
	v_add_co_u32 v0, vcc_lo, v0, s5
	v_add_co_ci_u32_e64 v1, null, 0, v1, vcc_lo
	global_load_ushort v5, v[5:6], off
	s_waitcnt vmcnt(0)
	v_cvt_f32_f16_e32 v5, v5
	s_waitcnt lgkmcnt(0)
	v_mul_f32_e32 v7, s1, v5
	v_add_co_u32 v5, vcc_lo, s12, v2
	v_add_co_ci_u32_e64 v6, null, s13, v3, vcc_lo
	v_cmp_le_i64_e32 vcc_lo, s[8:9], v[0:1]
	v_add_co_u32 v2, s0, v2, s11
	v_fma_mixlo_f16 v4, v4, v7, 0
	v_add_co_ci_u32_e64 v3, null, 0, v3, s0
	s_or_b32 s7, vcc_lo, s7
	global_store_short v[5:6], v4, off
	s_andn2_b32 exec_lo, exec_lo, s7
	s_cbranch_execz .LBB20_6
.LBB20_4:                               ; =>This Inner Loop Header: Depth=1
	s_andn2_b32 vcc_lo, exec_lo, s4
	s_cbranch_vccz .LBB20_2
; %bb.5:                                ;   in Loop: Header=BB20_4 Depth=1
	v_mov_b32_e32 v4, 1.0
	s_branch .LBB20_3
.LBB20_6:
	s_inst_prefetch 0x2
	s_endpgm
	.section	.rodata,"a",@progbits
	.p2align	6, 0x0
	.amdhsa_kernel _ZN2at6native12_GLOBAL__N_126LayerNormForwardCUDAKernelIN3c104HalfEfLb1EEEvlPKT_PKT0_SA_S7_S7_PS5_
		.amdhsa_group_segment_fixed_size 0
		.amdhsa_private_segment_fixed_size 0
		.amdhsa_kernarg_size 312
		.amdhsa_user_sgpr_count 6
		.amdhsa_user_sgpr_private_segment_buffer 1
		.amdhsa_user_sgpr_dispatch_ptr 0
		.amdhsa_user_sgpr_queue_ptr 0
		.amdhsa_user_sgpr_kernarg_segment_ptr 1
		.amdhsa_user_sgpr_dispatch_id 0
		.amdhsa_user_sgpr_flat_scratch_init 0
		.amdhsa_user_sgpr_private_segment_size 0
		.amdhsa_wavefront_size32 1
		.amdhsa_uses_dynamic_stack 0
		.amdhsa_system_sgpr_private_segment_wavefront_offset 0
		.amdhsa_system_sgpr_workgroup_id_x 1
		.amdhsa_system_sgpr_workgroup_id_y 0
		.amdhsa_system_sgpr_workgroup_id_z 0
		.amdhsa_system_sgpr_workgroup_info 0
		.amdhsa_system_vgpr_workitem_id 0
		.amdhsa_next_free_vgpr 8
		.amdhsa_next_free_sgpr 17
		.amdhsa_reserve_vcc 1
		.amdhsa_reserve_flat_scratch 0
		.amdhsa_float_round_mode_32 0
		.amdhsa_float_round_mode_16_64 0
		.amdhsa_float_denorm_mode_32 3
		.amdhsa_float_denorm_mode_16_64 3
		.amdhsa_dx10_clamp 1
		.amdhsa_ieee_mode 1
		.amdhsa_fp16_overflow 0
		.amdhsa_workgroup_processor_mode 1
		.amdhsa_memory_ordered 1
		.amdhsa_forward_progress 1
		.amdhsa_shared_vgpr_count 0
		.amdhsa_exception_fp_ieee_invalid_op 0
		.amdhsa_exception_fp_denorm_src 0
		.amdhsa_exception_fp_ieee_div_zero 0
		.amdhsa_exception_fp_ieee_overflow 0
		.amdhsa_exception_fp_ieee_underflow 0
		.amdhsa_exception_fp_ieee_inexact 0
		.amdhsa_exception_int_div_zero 0
	.end_amdhsa_kernel
	.section	.text._ZN2at6native12_GLOBAL__N_126LayerNormForwardCUDAKernelIN3c104HalfEfLb1EEEvlPKT_PKT0_SA_S7_S7_PS5_,"axG",@progbits,_ZN2at6native12_GLOBAL__N_126LayerNormForwardCUDAKernelIN3c104HalfEfLb1EEEvlPKT_PKT0_SA_S7_S7_PS5_,comdat
.Lfunc_end20:
	.size	_ZN2at6native12_GLOBAL__N_126LayerNormForwardCUDAKernelIN3c104HalfEfLb1EEEvlPKT_PKT0_SA_S7_S7_PS5_, .Lfunc_end20-_ZN2at6native12_GLOBAL__N_126LayerNormForwardCUDAKernelIN3c104HalfEfLb1EEEvlPKT_PKT0_SA_S7_S7_PS5_
                                        ; -- End function
	.set _ZN2at6native12_GLOBAL__N_126LayerNormForwardCUDAKernelIN3c104HalfEfLb1EEEvlPKT_PKT0_SA_S7_S7_PS5_.num_vgpr, 8
	.set _ZN2at6native12_GLOBAL__N_126LayerNormForwardCUDAKernelIN3c104HalfEfLb1EEEvlPKT_PKT0_SA_S7_S7_PS5_.num_agpr, 0
	.set _ZN2at6native12_GLOBAL__N_126LayerNormForwardCUDAKernelIN3c104HalfEfLb1EEEvlPKT_PKT0_SA_S7_S7_PS5_.numbered_sgpr, 17
	.set _ZN2at6native12_GLOBAL__N_126LayerNormForwardCUDAKernelIN3c104HalfEfLb1EEEvlPKT_PKT0_SA_S7_S7_PS5_.num_named_barrier, 0
	.set _ZN2at6native12_GLOBAL__N_126LayerNormForwardCUDAKernelIN3c104HalfEfLb1EEEvlPKT_PKT0_SA_S7_S7_PS5_.private_seg_size, 0
	.set _ZN2at6native12_GLOBAL__N_126LayerNormForwardCUDAKernelIN3c104HalfEfLb1EEEvlPKT_PKT0_SA_S7_S7_PS5_.uses_vcc, 1
	.set _ZN2at6native12_GLOBAL__N_126LayerNormForwardCUDAKernelIN3c104HalfEfLb1EEEvlPKT_PKT0_SA_S7_S7_PS5_.uses_flat_scratch, 0
	.set _ZN2at6native12_GLOBAL__N_126LayerNormForwardCUDAKernelIN3c104HalfEfLb1EEEvlPKT_PKT0_SA_S7_S7_PS5_.has_dyn_sized_stack, 0
	.set _ZN2at6native12_GLOBAL__N_126LayerNormForwardCUDAKernelIN3c104HalfEfLb1EEEvlPKT_PKT0_SA_S7_S7_PS5_.has_recursion, 0
	.set _ZN2at6native12_GLOBAL__N_126LayerNormForwardCUDAKernelIN3c104HalfEfLb1EEEvlPKT_PKT0_SA_S7_S7_PS5_.has_indirect_call, 0
	.section	.AMDGPU.csdata,"",@progbits
; Kernel info:
; codeLenInByte = 368
; TotalNumSgprs: 19
; NumVgprs: 8
; ScratchSize: 0
; MemoryBound: 0
; FloatMode: 240
; IeeeMode: 1
; LDSByteSize: 0 bytes/workgroup (compile time only)
; SGPRBlocks: 0
; VGPRBlocks: 0
; NumSGPRsForWavesPerEU: 19
; NumVGPRsForWavesPerEU: 8
; Occupancy: 16
; WaveLimiterHint : 0
; COMPUTE_PGM_RSRC2:SCRATCH_EN: 0
; COMPUTE_PGM_RSRC2:USER_SGPR: 6
; COMPUTE_PGM_RSRC2:TRAP_HANDLER: 0
; COMPUTE_PGM_RSRC2:TGID_X_EN: 1
; COMPUTE_PGM_RSRC2:TGID_Y_EN: 0
; COMPUTE_PGM_RSRC2:TGID_Z_EN: 0
; COMPUTE_PGM_RSRC2:TIDIG_COMP_CNT: 0
	.section	.text._ZN2at6native12_GLOBAL__N_128vectorized_layer_norm_kernelIN3c108BFloat16EfLb1EEEviT0_PKT_S8_S8_PS5_S9_PS6_,"axG",@progbits,_ZN2at6native12_GLOBAL__N_128vectorized_layer_norm_kernelIN3c108BFloat16EfLb1EEEviT0_PKT_S8_S8_PS5_S9_PS6_,comdat
	.globl	_ZN2at6native12_GLOBAL__N_128vectorized_layer_norm_kernelIN3c108BFloat16EfLb1EEEviT0_PKT_S8_S8_PS5_S9_PS6_ ; -- Begin function _ZN2at6native12_GLOBAL__N_128vectorized_layer_norm_kernelIN3c108BFloat16EfLb1EEEviT0_PKT_S8_S8_PS5_S9_PS6_
	.p2align	8
	.type	_ZN2at6native12_GLOBAL__N_128vectorized_layer_norm_kernelIN3c108BFloat16EfLb1EEEviT0_PKT_S8_S8_PS5_S9_PS6_,@function
_ZN2at6native12_GLOBAL__N_128vectorized_layer_norm_kernelIN3c108BFloat16EfLb1EEEviT0_PKT_S8_S8_PS5_S9_PS6_: ; @_ZN2at6native12_GLOBAL__N_128vectorized_layer_norm_kernelIN3c108BFloat16EfLb1EEEviT0_PKT_S8_S8_PS5_S9_PS6_
; %bb.0:
	s_clause 0x1
	s_load_dwordx4 s[16:19], s[4:5], 0x0
	s_load_dword s1, s[4:5], 0x44
	v_mov_b32_e32 v4, 0
	s_mov_b32 s7, 0
	s_waitcnt lgkmcnt(0)
	s_ashr_i32 s0, s16, 31
	s_and_b32 s2, s1, 0xffff
	s_lshr_b32 s8, s0, 30
	v_mul_u32_u24_e32 v2, s2, v1
	v_mad_u32_u24 v6, v1, s2, v0
	s_add_i32 s8, s16, s8
	s_mul_hi_u32 s3, s16, s6
	s_mul_i32 s0, s0, s6
	s_ashr_i32 s24, s8, 2
	s_add_i32 s23, s3, s0
	v_cmp_gt_i32_e64 s0, s24, v6
	v_add_lshl_u32 v7, v2, v0, 3
	s_lshr_b32 s8, s1, 16
	s_mul_i32 s22, s16, s6
	s_mul_i32 s20, s8, s2
	s_and_saveexec_b32 s9, s0
	s_cbranch_execz .LBB21_4
; %bb.1:
	s_lshl_b64 s[2:3], s[22:23], 1
	v_mov_b32_e32 v4, 0
	s_add_u32 s1, s18, s2
	s_addc_u32 s2, s19, s3
	v_add_co_u32 v2, s1, s1, v7
	v_add_co_ci_u32_e64 v3, null, s2, 0, s1
	v_mov_b32_e32 v5, v6
	s_ashr_i32 s21, s20, 31
	s_mov_b32 s10, s7
	s_lshl_b64 s[2:3], s[20:21], 3
	.p2align	6
.LBB21_2:                               ; =>This Inner Loop Header: Depth=1
	global_load_dwordx2 v[8:9], v[2:3], off
	v_add_nc_u32_e32 v5, s20, v5
	v_add_co_u32 v2, vcc_lo, v2, s2
	v_add_co_ci_u32_e64 v3, null, s3, v3, vcc_lo
	v_cmp_le_i32_e64 s1, s24, v5
	s_or_b32 s10, s1, s10
	s_waitcnt vmcnt(0)
	v_lshlrev_b32_e32 v10, 16, v8
	v_and_b32_e32 v11, 0xffff0000, v8
	v_alignbit_b32 v8, v9, v8, 16
	v_and_b32_e32 v9, 0xffff0000, v9
	v_fmac_f32_e32 v4, v10, v10
	v_and_b32_e32 v8, 0xffff0000, v8
	v_fmac_f32_e32 v4, v11, v11
	v_fmac_f32_e32 v4, v8, v8
	;; [unrolled: 1-line block ×3, first 2 shown]
	s_andn2_b32 exec_lo, exec_lo, s10
	s_cbranch_execnz .LBB21_2
; %bb.3:
	s_or_b32 exec_lo, exec_lo, s10
.LBB21_4:
	s_or_b32 exec_lo, exec_lo, s9
	v_mbcnt_lo_u32_b32 v2, -1, 0
	s_cmp_lt_u32 s8, 2
	s_mov_b32 s1, -1
	v_lshlrev_b32_e32 v3, 2, v2
	v_cmp_gt_u32_e32 vcc_lo, 24, v2
	v_or_b32_e32 v3, 64, v3
	v_cndmask_b32_e64 v5, 0, 8, vcc_lo
	v_cmp_gt_u32_e32 vcc_lo, 28, v2
	ds_bpermute_b32 v3, v3, v4
	v_add_lshl_u32 v5, v5, v2, 2
	s_waitcnt lgkmcnt(0)
	v_add_f32_e32 v3, v4, v3
	ds_bpermute_b32 v4, v5, v3
	v_cndmask_b32_e64 v5, 0, 4, vcc_lo
	v_cmp_gt_u32_e32 vcc_lo, 30, v2
	v_add_lshl_u32 v5, v5, v2, 2
	s_waitcnt lgkmcnt(0)
	v_add_f32_e32 v3, v3, v4
	ds_bpermute_b32 v4, v5, v3
	v_cndmask_b32_e64 v5, 0, 2, vcc_lo
	v_cmp_ne_u32_e32 vcc_lo, 31, v2
	v_add_lshl_u32 v5, v5, v2, 2
	v_add_co_ci_u32_e64 v2, null, 0, v2, vcc_lo
	v_lshlrev_b32_e32 v2, 2, v2
	s_waitcnt lgkmcnt(0)
	v_add_f32_e32 v3, v3, v4
	ds_bpermute_b32 v4, v5, v3
	s_waitcnt lgkmcnt(0)
	v_add_f32_e32 v3, v3, v4
	ds_bpermute_b32 v2, v2, v3
	s_waitcnt lgkmcnt(0)
	v_add_f32_e32 v4, v3, v2
                                        ; implicit-def: $vgpr3
	s_cbranch_scc0 .LBB21_6
; %bb.5:
	v_mov_b32_e32 v2, 0
	v_cvt_f32_i32_e32 v3, s16
	s_mov_b32 s1, 0
	ds_bpermute_b32 v2, v2, v4
	s_waitcnt lgkmcnt(0)
	v_div_scale_f32 v5, null, v3, v3, v2
	v_rcp_f32_e32 v8, v5
	v_fma_f32 v9, -v5, v8, 1.0
	v_fmac_f32_e32 v8, v9, v8
	v_div_scale_f32 v9, vcc_lo, v2, v3, v2
	v_mul_f32_e32 v10, v9, v8
	v_fma_f32 v11, -v5, v10, v9
	v_fmac_f32_e32 v10, v11, v8
	v_fma_f32 v5, -v5, v10, v9
	v_div_fmas_f32 v5, v5, v8, v10
	v_div_fixup_f32 v3, v5, v3, v2
.LBB21_6:
	v_mov_b32_e32 v2, 0
	s_andn2_b32 vcc_lo, exec_lo, s1
	s_cbranch_vccnz .LBB21_17
; %bb.7:
	v_lshlrev_b32_e32 v2, 3, v1
	v_mov_b32_e32 v3, 0
	s_lshl_b32 s1, s8, 2
	v_cmp_eq_u32_e32 vcc_lo, 0, v0
	s_add_i32 s3, s1, 0
	v_add_nc_u32_e32 v2, 0, v2
	s_inst_prefetch 0x1
	.p2align	6
.LBB21_8:                               ; =>This Inner Loop Header: Depth=1
	s_lshr_b32 s9, s8, 1
	s_and_b32 s2, s8, 0xfffe
	v_cmp_le_u32_e64 s1, s9, v1
	v_cmp_gt_u32_e64 s2, s2, v1
	s_and_b32 s1, vcc_lo, s1
	s_and_b32 s2, s1, s2
	s_and_saveexec_b32 s1, s2
	s_cbranch_execz .LBB21_10
; %bb.9:                                ;   in Loop: Header=BB21_8 Depth=1
	v_subrev_nc_u32_e32 v5, s9, v1
	v_lshl_add_u32 v8, v5, 3, 0
	v_lshl_add_u32 v5, v5, 2, s3
	ds_write2_b32 v8, v3, v4 offset1:1
	ds_write_b32 v5, v3
.LBB21_10:                              ;   in Loop: Header=BB21_8 Depth=1
	s_or_b32 exec_lo, exec_lo, s1
	v_cmp_gt_u32_e64 s1, s9, v1
	s_waitcnt lgkmcnt(0)
	s_barrier
	buffer_gl0_inv
	s_and_b32 s2, vcc_lo, s1
	s_and_saveexec_b32 s1, s2
	s_cbranch_execz .LBB21_12
; %bb.11:                               ;   in Loop: Header=BB21_8 Depth=1
	ds_read_b32 v5, v2 offset:4
	s_waitcnt lgkmcnt(0)
	v_add_f32_e32 v4, v4, v5
.LBB21_12:                              ;   in Loop: Header=BB21_8 Depth=1
	s_or_b32 exec_lo, exec_lo, s1
	s_cmp_lt_u32 s8, 4
	s_barrier
	buffer_gl0_inv
	s_cbranch_scc1 .LBB21_14
; %bb.13:                               ;   in Loop: Header=BB21_8 Depth=1
	s_mov_b32 s8, s9
	s_branch .LBB21_8
.LBB21_14:
	s_inst_prefetch 0x2
	v_or_b32_e32 v0, v0, v1
	s_mov_b32 s1, exec_lo
	v_cmpx_eq_u32_e32 0, v0
	s_cbranch_execz .LBB21_16
; %bb.15:
	v_cvt_f32_i32_e32 v0, s16
	v_div_scale_f32 v1, null, v0, v0, v4
	v_div_scale_f32 v5, vcc_lo, v4, v0, v4
	v_rcp_f32_e32 v2, v1
	v_fma_f32 v3, -v1, v2, 1.0
	v_fmac_f32_e32 v2, v3, v2
	v_mul_f32_e32 v3, v5, v2
	v_fma_f32 v8, -v1, v3, v5
	v_fmac_f32_e32 v3, v8, v2
	v_fma_f32 v1, -v1, v3, v5
	v_div_fmas_f32 v1, v1, v2, v3
	v_div_fixup_f32 v0, v1, v0, v4
	v_mov_b32_e32 v1, 0
	ds_write2_b32 v1, v1, v0 offset1:1
.LBB21_16:
	s_or_b32 exec_lo, exec_lo, s1
	v_mov_b32_e32 v0, 0
	s_waitcnt lgkmcnt(0)
	s_barrier
	buffer_gl0_inv
	ds_read2_b32 v[2:3], v0 offset1:1
.LBB21_17:
	s_waitcnt lgkmcnt(0)
	v_add_f32_e32 v0, s17, v3
	s_load_dwordx4 s[8:11], s[4:5], 0x28
	v_mul_f32_e32 v1, 0x4b800000, v0
	v_cmp_gt_f32_e32 vcc_lo, 0x800000, v0
	v_cndmask_b32_e32 v0, v0, v1, vcc_lo
	v_rsq_f32_e32 v0, v0
	v_mul_f32_e32 v1, 0x45800000, v0
	v_cndmask_b32_e32 v8, v0, v1, vcc_lo
	s_and_saveexec_b32 s16, s0
	s_cbranch_execz .LBB21_32
; %bb.18:
	s_load_dwordx4 s[12:15], s[4:5], 0x10
	v_mov_b32_e32 v9, v8
	v_mov_b32_e32 v10, 0
	;; [unrolled: 1-line block ×5, first 2 shown]
	s_waitcnt lgkmcnt(0)
	s_cmp_eq_u64 s[12:13], 0
	s_cselect_b32 s4, -1, 0
	s_cmp_eq_u64 s[14:15], 0
	s_cselect_b32 s2, -1, 0
	s_lshl_b64 s[0:1], s[22:23], 1
	v_cndmask_b32_e64 v14, 0, 1, s2
	s_add_u32 s5, s10, s0
	s_addc_u32 s10, s11, s1
	s_add_u32 s11, s18, s0
	s_addc_u32 s17, s19, s1
	s_ashr_i32 s21, s20, 31
	s_or_b32 s18, s4, s2
	s_lshl_b64 s[2:3], s[20:21], 3
	s_mov_b32 s19, 0
	s_branch .LBB21_20
.LBB21_19:                              ;   in Loop: Header=BB21_20 Depth=1
	v_bfe_u32 v0, v15, 16, 1
	v_lshl_or_b32 v3, v4, 16, v16
	v_cmp_o_f32_e32 vcc_lo, v15, v15
	v_add_nc_u32_e32 v13, s20, v13
	v_or_b32_sdwa v5, v10, v5 dst_sel:DWORD dst_unused:UNUSED_PAD src0_sel:DWORD src1_sel:WORD_0
	v_add3_u32 v17, v15, v0, 0x7fff
	s_add_u32 s11, s11, s2
	v_add_co_u32 v0, s0, s5, v7
	s_addc_u32 s17, s17, s3
	v_and_b32_e32 v4, 0xffff0000, v17
	s_add_u32 s5, s5, s2
	v_add_co_ci_u32_e64 v1, null, s10, 0, s0
	s_addc_u32 s10, s10, s3
	v_cndmask_b32_e32 v4, 0x7fc00000, v4, vcc_lo
	v_cmp_le_i32_e32 vcc_lo, s24, v13
	s_add_u32 s12, s12, s2
	s_addc_u32 s13, s13, s3
	s_add_u32 s14, s14, s2
	v_or_b32_e32 v4, v5, v4
	s_addc_u32 s15, s15, s3
	s_or_b32 s19, vcc_lo, s19
	global_store_dwordx2 v[0:1], v[3:4], off
	s_andn2_b32 exec_lo, exec_lo, s19
	s_cbranch_execz .LBB21_32
.LBB21_20:                              ; =>This Inner Loop Header: Depth=1
	v_add_co_u32 v0, s0, s11, v7
	v_add_co_ci_u32_e64 v1, null, s17, 0, s0
	s_and_b32 vcc_lo, exec_lo, s18
	s_mov_b32 s0, -1
                                        ; implicit-def: $vgpr15
                                        ; implicit-def: $vgpr16
	global_load_dwordx2 v[0:1], v[0:1], off
	s_waitcnt vmcnt(0)
	v_lshrrev_b64 v[3:4], 16, v[0:1]
                                        ; implicit-def: $vgpr4_vgpr5
	s_cbranch_vccz .LBB21_30
; %bb.21:                               ;   in Loop: Header=BB21_20 Depth=1
	s_and_b32 vcc_lo, exec_lo, s4
                                        ; implicit-def: $vgpr4_vgpr5
                                        ; implicit-def: $vgpr15
                                        ; implicit-def: $vgpr16
	s_cbranch_vccz .LBB21_27
; %bb.22:                               ;   in Loop: Header=BB21_20 Depth=1
	v_cmp_ne_u32_e32 vcc_lo, 1, v14
                                        ; implicit-def: $vgpr4_vgpr5
                                        ; implicit-def: $vgpr15
                                        ; implicit-def: $vgpr16
	s_cbranch_vccnz .LBB21_24
; %bb.23:                               ;   in Loop: Header=BB21_20 Depth=1
	v_lshlrev_b32_e32 v4, 16, v0
	v_lshlrev_b32_e32 v5, 16, v1
	;; [unrolled: 1-line block ×3, first 2 shown]
	v_and_b32_e32 v17, 0xffff0000, v1
	v_mul_f32_e32 v4, v8, v4
	v_mul_f32_e32 v5, v9, v5
	;; [unrolled: 1-line block ×3, first 2 shown]
	v_bfe_u32 v16, v4, 16, 1
	v_and_b32_sdwa v18, v5, v12 dst_sel:DWORD dst_unused:UNUSED_PAD src0_sel:WORD_1 src1_sel:DWORD
	v_and_b32_sdwa v19, v15, v12 dst_sel:DWORD dst_unused:UNUSED_PAD src0_sel:WORD_1 src1_sel:DWORD
	v_cmp_o_f32_e32 vcc_lo, v4, v4
	v_cmp_o_f32_e64 s0, v5, v5
	v_add3_u32 v4, v4, v16, 0x7fff
	v_cmp_o_f32_e64 s1, v15, v15
	v_add3_u32 v5, v5, v18, 0x7fff
	v_add3_u32 v15, v15, v19, 0x7fff
	v_cndmask_b32_sdwa v16, v11, v4, vcc_lo dst_sel:DWORD dst_unused:UNUSED_PAD src0_sel:DWORD src1_sel:WORD_1
	s_mov_b32 vcc_lo, s0
	s_mov_b32 s0, 0
	v_cndmask_b32_sdwa v5, v11, v5, vcc_lo dst_sel:DWORD dst_unused:UNUSED_PAD src0_sel:DWORD src1_sel:WORD_1
	s_mov_b32 vcc_lo, s1
	v_cndmask_b32_sdwa v4, v11, v15, vcc_lo dst_sel:DWORD dst_unused:UNUSED_PAD src0_sel:DWORD src1_sel:WORD_1
	v_mul_f32_e32 v15, v8, v17
.LBB21_24:                              ;   in Loop: Header=BB21_20 Depth=1
	s_andn2_b32 vcc_lo, exec_lo, s0
	s_cbranch_vccnz .LBB21_26
; %bb.25:                               ;   in Loop: Header=BB21_20 Depth=1
	v_add_co_u32 v4, s0, s14, v7
	v_add_co_ci_u32_e64 v5, null, s15, 0, s0
	v_lshlrev_b32_e32 v15, 16, v0
	v_lshlrev_b32_e32 v16, 16, v1
	;; [unrolled: 1-line block ×3, first 2 shown]
	global_load_dwordx2 v[4:5], v[4:5], off
	v_sub_f32_e32 v15, v15, v2
	v_sub_f32_e32 v16, v16, v2
	;; [unrolled: 1-line block ×3, first 2 shown]
	s_waitcnt vmcnt(0)
	v_lshlrev_b32_e32 v18, 16, v4
	v_lshlrev_b32_e32 v19, 16, v5
	v_and_b32_e32 v4, 0xffff0000, v4
	v_fmac_f32_e32 v18, v8, v15
	v_and_b32_e32 v15, 0xffff0000, v1
	v_fmac_f32_e32 v19, v9, v16
	v_fmac_f32_e32 v4, v8, v17
	v_bfe_u32 v16, v18, 16, 1
	v_sub_f32_e32 v17, v15, v2
	v_and_b32_e32 v15, 0xffff0000, v5
	v_and_b32_sdwa v5, v19, v12 dst_sel:DWORD dst_unused:UNUSED_PAD src0_sel:WORD_1 src1_sel:DWORD
	v_and_b32_sdwa v20, v4, v12 dst_sel:DWORD dst_unused:UNUSED_PAD src0_sel:WORD_1 src1_sel:DWORD
	v_cmp_o_f32_e32 vcc_lo, v19, v19
	v_cmp_o_f32_e64 s0, v4, v4
	v_add3_u32 v16, v18, v16, 0x7fff
	v_add3_u32 v5, v19, v5, 0x7fff
	;; [unrolled: 1-line block ×3, first 2 shown]
	v_fmac_f32_e32 v15, v8, v17
	v_lshrrev_b32_e32 v16, 16, v16
	v_cndmask_b32_sdwa v5, v11, v5, vcc_lo dst_sel:DWORD dst_unused:UNUSED_PAD src0_sel:DWORD src1_sel:WORD_1
	s_mov_b32 vcc_lo, s0
	v_cndmask_b32_sdwa v4, v11, v4, vcc_lo dst_sel:DWORD dst_unused:UNUSED_PAD src0_sel:DWORD src1_sel:WORD_1
	v_cmp_o_f32_e32 vcc_lo, v18, v18
	v_cndmask_b32_e32 v16, 0x7fc0, v16, vcc_lo
.LBB21_26:                              ;   in Loop: Header=BB21_20 Depth=1
	s_mov_b32 s0, 0
.LBB21_27:                              ;   in Loop: Header=BB21_20 Depth=1
	s_andn2_b32 vcc_lo, exec_lo, s0
	s_cbranch_vccnz .LBB21_29
; %bb.28:                               ;   in Loop: Header=BB21_20 Depth=1
	v_add_co_u32 v4, s0, s12, v7
	v_add_co_ci_u32_e64 v5, null, s13, 0, s0
	v_lshlrev_b32_e32 v16, 16, v1
	v_lshlrev_b32_e32 v15, 16, v0
	;; [unrolled: 1-line block ×3, first 2 shown]
	global_load_dwordx2 v[4:5], v[4:5], off
	v_mul_f32_e32 v16, v9, v16
	v_mul_f32_e32 v15, v8, v15
	;; [unrolled: 1-line block ×3, first 2 shown]
	s_waitcnt vmcnt(0)
	v_lshlrev_b32_e32 v19, 16, v5
	v_lshlrev_b32_e32 v18, 16, v4
	v_and_b32_e32 v4, 0xffff0000, v4
	v_mul_f32_e32 v16, v16, v19
	v_mul_f32_e32 v15, v15, v18
	;; [unrolled: 1-line block ×3, first 2 shown]
	v_and_b32_e32 v19, 0xffff0000, v5
	v_and_b32_e32 v18, 0xffff0000, v1
	v_and_b32_sdwa v5, v16, v12 dst_sel:DWORD dst_unused:UNUSED_PAD src0_sel:WORD_1 src1_sel:DWORD
	v_bfe_u32 v17, v15, 16, 1
	v_and_b32_sdwa v20, v4, v12 dst_sel:DWORD dst_unused:UNUSED_PAD src0_sel:WORD_1 src1_sel:DWORD
	v_cmp_o_f32_e32 vcc_lo, v16, v16
	v_cmp_o_f32_e64 s0, v4, v4
	v_add3_u32 v5, v16, v5, 0x7fff
	v_add3_u32 v17, v15, v17, 0x7fff
	;; [unrolled: 1-line block ×3, first 2 shown]
	v_mul_f32_e32 v18, v8, v18
	v_cndmask_b32_sdwa v5, v11, v5, vcc_lo dst_sel:DWORD dst_unused:UNUSED_PAD src0_sel:DWORD src1_sel:WORD_1
	s_mov_b32 vcc_lo, s0
	v_lshrrev_b32_e32 v16, 16, v17
	v_cndmask_b32_sdwa v4, v11, v4, vcc_lo dst_sel:DWORD dst_unused:UNUSED_PAD src0_sel:DWORD src1_sel:WORD_1
	v_cmp_o_f32_e32 vcc_lo, v15, v15
	v_mul_f32_e32 v15, v18, v19
	v_cndmask_b32_e32 v16, 0x7fc0, v16, vcc_lo
.LBB21_29:                              ;   in Loop: Header=BB21_20 Depth=1
	s_mov_b32 s0, 0
.LBB21_30:                              ;   in Loop: Header=BB21_20 Depth=1
	s_andn2_b32 vcc_lo, exec_lo, s0
	s_cbranch_vccnz .LBB21_19
; %bb.31:                               ;   in Loop: Header=BB21_20 Depth=1
	v_add_co_u32 v4, s0, s12, v7
	v_add_co_ci_u32_e64 v5, null, s13, 0, s0
	v_lshlrev_b32_e32 v15, 16, v1
	v_lshlrev_b32_e32 v0, 16, v0
	;; [unrolled: 1-line block ×3, first 2 shown]
	global_load_dwordx2 v[4:5], v[4:5], off
	v_and_b32_e32 v1, 0xffff0000, v1
	v_mul_f32_e32 v15, v9, v15
	v_mul_f32_e32 v0, v8, v0
	;; [unrolled: 1-line block ×4, first 2 shown]
	s_waitcnt vmcnt(0)
	v_lshlrev_b32_e32 v17, 16, v5
	v_lshlrev_b32_e32 v16, 16, v4
	v_and_b32_e32 v4, 0xffff0000, v4
	v_mul_f32_e32 v15, v15, v17
	v_mul_f32_e32 v0, v0, v16
	;; [unrolled: 1-line block ×3, first 2 shown]
	v_and_b32_e32 v17, 0xffff0000, v5
	v_and_b32_sdwa v5, v15, v12 dst_sel:DWORD dst_unused:UNUSED_PAD src0_sel:WORD_1 src1_sel:DWORD
	v_bfe_u32 v4, v0, 16, 1
	v_and_b32_sdwa v16, v3, v12 dst_sel:DWORD dst_unused:UNUSED_PAD src0_sel:WORD_1 src1_sel:DWORD
	v_cmp_o_f32_e32 vcc_lo, v15, v15
	v_cmp_o_f32_e64 s0, v3, v3
	v_add3_u32 v5, v15, v5, 0x7fff
	v_add3_u32 v4, v0, v4, 0x7fff
	;; [unrolled: 1-line block ×3, first 2 shown]
	v_cndmask_b32_sdwa v5, v11, v5, vcc_lo dst_sel:DWORD dst_unused:UNUSED_PAD src0_sel:DWORD src1_sel:WORD_1
	s_mov_b32 vcc_lo, s0
	v_lshrrev_b32_e32 v15, 16, v4
	v_cndmask_b32_sdwa v4, v11, v3, vcc_lo dst_sel:DWORD dst_unused:UNUSED_PAD src0_sel:DWORD src1_sel:WORD_1
	v_cmp_o_f32_e32 vcc_lo, v0, v0
	v_cndmask_b32_e32 v16, 0x7fc0, v15, vcc_lo
	v_mul_f32_e32 v15, v1, v17
	s_branch .LBB21_19
.LBB21_32:
	s_or_b32 exec_lo, exec_lo, s16
	s_mov_b32 s0, exec_lo
	v_cmpx_eq_u32_e32 0, v6
	s_cbranch_execz .LBB21_34
; %bb.33:
	s_lshl_b64 s[0:1], s[6:7], 2
	v_mov_b32_e32 v0, 0
	s_waitcnt lgkmcnt(0)
	s_add_u32 s0, s8, s0
	s_addc_u32 s1, s9, s1
	global_store_dword v0, v8, s[0:1]
.LBB21_34:
	s_endpgm
	.section	.rodata,"a",@progbits
	.p2align	6, 0x0
	.amdhsa_kernel _ZN2at6native12_GLOBAL__N_128vectorized_layer_norm_kernelIN3c108BFloat16EfLb1EEEviT0_PKT_S8_S8_PS5_S9_PS6_
		.amdhsa_group_segment_fixed_size 0
		.amdhsa_private_segment_fixed_size 0
		.amdhsa_kernarg_size 312
		.amdhsa_user_sgpr_count 6
		.amdhsa_user_sgpr_private_segment_buffer 1
		.amdhsa_user_sgpr_dispatch_ptr 0
		.amdhsa_user_sgpr_queue_ptr 0
		.amdhsa_user_sgpr_kernarg_segment_ptr 1
		.amdhsa_user_sgpr_dispatch_id 0
		.amdhsa_user_sgpr_flat_scratch_init 0
		.amdhsa_user_sgpr_private_segment_size 0
		.amdhsa_wavefront_size32 1
		.amdhsa_uses_dynamic_stack 0
		.amdhsa_system_sgpr_private_segment_wavefront_offset 0
		.amdhsa_system_sgpr_workgroup_id_x 1
		.amdhsa_system_sgpr_workgroup_id_y 0
		.amdhsa_system_sgpr_workgroup_id_z 0
		.amdhsa_system_sgpr_workgroup_info 0
		.amdhsa_system_vgpr_workitem_id 1
		.amdhsa_next_free_vgpr 21
		.amdhsa_next_free_sgpr 25
		.amdhsa_reserve_vcc 1
		.amdhsa_reserve_flat_scratch 0
		.amdhsa_float_round_mode_32 0
		.amdhsa_float_round_mode_16_64 0
		.amdhsa_float_denorm_mode_32 3
		.amdhsa_float_denorm_mode_16_64 3
		.amdhsa_dx10_clamp 1
		.amdhsa_ieee_mode 1
		.amdhsa_fp16_overflow 0
		.amdhsa_workgroup_processor_mode 1
		.amdhsa_memory_ordered 1
		.amdhsa_forward_progress 1
		.amdhsa_shared_vgpr_count 0
		.amdhsa_exception_fp_ieee_invalid_op 0
		.amdhsa_exception_fp_denorm_src 0
		.amdhsa_exception_fp_ieee_div_zero 0
		.amdhsa_exception_fp_ieee_overflow 0
		.amdhsa_exception_fp_ieee_underflow 0
		.amdhsa_exception_fp_ieee_inexact 0
		.amdhsa_exception_int_div_zero 0
	.end_amdhsa_kernel
	.section	.text._ZN2at6native12_GLOBAL__N_128vectorized_layer_norm_kernelIN3c108BFloat16EfLb1EEEviT0_PKT_S8_S8_PS5_S9_PS6_,"axG",@progbits,_ZN2at6native12_GLOBAL__N_128vectorized_layer_norm_kernelIN3c108BFloat16EfLb1EEEviT0_PKT_S8_S8_PS5_S9_PS6_,comdat
.Lfunc_end21:
	.size	_ZN2at6native12_GLOBAL__N_128vectorized_layer_norm_kernelIN3c108BFloat16EfLb1EEEviT0_PKT_S8_S8_PS5_S9_PS6_, .Lfunc_end21-_ZN2at6native12_GLOBAL__N_128vectorized_layer_norm_kernelIN3c108BFloat16EfLb1EEEviT0_PKT_S8_S8_PS5_S9_PS6_
                                        ; -- End function
	.set _ZN2at6native12_GLOBAL__N_128vectorized_layer_norm_kernelIN3c108BFloat16EfLb1EEEviT0_PKT_S8_S8_PS5_S9_PS6_.num_vgpr, 21
	.set _ZN2at6native12_GLOBAL__N_128vectorized_layer_norm_kernelIN3c108BFloat16EfLb1EEEviT0_PKT_S8_S8_PS5_S9_PS6_.num_agpr, 0
	.set _ZN2at6native12_GLOBAL__N_128vectorized_layer_norm_kernelIN3c108BFloat16EfLb1EEEviT0_PKT_S8_S8_PS5_S9_PS6_.numbered_sgpr, 25
	.set _ZN2at6native12_GLOBAL__N_128vectorized_layer_norm_kernelIN3c108BFloat16EfLb1EEEviT0_PKT_S8_S8_PS5_S9_PS6_.num_named_barrier, 0
	.set _ZN2at6native12_GLOBAL__N_128vectorized_layer_norm_kernelIN3c108BFloat16EfLb1EEEviT0_PKT_S8_S8_PS5_S9_PS6_.private_seg_size, 0
	.set _ZN2at6native12_GLOBAL__N_128vectorized_layer_norm_kernelIN3c108BFloat16EfLb1EEEviT0_PKT_S8_S8_PS5_S9_PS6_.uses_vcc, 1
	.set _ZN2at6native12_GLOBAL__N_128vectorized_layer_norm_kernelIN3c108BFloat16EfLb1EEEviT0_PKT_S8_S8_PS5_S9_PS6_.uses_flat_scratch, 0
	.set _ZN2at6native12_GLOBAL__N_128vectorized_layer_norm_kernelIN3c108BFloat16EfLb1EEEviT0_PKT_S8_S8_PS5_S9_PS6_.has_dyn_sized_stack, 0
	.set _ZN2at6native12_GLOBAL__N_128vectorized_layer_norm_kernelIN3c108BFloat16EfLb1EEEviT0_PKT_S8_S8_PS5_S9_PS6_.has_recursion, 0
	.set _ZN2at6native12_GLOBAL__N_128vectorized_layer_norm_kernelIN3c108BFloat16EfLb1EEEviT0_PKT_S8_S8_PS5_S9_PS6_.has_indirect_call, 0
	.section	.AMDGPU.csdata,"",@progbits
; Kernel info:
; codeLenInByte = 2180
; TotalNumSgprs: 27
; NumVgprs: 21
; ScratchSize: 0
; MemoryBound: 0
; FloatMode: 240
; IeeeMode: 1
; LDSByteSize: 0 bytes/workgroup (compile time only)
; SGPRBlocks: 0
; VGPRBlocks: 2
; NumSGPRsForWavesPerEU: 27
; NumVGPRsForWavesPerEU: 21
; Occupancy: 16
; WaveLimiterHint : 0
; COMPUTE_PGM_RSRC2:SCRATCH_EN: 0
; COMPUTE_PGM_RSRC2:USER_SGPR: 6
; COMPUTE_PGM_RSRC2:TRAP_HANDLER: 0
; COMPUTE_PGM_RSRC2:TGID_X_EN: 1
; COMPUTE_PGM_RSRC2:TGID_Y_EN: 0
; COMPUTE_PGM_RSRC2:TGID_Z_EN: 0
; COMPUTE_PGM_RSRC2:TIDIG_COMP_CNT: 1
	.section	.text._ZN2at6native12_GLOBAL__N_124RowwiseMomentsCUDAKernelIN3c108BFloat16EfLb1EEEvlT0_PKT_PS5_S9_,"axG",@progbits,_ZN2at6native12_GLOBAL__N_124RowwiseMomentsCUDAKernelIN3c108BFloat16EfLb1EEEvlT0_PKT_PS5_S9_,comdat
	.globl	_ZN2at6native12_GLOBAL__N_124RowwiseMomentsCUDAKernelIN3c108BFloat16EfLb1EEEvlT0_PKT_PS5_S9_ ; -- Begin function _ZN2at6native12_GLOBAL__N_124RowwiseMomentsCUDAKernelIN3c108BFloat16EfLb1EEEvlT0_PKT_PS5_S9_
	.p2align	8
	.type	_ZN2at6native12_GLOBAL__N_124RowwiseMomentsCUDAKernelIN3c108BFloat16EfLb1EEEvlT0_PKT_PS5_S9_,@function
_ZN2at6native12_GLOBAL__N_124RowwiseMomentsCUDAKernelIN3c108BFloat16EfLb1EEEvlT0_PKT_PS5_S9_: ; @_ZN2at6native12_GLOBAL__N_124RowwiseMomentsCUDAKernelIN3c108BFloat16EfLb1EEEvlT0_PKT_PS5_S9_
; %bb.0:
	s_load_dwordx2 s[2:3], s[4:5], 0x0
	v_mov_b32_e32 v1, 0
	v_mov_b32_e32 v2, 0
	;; [unrolled: 1-line block ×3, first 2 shown]
	s_mov_b32 s7, 0
	s_mov_b32 s1, exec_lo
	v_mov_b32_e32 v8, v1
	v_mov_b32_e32 v9, v1
	s_waitcnt lgkmcnt(0)
	v_cmpx_gt_i64_e64 s[2:3], v[0:1]
	s_cbranch_execz .LBB22_4
; %bb.1:
	s_clause 0x1
	s_load_dword s0, s[4:5], 0x34
	s_load_dwordx2 s[8:9], s[4:5], 0x10
	s_mul_i32 s11, s3, s6
	s_mul_hi_u32 s12, s2, s6
	s_mul_i32 s10, s2, s6
	s_add_i32 s11, s12, s11
	v_lshlrev_b32_e32 v2, 1, v0
	s_lshl_b64 s[12:13], s[10:11], 1
	v_mov_b32_e32 v5, v1
	v_mov_b32_e32 v8, 0
	;; [unrolled: 1-line block ×4, first 2 shown]
	s_waitcnt lgkmcnt(0)
	s_and_b32 s10, s0, 0xffff
	s_add_u32 s0, s8, s12
	s_addc_u32 s8, s9, s13
	v_add_co_u32 v6, s0, s0, v2
	v_add_co_ci_u32_e64 v7, null, s8, 0, s0
	s_lshl_b32 s11, s10, 1
	s_mov_b64 s[8:9], 0
	s_mov_b32 s12, s7
.LBB22_2:                               ; =>This Inner Loop Header: Depth=1
	global_load_ushort v1, v[6:7], off
	s_add_u32 s8, s8, 1
	s_addc_u32 s9, s9, 0
	s_flbit_i32_b32 s0, s9
	s_min_u32 s0, s0, 32
	s_lshl_b64 s[14:15], s[8:9], s0
	s_sub_i32 s0, 32, s0
	s_min_u32 s13, s14, 1
	s_or_b32 s13, s15, s13
	v_cvt_f32_u32_e32 v2, s13
	s_waitcnt vmcnt(0)
	v_lshlrev_b32_e32 v3, 16, v1
	v_ldexp_f32 v1, v2, s0
	v_sub_f32_e32 v10, v3, v9
	v_div_scale_f32 v2, null, v1, v1, v10
	v_div_scale_f32 v13, vcc_lo, v10, v1, v10
	v_rcp_f32_e32 v11, v2
	v_fma_f32 v12, -v2, v11, 1.0
	v_fmac_f32_e32 v11, v12, v11
	v_mul_f32_e32 v12, v13, v11
	v_fma_f32 v14, -v2, v12, v13
	v_fmac_f32_e32 v12, v14, v11
	v_fma_f32 v2, -v2, v12, v13
	v_div_fmas_f32 v2, v2, v11, v12
	v_add_co_u32 v4, vcc_lo, v4, s10
	v_add_co_ci_u32_e64 v5, null, 0, v5, vcc_lo
	v_div_fixup_f32 v2, v2, v1, v10
	v_add_co_u32 v6, vcc_lo, v6, s11
	v_cmp_le_i64_e64 s0, s[2:3], v[4:5]
	v_add_co_ci_u32_e64 v7, null, 0, v7, vcc_lo
	v_add_f32_e32 v9, v9, v2
	s_or_b32 s12, s0, s12
	v_sub_f32_e32 v11, v3, v9
	v_mov_b32_e32 v2, s8
	v_mov_b32_e32 v3, s9
	v_fmac_f32_e32 v8, v10, v11
	s_andn2_b32 exec_lo, exec_lo, s12
	s_cbranch_execnz .LBB22_2
; %bb.3:
	s_or_b32 exec_lo, exec_lo, s12
.LBB22_4:
	s_or_b32 exec_lo, exec_lo, s1
	v_mbcnt_lo_u32_b32 v11, -1, 0
	s_mov_b32 s0, exec_lo
	v_lshl_or_b32 v7, v11, 2, 64
	ds_bpermute_b32 v12, v7, v9
	ds_bpermute_b32 v6, v7, v8
	;; [unrolled: 1-line block ×5, first 2 shown]
	v_cmpx_neq_f32_e32 0, v1
	s_cbranch_execz .LBB22_8
; %bb.5:
	s_mov_b32 s1, exec_lo
	s_waitcnt lgkmcnt(0)
	v_cmpx_neq_f32_e32 0, v14
	s_cbranch_execz .LBB22_7
; %bb.6:
	v_add_f32_e32 v4, v1, v14
	v_add_f32_e32 v8, v8, v6
	v_div_scale_f32 v2, null, v4, v4, v14
	v_div_scale_f32 v10, vcc_lo, v14, v4, v14
	v_rcp_f32_e32 v3, v2
	v_fma_f32 v5, -v2, v3, 1.0
	v_fmac_f32_e32 v3, v5, v3
	v_mul_f32_e32 v5, v10, v3
	v_fma_f32 v13, -v2, v5, v10
	v_fmac_f32_e32 v5, v13, v3
	v_fma_f32 v2, -v2, v5, v10
	v_sub_f32_e32 v10, v12, v9
	v_div_fmas_f32 v2, v2, v3, v5
	v_mul_f32_e32 v3, v10, v10
	v_div_fixup_f32 v5, v2, v4, v14
	v_mul_f32_e32 v1, v1, v3
	v_mov_b32_e32 v2, -1
	v_mov_b32_e32 v3, -1
	v_fmac_f32_e32 v9, v10, v5
	v_fmac_f32_e32 v8, v1, v5
	v_mov_b32_e32 v1, v4
.LBB22_7:
	s_or_b32 exec_lo, exec_lo, s1
	v_mov_b32_e32 v5, v3
	v_mov_b32_e32 v14, v1
	;; [unrolled: 1-line block ×5, first 2 shown]
.LBB22_8:
	s_or_b32 exec_lo, exec_lo, s0
	v_cmp_gt_u32_e32 vcc_lo, 24, v11
	s_mov_b32 s0, exec_lo
	v_cndmask_b32_e64 v1, 0, 8, vcc_lo
	v_add_lshl_u32 v8, v1, v11, 2
	s_waitcnt lgkmcnt(4)
	ds_bpermute_b32 v13, v8, v12
	s_waitcnt lgkmcnt(4)
	ds_bpermute_b32 v10, v8, v6
	;; [unrolled: 2-line block ×5, first 2 shown]
	v_cmpx_neq_f32_e32 0, v14
	s_cbranch_execz .LBB22_12
; %bb.9:
	s_mov_b32 s1, exec_lo
	s_waitcnt lgkmcnt(0)
	v_cmpx_neq_f32_e32 0, v15
	s_cbranch_execz .LBB22_11
; %bb.10:
	v_add_f32_e32 v1, v14, v15
	v_add_f32_e32 v6, v6, v10
	v_div_scale_f32 v2, null, v1, v1, v15
	v_div_scale_f32 v5, vcc_lo, v15, v1, v15
	v_rcp_f32_e32 v3, v2
	v_fma_f32 v4, -v2, v3, 1.0
	v_fmac_f32_e32 v3, v4, v3
	v_mul_f32_e32 v4, v5, v3
	v_fma_f32 v9, -v2, v4, v5
	v_fmac_f32_e32 v4, v9, v3
	v_sub_f32_e32 v9, v13, v12
	v_fma_f32 v2, -v2, v4, v5
	v_div_fmas_f32 v2, v2, v3, v4
	v_mul_f32_e32 v3, v9, v9
	v_mov_b32_e32 v4, -1
	v_mov_b32_e32 v5, -1
	v_div_fixup_f32 v2, v2, v1, v15
	v_mul_f32_e32 v3, v14, v3
	v_mov_b32_e32 v14, v1
	v_fmac_f32_e32 v12, v9, v2
	v_fmac_f32_e32 v6, v3, v2
.LBB22_11:
	s_or_b32 exec_lo, exec_lo, s1
	v_mov_b32_e32 v1, v4
	v_mov_b32_e32 v15, v14
	;; [unrolled: 1-line block ×5, first 2 shown]
.LBB22_12:
	s_or_b32 exec_lo, exec_lo, s0
	v_cmp_gt_u32_e32 vcc_lo, 28, v11
	s_mov_b32 s0, exec_lo
	v_cndmask_b32_e64 v3, 0, 4, vcc_lo
	v_add_lshl_u32 v9, v3, v11, 2
	s_waitcnt lgkmcnt(4)
	ds_bpermute_b32 v14, v9, v13
	s_waitcnt lgkmcnt(4)
	ds_bpermute_b32 v12, v9, v10
	;; [unrolled: 2-line block ×5, first 2 shown]
	v_cmpx_neq_f32_e32 0, v15
	s_cbranch_execz .LBB22_16
; %bb.13:
	s_mov_b32 s1, exec_lo
	s_waitcnt lgkmcnt(0)
	v_cmpx_neq_f32_e32 0, v16
	s_cbranch_execz .LBB22_15
; %bb.14:
	v_add_f32_e32 v3, v15, v16
	v_add_f32_e32 v10, v10, v12
	v_div_scale_f32 v1, null, v3, v3, v16
	v_div_scale_f32 v5, vcc_lo, v16, v3, v16
	v_rcp_f32_e32 v2, v1
	v_fma_f32 v4, -v1, v2, 1.0
	v_fmac_f32_e32 v2, v4, v2
	v_mul_f32_e32 v4, v5, v2
	v_fma_f32 v6, -v1, v4, v5
	v_fmac_f32_e32 v4, v6, v2
	v_fma_f32 v1, -v1, v4, v5
	v_sub_f32_e32 v5, v14, v13
	v_div_fmas_f32 v1, v1, v2, v4
	v_mul_f32_e32 v2, v5, v5
	v_div_fixup_f32 v4, v1, v3, v16
	v_mul_f32_e32 v6, v15, v2
	v_mov_b32_e32 v1, -1
	v_mov_b32_e32 v2, -1
	v_mov_b32_e32 v15, v3
	v_fmac_f32_e32 v13, v5, v4
	v_fmac_f32_e32 v10, v6, v4
.LBB22_15:
	s_or_b32 exec_lo, exec_lo, s1
	v_mov_b32_e32 v4, v2
	v_mov_b32_e32 v16, v15
	;; [unrolled: 1-line block ×5, first 2 shown]
.LBB22_16:
	s_or_b32 exec_lo, exec_lo, s0
	v_cmp_gt_u32_e32 vcc_lo, 30, v11
	s_mov_b32 s0, exec_lo
	v_cndmask_b32_e64 v1, 0, 2, vcc_lo
	v_add_lshl_u32 v10, v1, v11, 2
	s_waitcnt lgkmcnt(4)
	ds_bpermute_b32 v15, v10, v14
	s_waitcnt lgkmcnt(4)
	ds_bpermute_b32 v13, v10, v12
	;; [unrolled: 2-line block ×5, first 2 shown]
	v_cmpx_neq_f32_e32 0, v16
	s_cbranch_execz .LBB22_20
; %bb.17:
	s_mov_b32 s1, exec_lo
	s_waitcnt lgkmcnt(0)
	v_cmpx_neq_f32_e32 0, v17
	s_cbranch_execz .LBB22_19
; %bb.18:
	v_add_f32_e32 v1, v16, v17
	v_add_f32_e32 v12, v12, v13
	v_div_scale_f32 v2, null, v1, v1, v17
	v_div_scale_f32 v5, vcc_lo, v17, v1, v17
	v_rcp_f32_e32 v3, v2
	v_fma_f32 v4, -v2, v3, 1.0
	v_fmac_f32_e32 v3, v4, v3
	v_mul_f32_e32 v4, v5, v3
	v_fma_f32 v6, -v2, v4, v5
	v_fmac_f32_e32 v4, v6, v3
	v_fma_f32 v2, -v2, v4, v5
	v_sub_f32_e32 v5, v15, v14
	v_div_fmas_f32 v2, v2, v3, v4
	v_mul_f32_e32 v3, v5, v5
	v_div_fixup_f32 v2, v2, v1, v17
	v_mul_f32_e32 v6, v16, v3
	v_mov_b32_e32 v3, -1
	v_mov_b32_e32 v4, -1
	v_mov_b32_e32 v16, v1
	v_fmac_f32_e32 v14, v5, v2
	v_fmac_f32_e32 v12, v6, v2
.LBB22_19:
	s_or_b32 exec_lo, exec_lo, s1
	v_mov_b32_e32 v6, v4
	v_mov_b32_e32 v17, v16
	;; [unrolled: 1-line block ×5, first 2 shown]
.LBB22_20:
	s_or_b32 exec_lo, exec_lo, s0
	v_cmp_ne_u32_e32 vcc_lo, 31, v11
	s_mov_b32 s0, exec_lo
	v_add_co_ci_u32_e64 v1, null, 0, v11, vcc_lo
	v_lshlrev_b32_e32 v11, 2, v1
	s_waitcnt lgkmcnt(4)
	ds_bpermute_b32 v1, v11, v15
	s_waitcnt lgkmcnt(4)
	ds_bpermute_b32 v2, v11, v13
	;; [unrolled: 2-line block ×5, first 2 shown]
	v_cmpx_neq_f32_e32 0, v17
	s_cbranch_execz .LBB22_24
; %bb.21:
	s_mov_b32 s1, exec_lo
	s_waitcnt lgkmcnt(0)
	v_cmpx_neq_f32_e32 0, v12
	s_cbranch_execz .LBB22_23
; %bb.22:
	v_add_f32_e32 v3, v17, v12
	v_sub_f32_e32 v1, v1, v15
	v_add_f32_e32 v13, v13, v2
	v_div_scale_f32 v4, null, v3, v3, v12
	v_div_scale_f32 v14, vcc_lo, v12, v3, v12
	v_rcp_f32_e32 v5, v4
	v_fma_f32 v6, -v4, v5, 1.0
	v_fmac_f32_e32 v5, v6, v5
	v_mul_f32_e32 v6, v14, v5
	v_fma_f32 v16, -v4, v6, v14
	v_fmac_f32_e32 v6, v16, v5
	v_fma_f32 v4, -v4, v6, v14
	v_div_fmas_f32 v4, v4, v5, v6
	v_mul_f32_e32 v5, v1, v1
	v_div_fixup_f32 v2, v4, v3, v12
	v_mul_f32_e32 v4, v17, v5
	v_mov_b32_e32 v5, -1
	v_mov_b32_e32 v6, -1
	v_mov_b32_e32 v17, v3
	v_fmac_f32_e32 v15, v1, v2
	v_fmac_f32_e32 v13, v4, v2
.LBB22_23:
	s_or_b32 exec_lo, exec_lo, s1
	v_mov_b32_e32 v3, v5
	v_mov_b32_e32 v12, v17
	;; [unrolled: 1-line block ×5, first 2 shown]
.LBB22_24:
	s_or_b32 exec_lo, exec_lo, s0
	v_and_b32_e32 v5, 31, v0
	s_mov_b32 s0, exec_lo
	s_waitcnt lgkmcnt(0)
	s_barrier
	buffer_gl0_inv
	v_cmpx_eq_u32_e32 0, v5
	s_cbranch_execz .LBB22_26
; %bb.25:
	v_lshrrev_b32_e32 v6, 5, v0
	v_mul_u32_u24_e32 v6, 24, v6
	ds_write2_b64 v6, v[1:2], v[3:4] offset1:1
	ds_write_b32 v6, v12 offset:16
.LBB22_26:
	s_or_b32 exec_lo, exec_lo, s0
	s_waitcnt lgkmcnt(0)
	s_barrier
	buffer_gl0_inv
	s_load_dword s0, s[4:5], 0x34
	v_mul_u32_u24_e32 v4, 24, v5
	v_mov_b32_e32 v1, 0
	v_mov_b32_e32 v2, 0
	s_waitcnt lgkmcnt(0)
	s_bfe_u32 s0, s0, 0xb0005
	v_cmp_gt_u32_e32 vcc_lo, s0, v0
	s_and_saveexec_b32 s0, vcc_lo
	s_cbranch_execnz .LBB22_55
; %bb.27:
	s_or_b32 exec_lo, exec_lo, s0
	s_and_saveexec_b32 s0, vcc_lo
	s_cbranch_execnz .LBB22_56
.LBB22_28:
	s_or_b32 exec_lo, exec_lo, s0
	v_mov_b32_e32 v3, 0
	s_and_saveexec_b32 s0, vcc_lo
.LBB22_29:
	ds_read_b32 v3, v4 offset:16
.LBB22_30:
	s_or_b32 exec_lo, exec_lo, s0
	s_mov_b32 s0, exec_lo
	v_cmpx_gt_u32_e32 32, v0
	s_cbranch_execz .LBB22_52
; %bb.31:
	s_waitcnt lgkmcnt(0)
	ds_bpermute_b32 v6, v7, v2
	ds_bpermute_b32 v4, v7, v1
	;; [unrolled: 1-line block ×3, first 2 shown]
	s_mov_b32 s1, exec_lo
	v_cmpx_neq_f32_e32 0, v3
	s_cbranch_execz .LBB22_35
; %bb.32:
	s_mov_b32 s2, exec_lo
	s_waitcnt lgkmcnt(0)
	v_cmpx_neq_f32_e32 0, v5
	s_cbranch_execz .LBB22_34
; %bb.33:
	v_add_f32_e32 v7, v3, v5
	v_sub_f32_e32 v6, v6, v2
	v_add_f32_e32 v1, v1, v4
	v_div_scale_f32 v12, null, v7, v7, v5
	v_div_scale_f32 v15, vcc_lo, v5, v7, v5
	v_rcp_f32_e32 v13, v12
	v_fma_f32 v14, -v12, v13, 1.0
	v_fmac_f32_e32 v13, v14, v13
	v_mul_f32_e32 v14, v15, v13
	v_fma_f32 v16, -v12, v14, v15
	v_fmac_f32_e32 v14, v16, v13
	v_fma_f32 v12, -v12, v14, v15
	v_div_fmas_f32 v12, v12, v13, v14
	v_mul_f32_e32 v13, v6, v6
	v_div_fixup_f32 v4, v12, v7, v5
	v_mul_f32_e32 v3, v3, v13
	v_fmac_f32_e32 v2, v6, v4
	v_fmac_f32_e32 v1, v3, v4
	v_mov_b32_e32 v3, v7
.LBB22_34:
	s_or_b32 exec_lo, exec_lo, s2
	v_mov_b32_e32 v5, v3
	v_mov_b32_e32 v4, v1
	;; [unrolled: 1-line block ×3, first 2 shown]
.LBB22_35:
	s_or_b32 exec_lo, exec_lo, s1
	s_waitcnt lgkmcnt(2)
	ds_bpermute_b32 v7, v8, v6
	s_waitcnt lgkmcnt(2)
	ds_bpermute_b32 v1, v8, v4
	;; [unrolled: 2-line block ×3, first 2 shown]
	s_mov_b32 s1, exec_lo
	v_cmpx_neq_f32_e32 0, v5
	s_cbranch_execz .LBB22_39
; %bb.36:
	s_mov_b32 s2, exec_lo
	s_waitcnt lgkmcnt(0)
	v_cmpx_neq_f32_e32 0, v3
	s_cbranch_execz .LBB22_38
; %bb.37:
	v_add_f32_e32 v2, v5, v3
	v_sub_f32_e32 v7, v7, v6
	v_add_f32_e32 v4, v4, v1
	v_div_scale_f32 v8, null, v2, v2, v3
	v_div_scale_f32 v14, vcc_lo, v3, v2, v3
	v_rcp_f32_e32 v12, v8
	v_fma_f32 v13, -v8, v12, 1.0
	v_fmac_f32_e32 v12, v13, v12
	v_mul_f32_e32 v13, v14, v12
	v_fma_f32 v15, -v8, v13, v14
	v_fmac_f32_e32 v13, v15, v12
	v_fma_f32 v8, -v8, v13, v14
	v_div_fmas_f32 v8, v8, v12, v13
	v_mul_f32_e32 v12, v7, v7
	v_div_fixup_f32 v1, v8, v2, v3
	v_mul_f32_e32 v3, v5, v12
	v_mov_b32_e32 v5, v2
	v_fmac_f32_e32 v6, v7, v1
	v_fmac_f32_e32 v4, v3, v1
.LBB22_38:
	s_or_b32 exec_lo, exec_lo, s2
	v_mov_b32_e32 v3, v5
	v_mov_b32_e32 v1, v4
	;; [unrolled: 1-line block ×3, first 2 shown]
.LBB22_39:
	s_or_b32 exec_lo, exec_lo, s1
	s_waitcnt lgkmcnt(2)
	ds_bpermute_b32 v8, v9, v7
	s_waitcnt lgkmcnt(2)
	ds_bpermute_b32 v2, v9, v1
	s_waitcnt lgkmcnt(2)
	ds_bpermute_b32 v6, v9, v3
	s_mov_b32 s1, exec_lo
	v_cmpx_neq_f32_e32 0, v3
	s_cbranch_execz .LBB22_43
; %bb.40:
	s_mov_b32 s2, exec_lo
	s_waitcnt lgkmcnt(0)
	v_cmpx_neq_f32_e32 0, v6
	s_cbranch_execz .LBB22_42
; %bb.41:
	v_add_f32_e32 v4, v3, v6
	v_sub_f32_e32 v8, v8, v7
	v_add_f32_e32 v1, v1, v2
	v_div_scale_f32 v5, null, v4, v4, v6
	v_div_scale_f32 v13, vcc_lo, v6, v4, v6
	v_rcp_f32_e32 v9, v5
	v_fma_f32 v12, -v5, v9, 1.0
	v_fmac_f32_e32 v9, v12, v9
	v_mul_f32_e32 v12, v13, v9
	v_fma_f32 v14, -v5, v12, v13
	v_fmac_f32_e32 v12, v14, v9
	v_fma_f32 v5, -v5, v12, v13
	v_div_fmas_f32 v5, v5, v9, v12
	v_mul_f32_e32 v9, v8, v8
	v_div_fixup_f32 v2, v5, v4, v6
	v_mul_f32_e32 v3, v3, v9
	v_fmac_f32_e32 v7, v8, v2
	v_fmac_f32_e32 v1, v3, v2
	v_mov_b32_e32 v3, v4
.LBB22_42:
	s_or_b32 exec_lo, exec_lo, s2
	v_mov_b32_e32 v6, v3
	v_mov_b32_e32 v2, v1
	;; [unrolled: 1-line block ×3, first 2 shown]
.LBB22_43:
	s_or_b32 exec_lo, exec_lo, s1
	s_waitcnt lgkmcnt(2)
	ds_bpermute_b32 v7, v10, v8
	s_waitcnt lgkmcnt(2)
	ds_bpermute_b32 v4, v10, v2
	;; [unrolled: 2-line block ×3, first 2 shown]
	s_mov_b32 s1, exec_lo
	v_cmpx_neq_f32_e32 0, v6
	s_cbranch_execz .LBB22_47
; %bb.44:
	s_mov_b32 s2, exec_lo
	s_waitcnt lgkmcnt(0)
	v_cmpx_neq_f32_e32 0, v5
	s_cbranch_execz .LBB22_46
; %bb.45:
	v_add_f32_e32 v1, v6, v5
	v_sub_f32_e32 v7, v7, v8
	v_add_f32_e32 v2, v2, v4
	v_div_scale_f32 v3, null, v1, v1, v5
	v_div_scale_f32 v12, vcc_lo, v5, v1, v5
	v_rcp_f32_e32 v9, v3
	v_fma_f32 v10, -v3, v9, 1.0
	v_fmac_f32_e32 v9, v10, v9
	v_mul_f32_e32 v10, v12, v9
	v_fma_f32 v13, -v3, v10, v12
	v_fmac_f32_e32 v10, v13, v9
	v_fma_f32 v3, -v3, v10, v12
	v_div_fmas_f32 v3, v3, v9, v10
	v_mul_f32_e32 v9, v7, v7
	v_div_fixup_f32 v3, v3, v1, v5
	v_mul_f32_e32 v4, v6, v9
	v_mov_b32_e32 v6, v1
	v_fmac_f32_e32 v8, v7, v3
	v_fmac_f32_e32 v2, v4, v3
.LBB22_46:
	s_or_b32 exec_lo, exec_lo, s2
	v_mov_b32_e32 v5, v6
	v_mov_b32_e32 v4, v2
	;; [unrolled: 1-line block ×3, first 2 shown]
.LBB22_47:
	s_or_b32 exec_lo, exec_lo, s1
	s_waitcnt lgkmcnt(2)
	ds_bpermute_b32 v2, v11, v7
	s_waitcnt lgkmcnt(2)
	ds_bpermute_b32 v1, v11, v4
	;; [unrolled: 2-line block ×3, first 2 shown]
	s_mov_b32 s1, exec_lo
	v_cmpx_neq_f32_e32 0, v5
	s_cbranch_execz .LBB22_51
; %bb.48:
	s_mov_b32 s2, exec_lo
	s_waitcnt lgkmcnt(0)
	v_cmpx_neq_f32_e32 0, v3
	s_cbranch_execz .LBB22_50
; %bb.49:
	v_add_f32_e32 v6, v5, v3
	v_sub_f32_e32 v2, v2, v7
	v_add_f32_e32 v4, v4, v1
	v_div_scale_f32 v8, null, v6, v6, v3
	v_div_scale_f32 v11, vcc_lo, v3, v6, v3
	v_rcp_f32_e32 v9, v8
	v_fma_f32 v10, -v8, v9, 1.0
	v_fmac_f32_e32 v9, v10, v9
	v_mul_f32_e32 v10, v11, v9
	v_fma_f32 v12, -v8, v10, v11
	v_fmac_f32_e32 v10, v12, v9
	v_fma_f32 v8, -v8, v10, v11
	v_div_fmas_f32 v8, v8, v9, v10
	v_mul_f32_e32 v9, v2, v2
	v_div_fixup_f32 v1, v8, v6, v3
	v_mul_f32_e32 v3, v5, v9
	v_mov_b32_e32 v5, v6
	v_fmac_f32_e32 v7, v2, v1
	v_fmac_f32_e32 v4, v3, v1
.LBB22_50:
	s_or_b32 exec_lo, exec_lo, s2
	v_mov_b32_e32 v3, v5
	v_mov_b32_e32 v1, v4
	;; [unrolled: 1-line block ×3, first 2 shown]
.LBB22_51:
	s_or_b32 exec_lo, exec_lo, s1
.LBB22_52:
	s_or_b32 exec_lo, exec_lo, s0
	s_mov_b32 s0, exec_lo
	v_cmpx_eq_u32_e32 0, v0
	s_cbranch_execz .LBB22_54
; %bb.53:
	s_waitcnt lgkmcnt(0)
	v_max_f32_e32 v0, v3, v3
	s_clause 0x1
	s_load_dword s2, s[4:5], 0x8
	s_load_dwordx2 s[0:1], s[4:5], 0x20
	v_max_f32_e32 v0, 0, v0
	v_div_scale_f32 v3, null, v0, v0, v1
	v_div_scale_f32 v6, vcc_lo, v1, v0, v1
	v_rcp_f32_e32 v4, v3
	v_fma_f32 v5, -v3, v4, 1.0
	v_fmac_f32_e32 v4, v5, v4
	v_mul_f32_e32 v5, v6, v4
	v_fma_f32 v7, -v3, v5, v6
	v_fmac_f32_e32 v5, v7, v4
	v_fma_f32 v3, -v3, v5, v6
	v_div_fmas_f32 v3, v3, v4, v5
	v_div_fixup_f32 v0, v3, v0, v1
	v_fmac_f32_e32 v0, v2, v2
	s_waitcnt lgkmcnt(0)
	v_add_f32_e32 v0, s2, v0
	s_lshl_b64 s[2:3], s[6:7], 2
	s_add_u32 s0, s0, s2
	s_addc_u32 s1, s1, s3
	v_mul_f32_e32 v1, 0x4b800000, v0
	v_cmp_gt_f32_e32 vcc_lo, 0x800000, v0
	v_cndmask_b32_e32 v0, v0, v1, vcc_lo
	v_rsq_f32_e32 v0, v0
	v_mul_f32_e32 v1, 0x45800000, v0
	v_cndmask_b32_e32 v0, v0, v1, vcc_lo
	v_mov_b32_e32 v1, 0
	global_store_dword v1, v0, s[0:1]
.LBB22_54:
	s_endpgm
.LBB22_55:
	ds_read_b32 v2, v4
	s_or_b32 exec_lo, exec_lo, s0
	s_and_saveexec_b32 s0, vcc_lo
	s_cbranch_execz .LBB22_28
.LBB22_56:
	ds_read_b32 v1, v4 offset:4
	s_or_b32 exec_lo, exec_lo, s0
	v_mov_b32_e32 v3, 0
	s_and_saveexec_b32 s0, vcc_lo
	s_cbranch_execnz .LBB22_29
	s_branch .LBB22_30
	.section	.rodata,"a",@progbits
	.p2align	6, 0x0
	.amdhsa_kernel _ZN2at6native12_GLOBAL__N_124RowwiseMomentsCUDAKernelIN3c108BFloat16EfLb1EEEvlT0_PKT_PS5_S9_
		.amdhsa_group_segment_fixed_size 768
		.amdhsa_private_segment_fixed_size 0
		.amdhsa_kernarg_size 296
		.amdhsa_user_sgpr_count 6
		.amdhsa_user_sgpr_private_segment_buffer 1
		.amdhsa_user_sgpr_dispatch_ptr 0
		.amdhsa_user_sgpr_queue_ptr 0
		.amdhsa_user_sgpr_kernarg_segment_ptr 1
		.amdhsa_user_sgpr_dispatch_id 0
		.amdhsa_user_sgpr_flat_scratch_init 0
		.amdhsa_user_sgpr_private_segment_size 0
		.amdhsa_wavefront_size32 1
		.amdhsa_uses_dynamic_stack 0
		.amdhsa_system_sgpr_private_segment_wavefront_offset 0
		.amdhsa_system_sgpr_workgroup_id_x 1
		.amdhsa_system_sgpr_workgroup_id_y 0
		.amdhsa_system_sgpr_workgroup_id_z 0
		.amdhsa_system_sgpr_workgroup_info 0
		.amdhsa_system_vgpr_workitem_id 0
		.amdhsa_next_free_vgpr 18
		.amdhsa_next_free_sgpr 16
		.amdhsa_reserve_vcc 1
		.amdhsa_reserve_flat_scratch 0
		.amdhsa_float_round_mode_32 0
		.amdhsa_float_round_mode_16_64 0
		.amdhsa_float_denorm_mode_32 3
		.amdhsa_float_denorm_mode_16_64 3
		.amdhsa_dx10_clamp 1
		.amdhsa_ieee_mode 1
		.amdhsa_fp16_overflow 0
		.amdhsa_workgroup_processor_mode 1
		.amdhsa_memory_ordered 1
		.amdhsa_forward_progress 1
		.amdhsa_shared_vgpr_count 0
		.amdhsa_exception_fp_ieee_invalid_op 0
		.amdhsa_exception_fp_denorm_src 0
		.amdhsa_exception_fp_ieee_div_zero 0
		.amdhsa_exception_fp_ieee_overflow 0
		.amdhsa_exception_fp_ieee_underflow 0
		.amdhsa_exception_fp_ieee_inexact 0
		.amdhsa_exception_int_div_zero 0
	.end_amdhsa_kernel
	.section	.text._ZN2at6native12_GLOBAL__N_124RowwiseMomentsCUDAKernelIN3c108BFloat16EfLb1EEEvlT0_PKT_PS5_S9_,"axG",@progbits,_ZN2at6native12_GLOBAL__N_124RowwiseMomentsCUDAKernelIN3c108BFloat16EfLb1EEEvlT0_PKT_PS5_S9_,comdat
.Lfunc_end22:
	.size	_ZN2at6native12_GLOBAL__N_124RowwiseMomentsCUDAKernelIN3c108BFloat16EfLb1EEEvlT0_PKT_PS5_S9_, .Lfunc_end22-_ZN2at6native12_GLOBAL__N_124RowwiseMomentsCUDAKernelIN3c108BFloat16EfLb1EEEvlT0_PKT_PS5_S9_
                                        ; -- End function
	.set _ZN2at6native12_GLOBAL__N_124RowwiseMomentsCUDAKernelIN3c108BFloat16EfLb1EEEvlT0_PKT_PS5_S9_.num_vgpr, 18
	.set _ZN2at6native12_GLOBAL__N_124RowwiseMomentsCUDAKernelIN3c108BFloat16EfLb1EEEvlT0_PKT_PS5_S9_.num_agpr, 0
	.set _ZN2at6native12_GLOBAL__N_124RowwiseMomentsCUDAKernelIN3c108BFloat16EfLb1EEEvlT0_PKT_PS5_S9_.numbered_sgpr, 16
	.set _ZN2at6native12_GLOBAL__N_124RowwiseMomentsCUDAKernelIN3c108BFloat16EfLb1EEEvlT0_PKT_PS5_S9_.num_named_barrier, 0
	.set _ZN2at6native12_GLOBAL__N_124RowwiseMomentsCUDAKernelIN3c108BFloat16EfLb1EEEvlT0_PKT_PS5_S9_.private_seg_size, 0
	.set _ZN2at6native12_GLOBAL__N_124RowwiseMomentsCUDAKernelIN3c108BFloat16EfLb1EEEvlT0_PKT_PS5_S9_.uses_vcc, 1
	.set _ZN2at6native12_GLOBAL__N_124RowwiseMomentsCUDAKernelIN3c108BFloat16EfLb1EEEvlT0_PKT_PS5_S9_.uses_flat_scratch, 0
	.set _ZN2at6native12_GLOBAL__N_124RowwiseMomentsCUDAKernelIN3c108BFloat16EfLb1EEEvlT0_PKT_PS5_S9_.has_dyn_sized_stack, 0
	.set _ZN2at6native12_GLOBAL__N_124RowwiseMomentsCUDAKernelIN3c108BFloat16EfLb1EEEvlT0_PKT_PS5_S9_.has_recursion, 0
	.set _ZN2at6native12_GLOBAL__N_124RowwiseMomentsCUDAKernelIN3c108BFloat16EfLb1EEEvlT0_PKT_PS5_S9_.has_indirect_call, 0
	.section	.AMDGPU.csdata,"",@progbits
; Kernel info:
; codeLenInByte = 2932
; TotalNumSgprs: 18
; NumVgprs: 18
; ScratchSize: 0
; MemoryBound: 0
; FloatMode: 240
; IeeeMode: 1
; LDSByteSize: 768 bytes/workgroup (compile time only)
; SGPRBlocks: 0
; VGPRBlocks: 2
; NumSGPRsForWavesPerEU: 18
; NumVGPRsForWavesPerEU: 18
; Occupancy: 16
; WaveLimiterHint : 0
; COMPUTE_PGM_RSRC2:SCRATCH_EN: 0
; COMPUTE_PGM_RSRC2:USER_SGPR: 6
; COMPUTE_PGM_RSRC2:TRAP_HANDLER: 0
; COMPUTE_PGM_RSRC2:TGID_X_EN: 1
; COMPUTE_PGM_RSRC2:TGID_Y_EN: 0
; COMPUTE_PGM_RSRC2:TGID_Z_EN: 0
; COMPUTE_PGM_RSRC2:TIDIG_COMP_CNT: 0
	.section	.text._ZN2at6native12_GLOBAL__N_126LayerNormForwardCUDAKernelIN3c108BFloat16EfLb1EEEvlPKT_PKT0_SA_S7_S7_PS5_,"axG",@progbits,_ZN2at6native12_GLOBAL__N_126LayerNormForwardCUDAKernelIN3c108BFloat16EfLb1EEEvlPKT_PKT0_SA_S7_S7_PS5_,comdat
	.globl	_ZN2at6native12_GLOBAL__N_126LayerNormForwardCUDAKernelIN3c108BFloat16EfLb1EEEvlPKT_PKT0_SA_S7_S7_PS5_ ; -- Begin function _ZN2at6native12_GLOBAL__N_126LayerNormForwardCUDAKernelIN3c108BFloat16EfLb1EEEvlPKT_PKT0_SA_S7_S7_PS5_
	.p2align	8
	.type	_ZN2at6native12_GLOBAL__N_126LayerNormForwardCUDAKernelIN3c108BFloat16EfLb1EEEvlPKT_PKT0_SA_S7_S7_PS5_,@function
_ZN2at6native12_GLOBAL__N_126LayerNormForwardCUDAKernelIN3c108BFloat16EfLb1EEEvlPKT_PKT0_SA_S7_S7_PS5_: ; @_ZN2at6native12_GLOBAL__N_126LayerNormForwardCUDAKernelIN3c108BFloat16EfLb1EEEvlPKT_PKT0_SA_S7_S7_PS5_
; %bb.0:
	s_load_dwordx4 s[8:11], s[4:5], 0x0
	v_mov_b32_e32 v1, 0
	s_mov_b32 s0, exec_lo
	s_waitcnt lgkmcnt(0)
	v_cmpx_gt_i64_e64 s[8:9], v[0:1]
	s_cbranch_execz .LBB23_6
; %bb.1:
	s_clause 0x2
	s_load_dwordx4 s[0:3], s[4:5], 0x18
	s_load_dword s16, s[4:5], 0x44
	s_load_dwordx2 s[12:13], s[4:5], 0x30
	s_mov_b32 s7, 0
	s_mul_hi_u32 s5, s8, s6
	v_lshlrev_b32_e32 v2, 1, v0
	v_mov_b32_e32 v3, v1
	s_waitcnt lgkmcnt(0)
	s_cmp_lg_u64 s[2:3], 0
	s_cselect_b32 s4, -1, 0
	s_lshl_b64 s[14:15], s[6:7], 2
	s_add_u32 s0, s0, s14
	s_addc_u32 s1, s1, s15
	s_mul_i32 s14, s8, s6
	s_load_dword s1, s[0:1], 0x0
	s_mul_i32 s0, s9, s6
	s_add_i32 s15, s5, s0
	s_and_b32 s5, s16, 0xffff
	s_lshl_b64 s[14:15], s[14:15], 1
	s_add_u32 s6, s10, s14
	s_addc_u32 s10, s11, s15
	s_lshl_b32 s11, s5, 1
	s_add_u32 s12, s12, s14
	s_addc_u32 s13, s13, s15
	s_branch .LBB23_4
.LBB23_2:                               ;   in Loop: Header=BB23_4 Depth=1
	v_add_co_u32 v4, vcc_lo, s2, v2
	v_add_co_ci_u32_e64 v5, null, s3, v3, vcc_lo
	global_load_ushort v4, v[4:5], off
	s_waitcnt vmcnt(0)
	v_lshlrev_b32_e32 v4, 16, v4
.LBB23_3:                               ;   in Loop: Header=BB23_4 Depth=1
	v_add_co_u32 v5, vcc_lo, s6, v2
	v_add_co_ci_u32_e64 v6, null, s10, v3, vcc_lo
	v_add_co_u32 v0, vcc_lo, v0, s5
	v_add_co_ci_u32_e64 v1, null, 0, v1, vcc_lo
	global_load_ushort v5, v[5:6], off
	s_waitcnt vmcnt(0)
	v_lshlrev_b32_e32 v5, 16, v5
	s_waitcnt lgkmcnt(0)
	v_mul_f32_e32 v5, s1, v5
	v_mul_f32_e32 v6, v4, v5
	v_bfe_u32 v4, v6, 16, 1
	v_cmp_o_f32_e64 s0, v6, v6
	v_add3_u32 v4, v6, v4, 0x7fff
	v_lshrrev_b32_e32 v7, 16, v4
	v_add_co_u32 v4, vcc_lo, s12, v2
	v_add_co_ci_u32_e64 v5, null, s13, v3, vcc_lo
	v_cmp_le_i64_e32 vcc_lo, s[8:9], v[0:1]
	v_cndmask_b32_e64 v6, 0x7fc0, v7, s0
	v_add_co_u32 v2, s0, v2, s11
	v_add_co_ci_u32_e64 v3, null, 0, v3, s0
	s_or_b32 s7, vcc_lo, s7
	global_store_short v[4:5], v6, off
	s_andn2_b32 exec_lo, exec_lo, s7
	s_cbranch_execz .LBB23_6
.LBB23_4:                               ; =>This Inner Loop Header: Depth=1
	s_andn2_b32 vcc_lo, exec_lo, s4
	s_cbranch_vccz .LBB23_2
; %bb.5:                                ;   in Loop: Header=BB23_4 Depth=1
	v_mov_b32_e32 v4, 1.0
	s_branch .LBB23_3
.LBB23_6:
	s_endpgm
	.section	.rodata,"a",@progbits
	.p2align	6, 0x0
	.amdhsa_kernel _ZN2at6native12_GLOBAL__N_126LayerNormForwardCUDAKernelIN3c108BFloat16EfLb1EEEvlPKT_PKT0_SA_S7_S7_PS5_
		.amdhsa_group_segment_fixed_size 0
		.amdhsa_private_segment_fixed_size 0
		.amdhsa_kernarg_size 312
		.amdhsa_user_sgpr_count 6
		.amdhsa_user_sgpr_private_segment_buffer 1
		.amdhsa_user_sgpr_dispatch_ptr 0
		.amdhsa_user_sgpr_queue_ptr 0
		.amdhsa_user_sgpr_kernarg_segment_ptr 1
		.amdhsa_user_sgpr_dispatch_id 0
		.amdhsa_user_sgpr_flat_scratch_init 0
		.amdhsa_user_sgpr_private_segment_size 0
		.amdhsa_wavefront_size32 1
		.amdhsa_uses_dynamic_stack 0
		.amdhsa_system_sgpr_private_segment_wavefront_offset 0
		.amdhsa_system_sgpr_workgroup_id_x 1
		.amdhsa_system_sgpr_workgroup_id_y 0
		.amdhsa_system_sgpr_workgroup_id_z 0
		.amdhsa_system_sgpr_workgroup_info 0
		.amdhsa_system_vgpr_workitem_id 0
		.amdhsa_next_free_vgpr 8
		.amdhsa_next_free_sgpr 17
		.amdhsa_reserve_vcc 1
		.amdhsa_reserve_flat_scratch 0
		.amdhsa_float_round_mode_32 0
		.amdhsa_float_round_mode_16_64 0
		.amdhsa_float_denorm_mode_32 3
		.amdhsa_float_denorm_mode_16_64 3
		.amdhsa_dx10_clamp 1
		.amdhsa_ieee_mode 1
		.amdhsa_fp16_overflow 0
		.amdhsa_workgroup_processor_mode 1
		.amdhsa_memory_ordered 1
		.amdhsa_forward_progress 1
		.amdhsa_shared_vgpr_count 0
		.amdhsa_exception_fp_ieee_invalid_op 0
		.amdhsa_exception_fp_denorm_src 0
		.amdhsa_exception_fp_ieee_div_zero 0
		.amdhsa_exception_fp_ieee_overflow 0
		.amdhsa_exception_fp_ieee_underflow 0
		.amdhsa_exception_fp_ieee_inexact 0
		.amdhsa_exception_int_div_zero 0
	.end_amdhsa_kernel
	.section	.text._ZN2at6native12_GLOBAL__N_126LayerNormForwardCUDAKernelIN3c108BFloat16EfLb1EEEvlPKT_PKT0_SA_S7_S7_PS5_,"axG",@progbits,_ZN2at6native12_GLOBAL__N_126LayerNormForwardCUDAKernelIN3c108BFloat16EfLb1EEEvlPKT_PKT0_SA_S7_S7_PS5_,comdat
.Lfunc_end23:
	.size	_ZN2at6native12_GLOBAL__N_126LayerNormForwardCUDAKernelIN3c108BFloat16EfLb1EEEvlPKT_PKT0_SA_S7_S7_PS5_, .Lfunc_end23-_ZN2at6native12_GLOBAL__N_126LayerNormForwardCUDAKernelIN3c108BFloat16EfLb1EEEvlPKT_PKT0_SA_S7_S7_PS5_
                                        ; -- End function
	.set _ZN2at6native12_GLOBAL__N_126LayerNormForwardCUDAKernelIN3c108BFloat16EfLb1EEEvlPKT_PKT0_SA_S7_S7_PS5_.num_vgpr, 8
	.set _ZN2at6native12_GLOBAL__N_126LayerNormForwardCUDAKernelIN3c108BFloat16EfLb1EEEvlPKT_PKT0_SA_S7_S7_PS5_.num_agpr, 0
	.set _ZN2at6native12_GLOBAL__N_126LayerNormForwardCUDAKernelIN3c108BFloat16EfLb1EEEvlPKT_PKT0_SA_S7_S7_PS5_.numbered_sgpr, 17
	.set _ZN2at6native12_GLOBAL__N_126LayerNormForwardCUDAKernelIN3c108BFloat16EfLb1EEEvlPKT_PKT0_SA_S7_S7_PS5_.num_named_barrier, 0
	.set _ZN2at6native12_GLOBAL__N_126LayerNormForwardCUDAKernelIN3c108BFloat16EfLb1EEEvlPKT_PKT0_SA_S7_S7_PS5_.private_seg_size, 0
	.set _ZN2at6native12_GLOBAL__N_126LayerNormForwardCUDAKernelIN3c108BFloat16EfLb1EEEvlPKT_PKT0_SA_S7_S7_PS5_.uses_vcc, 1
	.set _ZN2at6native12_GLOBAL__N_126LayerNormForwardCUDAKernelIN3c108BFloat16EfLb1EEEvlPKT_PKT0_SA_S7_S7_PS5_.uses_flat_scratch, 0
	.set _ZN2at6native12_GLOBAL__N_126LayerNormForwardCUDAKernelIN3c108BFloat16EfLb1EEEvlPKT_PKT0_SA_S7_S7_PS5_.has_dyn_sized_stack, 0
	.set _ZN2at6native12_GLOBAL__N_126LayerNormForwardCUDAKernelIN3c108BFloat16EfLb1EEEvlPKT_PKT0_SA_S7_S7_PS5_.has_recursion, 0
	.set _ZN2at6native12_GLOBAL__N_126LayerNormForwardCUDAKernelIN3c108BFloat16EfLb1EEEvlPKT_PKT0_SA_S7_S7_PS5_.has_indirect_call, 0
	.section	.AMDGPU.csdata,"",@progbits
; Kernel info:
; codeLenInByte = 368
; TotalNumSgprs: 19
; NumVgprs: 8
; ScratchSize: 0
; MemoryBound: 0
; FloatMode: 240
; IeeeMode: 1
; LDSByteSize: 0 bytes/workgroup (compile time only)
; SGPRBlocks: 0
; VGPRBlocks: 0
; NumSGPRsForWavesPerEU: 19
; NumVGPRsForWavesPerEU: 8
; Occupancy: 16
; WaveLimiterHint : 0
; COMPUTE_PGM_RSRC2:SCRATCH_EN: 0
; COMPUTE_PGM_RSRC2:USER_SGPR: 6
; COMPUTE_PGM_RSRC2:TRAP_HANDLER: 0
; COMPUTE_PGM_RSRC2:TGID_X_EN: 1
; COMPUTE_PGM_RSRC2:TGID_Y_EN: 0
; COMPUTE_PGM_RSRC2:TGID_Z_EN: 0
; COMPUTE_PGM_RSRC2:TIDIG_COMP_CNT: 0
	.section	.text._ZN2at6native12_GLOBAL__N_118cuComputeGradInputIddLb0EEEvPKT_S5_llPKT0_S8_S5_PS3_,"axG",@progbits,_ZN2at6native12_GLOBAL__N_118cuComputeGradInputIddLb0EEEvPKT_S5_llPKT0_S8_S5_PS3_,comdat
	.globl	_ZN2at6native12_GLOBAL__N_118cuComputeGradInputIddLb0EEEvPKT_S5_llPKT0_S8_S5_PS3_ ; -- Begin function _ZN2at6native12_GLOBAL__N_118cuComputeGradInputIddLb0EEEvPKT_S5_llPKT0_S8_S5_PS3_
	.p2align	8
	.type	_ZN2at6native12_GLOBAL__N_118cuComputeGradInputIddLb0EEEvPKT_S5_llPKT0_S8_S5_PS3_,@function
_ZN2at6native12_GLOBAL__N_118cuComputeGradInputIddLb0EEEvPKT_S5_llPKT0_S8_S5_PS3_: ; @_ZN2at6native12_GLOBAL__N_118cuComputeGradInputIddLb0EEEvPKT_S5_llPKT0_S8_S5_PS3_
; %bb.0:
	s_load_dwordx4 s[16:19], s[4:5], 0x10
	s_mov_b32 s6, s7
	s_ashr_i32 s7, s7, 31
	s_waitcnt lgkmcnt(0)
	v_cmp_le_i64_e64 s0, s[16:17], s[6:7]
	s_and_b32 vcc_lo, exec_lo, s0
	s_cbranch_vccnz .LBB24_47
; %bb.1:
	v_cvt_f64_i32_e32 v[2:3], s19
	v_cvt_f64_u32_e32 v[4:5], s18
	s_clause 0x3
	s_load_dword s0, s[4:5], 0x4c
	s_load_dwordx8 s[8:15], s[4:5], 0x20
	s_load_dword s30, s[4:5], 0x44
	s_load_dwordx4 s[20:23], s[4:5], 0x0
	v_cmp_gt_i64_e64 s39, s[18:19], 0
	v_cmp_ne_u32_e64 s1, 0, v1
	v_mbcnt_lo_u32_b32 v24, -1, 0
	v_cndmask_b32_e64 v22, 0, 1, s39
	s_waitcnt lgkmcnt(0)
	s_and_b32 s33, s0, 0xffff
	v_ldexp_f64 v[2:3], v[2:3], 32
	s_lshr_b32 s31, s0, 16
	s_cmp_lg_u64 s[12:13], 0
	s_mul_i32 s36, s31, s33
	s_cselect_b32 s34, -1, 0
	s_cmp_gt_u32 s33, 1
	v_cmp_eq_u32_e64 s0, 0, v1
	s_cselect_b32 s35, -1, 0
	s_cmp_gt_u32 s31, 1
	s_cselect_b32 s37, -1, 0
	s_ashr_i32 s38, s36, 31
	v_add_f64 v[6:7], v[2:3], v[4:5]
	v_div_scale_f64 v[2:3], null, v[6:7], v[6:7], 1.0
	v_div_scale_f64 v[10:11], vcc_lo, 1.0, v[6:7], 1.0
	v_rcp_f64_e32 v[4:5], v[2:3]
	v_fma_f64 v[8:9], -v[2:3], v[4:5], 1.0
	v_fma_f64 v[4:5], v[4:5], v[8:9], v[4:5]
	v_fma_f64 v[8:9], -v[2:3], v[4:5], 1.0
	v_fma_f64 v[4:5], v[4:5], v[8:9], v[4:5]
	v_mul_f64 v[8:9], v[10:11], v[4:5]
	v_fma_f64 v[2:3], -v[2:3], v[8:9], v[10:11]
	v_div_fmas_f64 v[2:3], v[2:3], v[4:5], v[8:9]
	v_mad_u32_u24 v8, v1, s33, v0
	v_mov_b32_e32 v9, 0
	v_lshlrev_b32_e32 v4, 4, v8
	v_cmp_gt_i64_e64 s2, s[18:19], v[8:9]
	v_add_nc_u32_e32 v23, 0, v4
	v_div_fixup_f64 v[10:11], v[2:3], v[6:7], 1.0
	v_add_nc_u32_e32 v2, s36, v8
	v_lshlrev_b32_e32 v3, 4, v0
	v_ashrrev_i32_e32 v5, 31, v2
	v_sub_co_u32 v12, vcc_lo, v2, s36
	v_add_nc_u32_e32 v25, 0, v3
	v_subrev_co_ci_u32_e64 v13, null, s38, v5, vcc_lo
	s_branch .LBB24_4
.LBB24_2:                               ;   in Loop: Header=BB24_4 Depth=1
	s_inst_prefetch 0x2
	s_or_b32 exec_lo, exec_lo, s28
.LBB24_3:                               ;   in Loop: Header=BB24_4 Depth=1
	s_add_i32 s6, s30, s6
	s_waitcnt_vscnt null, 0x0
	s_ashr_i32 s7, s6, 31
	s_barrier
	v_cmp_le_i64_e64 s3, s[16:17], s[6:7]
	buffer_gl0_inv
	s_and_b32 vcc_lo, exec_lo, s3
	s_cbranch_vccnz .LBB24_47
.LBB24_4:                               ; =>This Loop Header: Depth=1
                                        ;     Child Loop BB24_8 Depth 2
                                        ;     Child Loop BB24_19 Depth 2
	;; [unrolled: 1-line block ×6, first 2 shown]
	s_mul_i32 s3, s6, s19
	s_mul_hi_u32 s4, s6, s18
	s_mul_i32 s24, s7, s18
	s_add_i32 s3, s4, s3
	s_lshl_b64 s[4:5], s[6:7], 3
	s_add_i32 s29, s3, s24
	s_add_u32 s24, s8, s4
	s_addc_u32 s25, s9, s5
	s_add_u32 s4, s10, s4
	s_addc_u32 s5, s11, s5
	s_load_dwordx2 s[24:25], s[24:25], 0x0
	s_load_dwordx2 s[26:27], s[4:5], 0x0
	s_mul_i32 s28, s6, s18
	v_cmp_ne_u32_e64 s3, 1, v22
	s_lshl_b64 s[28:29], s[28:29], 3
	s_mov_b32 s4, -1
	s_add_u32 s7, s22, s28
	s_addc_u32 s40, s23, s29
	s_add_u32 s41, s20, s28
	s_addc_u32 s42, s21, s29
	s_andn2_b32 vcc_lo, exec_lo, s34
                                        ; implicit-def: $vgpr2_vgpr3
	s_cbranch_vccnz .LBB24_15
; %bb.5:                                ;   in Loop: Header=BB24_4 Depth=1
	v_mov_b32_e32 v2, 0
	v_mov_b32_e32 v3, 0
	s_and_b32 vcc_lo, exec_lo, s3
	v_mov_b32_e32 v5, v3
	v_mov_b32_e32 v4, v2
	s_cbranch_vccnz .LBB24_14
; %bb.6:                                ;   in Loop: Header=BB24_4 Depth=1
	s_mov_b32 s4, 0
	s_branch .LBB24_8
.LBB24_7:                               ;   in Loop: Header=BB24_8 Depth=2
	s_or_b32 exec_lo, exec_lo, s3
	s_waitcnt vmcnt(0)
	v_mul_f64 v[16:17], v[14:15], v[18:19]
	s_waitcnt lgkmcnt(0)
	v_add_f64 v[20:21], v[20:21], -s[24:25]
	v_fma_f64 v[2:3], v[14:15], v[18:19], v[2:3]
	s_add_i32 s4, s4, s36
	s_ashr_i32 s5, s4, 31
	v_cmp_le_i64_e64 s3, s[18:19], s[4:5]
	s_and_b32 vcc_lo, exec_lo, s3
	v_mul_f64 v[16:17], v[20:21], v[16:17]
	v_fma_f64 v[4:5], s[26:27], v[16:17], v[4:5]
	s_cbranch_vccnz .LBB24_14
.LBB24_8:                               ;   Parent Loop BB24_4 Depth=1
                                        ; =>  This Inner Loop Header: Depth=2
	v_add_nc_u32_e32 v14, s4, v8
	v_ashrrev_i32_e32 v15, 31, v14
	v_cmp_gt_i64_e32 vcc_lo, s[18:19], v[14:15]
	v_lshlrev_b64 v[16:17], 3, v[14:15]
	v_mov_b32_e32 v14, 0
	v_mov_b32_e32 v15, 0
	s_and_saveexec_b32 s5, vcc_lo
	s_cbranch_execz .LBB24_10
; %bb.9:                                ;   in Loop: Header=BB24_8 Depth=2
	v_add_co_u32 v14, s3, s12, v16
	v_add_co_ci_u32_e64 v15, null, s13, v17, s3
	global_load_dwordx2 v[14:15], v[14:15], off
.LBB24_10:                              ;   in Loop: Header=BB24_8 Depth=2
	s_or_b32 exec_lo, exec_lo, s5
	v_mov_b32_e32 v18, 0
	v_mov_b32_e32 v20, 0
	;; [unrolled: 1-line block ×4, first 2 shown]
	s_and_saveexec_b32 s5, vcc_lo
	s_cbranch_execz .LBB24_12
; %bb.11:                               ;   in Loop: Header=BB24_8 Depth=2
	v_add_co_u32 v20, s3, s7, v16
	v_add_co_ci_u32_e64 v21, null, s40, v17, s3
	global_load_dwordx2 v[20:21], v[20:21], off
.LBB24_12:                              ;   in Loop: Header=BB24_8 Depth=2
	s_or_b32 exec_lo, exec_lo, s5
	s_and_saveexec_b32 s3, vcc_lo
	s_cbranch_execz .LBB24_7
; %bb.13:                               ;   in Loop: Header=BB24_8 Depth=2
	v_add_co_u32 v16, vcc_lo, s41, v16
	v_add_co_ci_u32_e64 v17, null, s42, v17, vcc_lo
	global_load_dwordx2 v[18:19], v[16:17], off
	s_branch .LBB24_7
.LBB24_14:                              ;   in Loop: Header=BB24_4 Depth=1
	s_mov_b32 s4, 0
.LBB24_15:                              ;   in Loop: Header=BB24_4 Depth=1
	s_andn2_b32 vcc_lo, exec_lo, s4
	s_cbranch_vccnz .LBB24_23
; %bb.16:                               ;   in Loop: Header=BB24_4 Depth=1
	v_mov_b32_e32 v2, 0
	v_mov_b32_e32 v3, 0
	s_andn2_b32 vcc_lo, exec_lo, s39
	v_mov_b32_e32 v5, v3
	v_mov_b32_e32 v4, v2
	s_cbranch_vccnz .LBB24_23
; %bb.17:                               ;   in Loop: Header=BB24_4 Depth=1
	s_mov_b32 s4, 0
	s_inst_prefetch 0x1
	s_branch .LBB24_19
	.p2align	6
.LBB24_18:                              ;   in Loop: Header=BB24_19 Depth=2
	s_or_b32 exec_lo, exec_lo, s3
	s_waitcnt vmcnt(0) lgkmcnt(0)
	v_add_f64 v[14:15], v[14:15], -s[24:25]
	v_add_f64 v[2:3], v[2:3], v[18:19]
	s_add_i32 s4, s4, s36
	s_ashr_i32 s5, s4, 31
	v_cmp_le_i64_e64 s3, s[18:19], s[4:5]
	s_and_b32 vcc_lo, exec_lo, s3
	v_mul_f64 v[14:15], v[14:15], v[18:19]
	v_fma_f64 v[4:5], s[26:27], v[14:15], v[4:5]
	s_cbranch_vccnz .LBB24_23
.LBB24_19:                              ;   Parent Loop BB24_4 Depth=1
                                        ; =>  This Inner Loop Header: Depth=2
	v_add_nc_u32_e32 v14, s4, v8
	v_ashrrev_i32_e32 v15, 31, v14
	v_cmp_gt_i64_e32 vcc_lo, s[18:19], v[14:15]
	v_lshlrev_b64 v[16:17], 3, v[14:15]
	v_mov_b32_e32 v14, 0
	v_mov_b32_e32 v15, 0
	s_and_saveexec_b32 s5, vcc_lo
	s_cbranch_execz .LBB24_21
; %bb.20:                               ;   in Loop: Header=BB24_19 Depth=2
	v_add_co_u32 v14, s3, s7, v16
	v_add_co_ci_u32_e64 v15, null, s40, v17, s3
	global_load_dwordx2 v[14:15], v[14:15], off
.LBB24_21:                              ;   in Loop: Header=BB24_19 Depth=2
	s_or_b32 exec_lo, exec_lo, s5
	v_mov_b32_e32 v18, 0
	v_mov_b32_e32 v19, 0
	s_and_saveexec_b32 s3, vcc_lo
	s_cbranch_execz .LBB24_18
; %bb.22:                               ;   in Loop: Header=BB24_19 Depth=2
	v_add_co_u32 v16, vcc_lo, s41, v16
	v_add_co_ci_u32_e64 v17, null, s42, v17, vcc_lo
	global_load_dwordx2 v[18:19], v[16:17], off
	s_branch .LBB24_18
.LBB24_23:                              ;   in Loop: Header=BB24_4 Depth=1
	s_inst_prefetch 0x2
	s_andn2_b32 vcc_lo, exec_lo, s35
	s_cbranch_vccnz .LBB24_26
; %bb.24:                               ;   in Loop: Header=BB24_4 Depth=1
	s_mov_b32 s3, s33
	.p2align	6
.LBB24_25:                              ;   Parent Loop BB24_4 Depth=1
                                        ; =>  This Inner Loop Header: Depth=2
	s_lshr_b32 s4, s3, 1
	s_cmp_lt_u32 s3, 4
	v_xor_b32_e32 v14, s4, v24
	s_mov_b32 s3, s4
	v_cmp_gt_i32_e32 vcc_lo, 32, v14
	v_cndmask_b32_e32 v14, v24, v14, vcc_lo
	v_lshlrev_b32_e32 v17, 2, v14
	ds_bpermute_b32 v14, v17, v2
	ds_bpermute_b32 v15, v17, v3
	;; [unrolled: 1-line block ×4, first 2 shown]
	s_waitcnt lgkmcnt(0)
	v_add_f64 v[2:3], v[2:3], v[14:15]
	v_add_f64 v[4:5], v[4:5], v[16:17]
	s_cbranch_scc0 .LBB24_25
.LBB24_26:                              ;   in Loop: Header=BB24_4 Depth=1
	s_andn2_b32 vcc_lo, exec_lo, s37
	s_mov_b32 s5, s31
	s_cbranch_vccnz .LBB24_38
	.p2align	6
.LBB24_27:                              ;   Parent Loop BB24_4 Depth=1
                                        ; =>  This Inner Loop Header: Depth=2
	s_lshr_b32 s43, s5, 1
	s_and_b32 s4, s5, 0xfffe
	v_cmp_le_u32_e64 s3, s43, v1
	v_cmp_gt_u32_e64 s4, s4, v1
	v_cmp_gt_u32_e32 vcc_lo, s43, v1
	s_and_b32 s4, s3, s4
	s_and_saveexec_b32 s3, s4
	s_cbranch_execz .LBB24_29
; %bb.28:                               ;   in Loop: Header=BB24_27 Depth=2
	v_subrev_nc_u32_e32 v14, s43, v1
	v_mad_u32_u24 v14, v14, s33, v0
	v_lshl_add_u32 v14, v14, 4, 0
	ds_write2_b64 v14, v[2:3], v[4:5] offset1:1
.LBB24_29:                              ;   in Loop: Header=BB24_27 Depth=2
	s_or_b32 exec_lo, exec_lo, s3
	s_waitcnt lgkmcnt(0)
	s_barrier
	buffer_gl0_inv
	s_and_saveexec_b32 s3, vcc_lo
	s_cbranch_execz .LBB24_31
; %bb.30:                               ;   in Loop: Header=BB24_27 Depth=2
	ds_read2_b64 v[14:17], v23 offset1:1
	s_waitcnt lgkmcnt(0)
	v_add_f64 v[2:3], v[2:3], v[14:15]
	v_add_f64 v[4:5], v[4:5], v[16:17]
.LBB24_31:                              ;   in Loop: Header=BB24_27 Depth=2
	s_or_b32 exec_lo, exec_lo, s3
	s_cmp_lt_u32 s5, 4
	s_barrier
	buffer_gl0_inv
	s_cbranch_scc1 .LBB24_33
; %bb.32:                               ;   in Loop: Header=BB24_27 Depth=2
	s_mov_b32 s5, s43
	s_branch .LBB24_27
.LBB24_33:                              ;   in Loop: Header=BB24_4 Depth=1
	s_and_saveexec_b32 s3, s0
; %bb.34:                               ;   in Loop: Header=BB24_4 Depth=1
	ds_write2_b64 v25, v[2:3], v[4:5] offset1:1
; %bb.35:                               ;   in Loop: Header=BB24_4 Depth=1
	s_or_b32 exec_lo, exec_lo, s3
	s_waitcnt lgkmcnt(0)
	s_barrier
	buffer_gl0_inv
	s_and_saveexec_b32 s3, s1
; %bb.36:                               ;   in Loop: Header=BB24_4 Depth=1
	ds_read2_b64 v[2:5], v25 offset1:1
; %bb.37:                               ;   in Loop: Header=BB24_4 Depth=1
	s_or_b32 exec_lo, exec_lo, s3
.LBB24_38:                              ;   in Loop: Header=BB24_4 Depth=1
	s_waitcnt lgkmcnt(0)
	v_mul_f64 v[14:15], v[10:11], s[26:27]
	s_add_u32 s4, s14, s28
	s_addc_u32 s5, s15, s29
	s_andn2_b32 vcc_lo, exec_lo, s34
	s_cbranch_vccnz .LBB24_43
; %bb.39:                               ;   in Loop: Header=BB24_4 Depth=1
	s_and_saveexec_b32 s28, s2
	s_cbranch_execz .LBB24_42
; %bb.40:                               ;   in Loop: Header=BB24_4 Depth=1
	v_mov_b32_e32 v17, v13
	v_mov_b32_e32 v19, v9
	v_mov_b32_e32 v16, v12
	v_mov_b32_e32 v18, v8
	s_mov_b32 s29, 0
	s_inst_prefetch 0x1
	.p2align	6
.LBB24_41:                              ;   Parent Loop BB24_4 Depth=1
                                        ; =>  This Inner Loop Header: Depth=2
	v_lshlrev_b64 v[20:21], 3, v[18:19]
	v_add_co_u32 v18, vcc_lo, s41, v20
	v_add_co_ci_u32_e64 v19, null, s42, v21, vcc_lo
	v_add_co_u32 v26, vcc_lo, s7, v20
	v_add_co_ci_u32_e64 v27, null, s40, v21, vcc_lo
	global_load_dwordx2 v[18:19], v[18:19], off
	global_load_dwordx2 v[26:27], v[26:27], off
	v_add_co_u32 v28, vcc_lo, s12, v20
	v_add_co_ci_u32_e64 v29, null, s13, v21, vcc_lo
	v_add_co_u32 v16, vcc_lo, v16, s36
	v_add_co_ci_u32_e64 v17, null, s38, v17, vcc_lo
	global_load_dwordx2 v[28:29], v[28:29], off
	v_add_co_u32 v20, s3, s4, v20
	v_cmp_le_i64_e32 vcc_lo, s[18:19], v[16:17]
	v_add_co_ci_u32_e64 v21, null, s5, v21, s3
	s_or_b32 s29, vcc_lo, s29
	s_waitcnt vmcnt(2)
	v_mul_f64 v[18:19], v[18:19], v[6:7]
	s_waitcnt vmcnt(1)
	v_add_f64 v[26:27], v[26:27], -s[24:25]
	s_waitcnt vmcnt(0)
	v_fma_f64 v[18:19], v[18:19], v[28:29], -v[2:3]
	v_mul_f64 v[26:27], s[26:27], v[26:27]
	v_fma_f64 v[18:19], -v[4:5], v[26:27], v[18:19]
	v_mul_f64 v[26:27], v[14:15], v[18:19]
	v_ashrrev_i32_e32 v19, 31, v16
	v_mov_b32_e32 v18, v16
	global_store_dwordx2 v[20:21], v[26:27], off
	s_andn2_b32 exec_lo, exec_lo, s29
	s_cbranch_execnz .LBB24_41
.LBB24_42:                              ;   in Loop: Header=BB24_4 Depth=1
	s_inst_prefetch 0x2
	s_or_b32 exec_lo, exec_lo, s28
	s_cbranch_execnz .LBB24_3
	s_branch .LBB24_44
.LBB24_43:                              ;   in Loop: Header=BB24_4 Depth=1
.LBB24_44:                              ;   in Loop: Header=BB24_4 Depth=1
	s_and_saveexec_b32 s28, s2
	s_cbranch_execz .LBB24_2
; %bb.45:                               ;   in Loop: Header=BB24_4 Depth=1
	v_mov_b32_e32 v17, v13
	v_mov_b32_e32 v19, v9
	;; [unrolled: 1-line block ×4, first 2 shown]
	s_mov_b32 s29, 0
	s_inst_prefetch 0x1
	.p2align	6
.LBB24_46:                              ;   Parent Loop BB24_4 Depth=1
                                        ; =>  This Inner Loop Header: Depth=2
	v_lshlrev_b64 v[20:21], 3, v[18:19]
	v_add_co_u32 v18, vcc_lo, s7, v20
	v_add_co_ci_u32_e64 v19, null, s40, v21, vcc_lo
	v_add_co_u32 v26, vcc_lo, s41, v20
	v_add_co_ci_u32_e64 v27, null, s42, v21, vcc_lo
	global_load_dwordx2 v[18:19], v[18:19], off
	v_add_co_u32 v16, vcc_lo, v16, s36
	global_load_dwordx2 v[26:27], v[26:27], off
	v_add_co_ci_u32_e64 v17, null, s38, v17, vcc_lo
	v_add_co_u32 v20, s3, s4, v20
	v_add_co_ci_u32_e64 v21, null, s5, v21, s3
	v_cmp_le_i64_e32 vcc_lo, s[18:19], v[16:17]
	s_or_b32 s29, vcc_lo, s29
	s_waitcnt vmcnt(1)
	v_add_f64 v[18:19], v[18:19], -s[24:25]
	s_waitcnt vmcnt(0)
	v_fma_f64 v[26:27], v[26:27], v[6:7], -v[2:3]
	v_mul_f64 v[18:19], s[26:27], v[18:19]
	v_fma_f64 v[18:19], -v[4:5], v[18:19], v[26:27]
	v_mul_f64 v[26:27], v[14:15], v[18:19]
	v_ashrrev_i32_e32 v19, 31, v16
	v_mov_b32_e32 v18, v16
	global_store_dwordx2 v[20:21], v[26:27], off
	s_andn2_b32 exec_lo, exec_lo, s29
	s_cbranch_execnz .LBB24_46
	s_branch .LBB24_2
.LBB24_47:
	s_endpgm
	.section	.rodata,"a",@progbits
	.p2align	6, 0x0
	.amdhsa_kernel _ZN2at6native12_GLOBAL__N_118cuComputeGradInputIddLb0EEEvPKT_S5_llPKT0_S8_S5_PS3_
		.amdhsa_group_segment_fixed_size 0
		.amdhsa_private_segment_fixed_size 0
		.amdhsa_kernarg_size 320
		.amdhsa_user_sgpr_count 6
		.amdhsa_user_sgpr_private_segment_buffer 1
		.amdhsa_user_sgpr_dispatch_ptr 0
		.amdhsa_user_sgpr_queue_ptr 0
		.amdhsa_user_sgpr_kernarg_segment_ptr 1
		.amdhsa_user_sgpr_dispatch_id 0
		.amdhsa_user_sgpr_flat_scratch_init 0
		.amdhsa_user_sgpr_private_segment_size 0
		.amdhsa_wavefront_size32 1
		.amdhsa_uses_dynamic_stack 0
		.amdhsa_system_sgpr_private_segment_wavefront_offset 0
		.amdhsa_system_sgpr_workgroup_id_x 1
		.amdhsa_system_sgpr_workgroup_id_y 1
		.amdhsa_system_sgpr_workgroup_id_z 0
		.amdhsa_system_sgpr_workgroup_info 0
		.amdhsa_system_vgpr_workitem_id 1
		.amdhsa_next_free_vgpr 30
		.amdhsa_next_free_sgpr 44
		.amdhsa_reserve_vcc 1
		.amdhsa_reserve_flat_scratch 0
		.amdhsa_float_round_mode_32 0
		.amdhsa_float_round_mode_16_64 0
		.amdhsa_float_denorm_mode_32 3
		.amdhsa_float_denorm_mode_16_64 3
		.amdhsa_dx10_clamp 1
		.amdhsa_ieee_mode 1
		.amdhsa_fp16_overflow 0
		.amdhsa_workgroup_processor_mode 1
		.amdhsa_memory_ordered 1
		.amdhsa_forward_progress 1
		.amdhsa_shared_vgpr_count 0
		.amdhsa_exception_fp_ieee_invalid_op 0
		.amdhsa_exception_fp_denorm_src 0
		.amdhsa_exception_fp_ieee_div_zero 0
		.amdhsa_exception_fp_ieee_overflow 0
		.amdhsa_exception_fp_ieee_underflow 0
		.amdhsa_exception_fp_ieee_inexact 0
		.amdhsa_exception_int_div_zero 0
	.end_amdhsa_kernel
	.section	.text._ZN2at6native12_GLOBAL__N_118cuComputeGradInputIddLb0EEEvPKT_S5_llPKT0_S8_S5_PS3_,"axG",@progbits,_ZN2at6native12_GLOBAL__N_118cuComputeGradInputIddLb0EEEvPKT_S5_llPKT0_S8_S5_PS3_,comdat
.Lfunc_end24:
	.size	_ZN2at6native12_GLOBAL__N_118cuComputeGradInputIddLb0EEEvPKT_S5_llPKT0_S8_S5_PS3_, .Lfunc_end24-_ZN2at6native12_GLOBAL__N_118cuComputeGradInputIddLb0EEEvPKT_S5_llPKT0_S8_S5_PS3_
                                        ; -- End function
	.set _ZN2at6native12_GLOBAL__N_118cuComputeGradInputIddLb0EEEvPKT_S5_llPKT0_S8_S5_PS3_.num_vgpr, 30
	.set _ZN2at6native12_GLOBAL__N_118cuComputeGradInputIddLb0EEEvPKT_S5_llPKT0_S8_S5_PS3_.num_agpr, 0
	.set _ZN2at6native12_GLOBAL__N_118cuComputeGradInputIddLb0EEEvPKT_S5_llPKT0_S8_S5_PS3_.numbered_sgpr, 44
	.set _ZN2at6native12_GLOBAL__N_118cuComputeGradInputIddLb0EEEvPKT_S5_llPKT0_S8_S5_PS3_.num_named_barrier, 0
	.set _ZN2at6native12_GLOBAL__N_118cuComputeGradInputIddLb0EEEvPKT_S5_llPKT0_S8_S5_PS3_.private_seg_size, 0
	.set _ZN2at6native12_GLOBAL__N_118cuComputeGradInputIddLb0EEEvPKT_S5_llPKT0_S8_S5_PS3_.uses_vcc, 1
	.set _ZN2at6native12_GLOBAL__N_118cuComputeGradInputIddLb0EEEvPKT_S5_llPKT0_S8_S5_PS3_.uses_flat_scratch, 0
	.set _ZN2at6native12_GLOBAL__N_118cuComputeGradInputIddLb0EEEvPKT_S5_llPKT0_S8_S5_PS3_.has_dyn_sized_stack, 0
	.set _ZN2at6native12_GLOBAL__N_118cuComputeGradInputIddLb0EEEvPKT_S5_llPKT0_S8_S5_PS3_.has_recursion, 0
	.set _ZN2at6native12_GLOBAL__N_118cuComputeGradInputIddLb0EEEvPKT_S5_llPKT0_S8_S5_PS3_.has_indirect_call, 0
	.section	.AMDGPU.csdata,"",@progbits
; Kernel info:
; codeLenInByte = 1904
; TotalNumSgprs: 46
; NumVgprs: 30
; ScratchSize: 0
; MemoryBound: 0
; FloatMode: 240
; IeeeMode: 1
; LDSByteSize: 0 bytes/workgroup (compile time only)
; SGPRBlocks: 0
; VGPRBlocks: 3
; NumSGPRsForWavesPerEU: 46
; NumVGPRsForWavesPerEU: 30
; Occupancy: 16
; WaveLimiterHint : 0
; COMPUTE_PGM_RSRC2:SCRATCH_EN: 0
; COMPUTE_PGM_RSRC2:USER_SGPR: 6
; COMPUTE_PGM_RSRC2:TRAP_HANDLER: 0
; COMPUTE_PGM_RSRC2:TGID_X_EN: 1
; COMPUTE_PGM_RSRC2:TGID_Y_EN: 1
; COMPUTE_PGM_RSRC2:TGID_Z_EN: 0
; COMPUTE_PGM_RSRC2:TIDIG_COMP_CNT: 1
	.section	.text._ZN2at6native12_GLOBAL__N_128layer_norm_grad_input_kernelIddLb0EEEvPKT_S5_PKT0_S8_S5_PS3_i,"axG",@progbits,_ZN2at6native12_GLOBAL__N_128layer_norm_grad_input_kernelIddLb0EEEvPKT_S5_PKT0_S8_S5_PS3_i,comdat
	.globl	_ZN2at6native12_GLOBAL__N_128layer_norm_grad_input_kernelIddLb0EEEvPKT_S5_PKT0_S8_S5_PS3_i ; -- Begin function _ZN2at6native12_GLOBAL__N_128layer_norm_grad_input_kernelIddLb0EEEvPKT_S5_PKT0_S8_S5_PS3_i
	.p2align	8
	.type	_ZN2at6native12_GLOBAL__N_128layer_norm_grad_input_kernelIddLb0EEEvPKT_S5_PKT0_S8_S5_PS3_i,@function
_ZN2at6native12_GLOBAL__N_128layer_norm_grad_input_kernelIddLb0EEEvPKT_S5_PKT0_S8_S5_PS3_i: ; @_ZN2at6native12_GLOBAL__N_128layer_norm_grad_input_kernelIddLb0EEEvPKT_S5_PKT0_S8_S5_PS3_i
; %bb.0:
	s_clause 0x2
	s_load_dword s18, s[4:5], 0x30
	s_load_dwordx8 s[8:15], s[4:5], 0x0
	s_load_dwordx2 s[2:3], s[4:5], 0x20
	s_mov_b32 s7, 0
	v_lshlrev_b32_e32 v3, 2, v0
	v_mov_b32_e32 v5, 0
	v_mov_b32_e32 v1, 0
	;; [unrolled: 1-line block ×4, first 2 shown]
	v_or_b32_e32 v4, 3, v3
	s_waitcnt lgkmcnt(0)
	s_ashr_i32 s0, s18, 31
	s_mul_hi_u32 s16, s18, s6
	s_mul_i32 s17, s0, s6
	s_lshl_b64 s[0:1], s[6:7], 3
	s_add_i32 s17, s16, s17
	s_add_u32 s12, s12, s0
	s_addc_u32 s13, s13, s1
	s_add_u32 s0, s14, s0
	s_addc_u32 s1, s15, s1
	s_load_dwordx2 s[12:13], s[12:13], 0x0
	s_load_dwordx2 s[14:15], s[0:1], 0x0
	s_mul_i32 s16, s18, s6
	s_mov_b32 s0, exec_lo
	s_lshl_b64 s[16:17], s[16:17], 3
	s_add_u32 s6, s10, s16
	s_addc_u32 s19, s11, s17
	s_add_u32 s20, s8, s16
	s_addc_u32 s21, s9, s17
	v_cmpx_gt_u32_e64 s18, v4
	s_cbranch_execz .LBB25_12
; %bb.1:
	s_load_dword s22, s[4:5], 0x44
	s_cmp_lg_u64 s[2:3], 0
	v_mov_b32_e32 v5, 0
	v_mov_b32_e32 v1, 0
	;; [unrolled: 1-line block ×5, first 2 shown]
	s_cselect_b32 s1, -1, 0
	s_waitcnt lgkmcnt(0)
	s_and_b32 s22, s22, 0xffff
	s_lshl_b32 s22, s22, 2
	s_branch .LBB25_3
.LBB25_2:                               ;   in Loop: Header=BB25_3 Depth=1
	global_load_dwordx2 v[17:18], v[17:18], off offset:24
	global_load_dwordx2 v[11:12], v[11:12], off offset:24
	s_waitcnt vmcnt(6)
	v_mul_f64 v[19:20], v[9:10], v[13:14]
	v_add_f64 v[15:16], v[15:16], -s[12:13]
	s_waitcnt vmcnt(4)
	v_mul_f64 v[33:34], v[7:8], v[23:24]
	v_add_f64 v[27:28], v[27:28], -s[12:13]
	v_fma_f64 v[5:6], v[9:10], v[13:14], v[5:6]
	s_waitcnt vmcnt(2)
	v_mul_f64 v[9:10], v[25:26], v[29:30]
	v_add_f64 v[13:14], v[31:32], -s[12:13]
	v_add_nc_u32_e32 v3, s22, v3
	v_mul_f64 v[15:16], v[15:16], v[19:20]
	v_mul_f64 v[19:20], v[27:28], v[33:34]
	v_fma_f64 v[5:6], v[7:8], v[23:24], v[5:6]
	v_mul_f64 v[7:8], v[13:14], v[9:10]
	v_fma_f64 v[1:2], s[14:15], v[15:16], v[1:2]
	v_fma_f64 v[5:6], v[25:26], v[29:30], v[5:6]
	;; [unrolled: 1-line block ×4, first 2 shown]
	s_waitcnt vmcnt(1)
	v_mul_f64 v[9:10], v[21:22], v[17:18]
	s_waitcnt vmcnt(0)
	v_add_f64 v[11:12], v[11:12], -s[12:13]
	v_fma_f64 v[5:6], v[21:22], v[17:18], v[5:6]
	v_mul_f64 v[7:8], v[11:12], v[9:10]
	v_fma_f64 v[1:2], s[14:15], v[7:8], v[1:2]
	v_add_nc_u32_e32 v7, 3, v3
	v_cmp_le_u32_e32 vcc_lo, s18, v7
	s_or_b32 s7, vcc_lo, s7
	s_andn2_b32 exec_lo, exec_lo, s7
	s_cbranch_execz .LBB25_11
.LBB25_3:                               ; =>This Inner Loop Header: Depth=1
	v_mov_b32_e32 v7, 0
	v_lshlrev_b64 v[19:20], 3, v[3:4]
	v_mov_b32_e32 v9, 0
	v_mov_b32_e32 v8, 0x3ff00000
	;; [unrolled: 1-line block ×3, first 2 shown]
	s_and_b32 vcc_lo, exec_lo, s1
	s_cbranch_vccz .LBB25_5
; %bb.4:                                ;   in Loop: Header=BB25_3 Depth=1
	v_add_co_u32 v9, vcc_lo, s2, v19
	v_add_co_ci_u32_e64 v10, null, s3, v20, vcc_lo
	global_load_dwordx2 v[9:10], v[9:10], off
.LBB25_5:                               ;   in Loop: Header=BB25_3 Depth=1
	v_add_co_u32 v11, vcc_lo, s6, v19
	v_add_co_ci_u32_e64 v12, null, s19, v20, vcc_lo
	v_add_co_u32 v17, vcc_lo, s20, v19
	v_add_co_ci_u32_e64 v18, null, s21, v20, vcc_lo
	global_load_dwordx2 v[15:16], v[11:12], off
	global_load_dwordx2 v[13:14], v[17:18], off
	s_andn2_b32 vcc_lo, exec_lo, s1
	s_cbranch_vccnz .LBB25_7
; %bb.6:                                ;   in Loop: Header=BB25_3 Depth=1
	v_add_co_u32 v7, vcc_lo, s2, v19
	v_add_co_ci_u32_e64 v8, null, s3, v20, vcc_lo
	global_load_dwordx2 v[7:8], v[7:8], off offset:8
.LBB25_7:                               ;   in Loop: Header=BB25_3 Depth=1
	global_load_dwordx2 v[27:28], v[11:12], off offset:8
	global_load_dwordx2 v[23:24], v[17:18], off offset:8
	v_mov_b32_e32 v21, 0
	v_mov_b32_e32 v25, 0
	;; [unrolled: 1-line block ×4, first 2 shown]
	s_andn2_b32 vcc_lo, exec_lo, s1
	s_cbranch_vccnz .LBB25_9
; %bb.8:                                ;   in Loop: Header=BB25_3 Depth=1
	v_add_co_u32 v25, vcc_lo, s2, v19
	v_add_co_ci_u32_e64 v26, null, s3, v20, vcc_lo
	global_load_dwordx2 v[25:26], v[25:26], off offset:16
.LBB25_9:                               ;   in Loop: Header=BB25_3 Depth=1
	global_load_dwordx2 v[31:32], v[11:12], off offset:16
	global_load_dwordx2 v[29:30], v[17:18], off offset:16
	s_andn2_b32 vcc_lo, exec_lo, s1
	s_cbranch_vccnz .LBB25_2
; %bb.10:                               ;   in Loop: Header=BB25_3 Depth=1
	v_add_co_u32 v19, vcc_lo, s2, v19
	v_add_co_ci_u32_e64 v20, null, s3, v20, vcc_lo
	global_load_dwordx2 v[21:22], v[19:20], off offset:24
	s_branch .LBB25_2
.LBB25_11:
	s_or_b32 exec_lo, exec_lo, s7
.LBB25_12:
	s_or_b32 exec_lo, exec_lo, s0
	s_mov_b32 s1, exec_lo
	v_cmpx_gt_u32_e64 s18, v3
	s_cbranch_execz .LBB25_19
; %bb.13:
	v_mov_b32_e32 v4, 0
	s_cmp_lg_u64 s[2:3], 0
	s_cselect_b32 s7, -1, 0
	v_lshlrev_b64 v[7:8], 3, v[3:4]
	v_add_co_u32 v4, vcc_lo, s16, v7
	v_add_co_ci_u32_e64 v12, null, s17, v8, vcc_lo
	v_add_co_u32 v7, vcc_lo, s2, v7
	v_add_co_ci_u32_e64 v8, null, s3, v8, vcc_lo
	v_add_co_u32 v9, vcc_lo, s10, v4
	v_add_co_ci_u32_e64 v10, null, s11, v12, vcc_lo
	v_add_co_u32 v11, vcc_lo, s8, v4
	v_add_co_ci_u32_e64 v12, null, s9, v12, vcc_lo
	s_mov_b32 s8, 0
	s_inst_prefetch 0x1
	s_branch .LBB25_16
	.p2align	6
.LBB25_14:                              ;   in Loop: Header=BB25_16 Depth=1
	global_load_dwordx2 v[13:14], v[7:8], off
.LBB25_15:                              ;   in Loop: Header=BB25_16 Depth=1
	global_load_dwordx2 v[15:16], v[11:12], off
	global_load_dwordx2 v[17:18], v[9:10], off
	v_add_nc_u32_e32 v3, 1, v3
	v_add_co_u32 v7, vcc_lo, v7, 8
	v_add_co_ci_u32_e64 v8, null, 0, v8, vcc_lo
	v_add_co_u32 v9, vcc_lo, v9, 8
	v_add_co_ci_u32_e64 v10, null, 0, v10, vcc_lo
	v_cmp_le_u32_e32 vcc_lo, s18, v3
	v_add_co_u32 v11, s0, v11, 8
	v_add_co_ci_u32_e64 v12, null, 0, v12, s0
	s_or_b32 s8, vcc_lo, s8
	s_waitcnt vmcnt(1)
	v_mul_f64 v[19:20], v[13:14], v[15:16]
	s_waitcnt vmcnt(0) lgkmcnt(0)
	v_add_f64 v[17:18], v[17:18], -s[12:13]
	v_fma_f64 v[5:6], v[13:14], v[15:16], v[5:6]
	v_mul_f64 v[17:18], v[17:18], v[19:20]
	v_fma_f64 v[1:2], s[14:15], v[17:18], v[1:2]
	s_andn2_b32 exec_lo, exec_lo, s8
	s_cbranch_execz .LBB25_18
.LBB25_16:                              ; =>This Inner Loop Header: Depth=1
	s_andn2_b32 vcc_lo, exec_lo, s7
	s_cbranch_vccz .LBB25_14
; %bb.17:                               ;   in Loop: Header=BB25_16 Depth=1
	v_mov_b32_e32 v13, 0
	v_mov_b32_e32 v14, 0x3ff00000
	s_branch .LBB25_15
.LBB25_18:
	s_inst_prefetch 0x2
	s_or_b32 exec_lo, exec_lo, s8
.LBB25_19:
	s_or_b32 exec_lo, exec_lo, s1
	v_mbcnt_lo_u32_b32 v11, -1, 0
	v_and_b32_e32 v13, 31, v0
	v_lshrrev_b32_e32 v12, 2, v0
	s_waitcnt lgkmcnt(0)
	s_barrier
	v_lshl_or_b32 v7, v11, 2, 64
	v_cmp_gt_u32_e32 vcc_lo, 24, v11
	buffer_gl0_inv
	ds_bpermute_b32 v3, v7, v5
	ds_bpermute_b32 v4, v7, v6
	s_waitcnt lgkmcnt(0)
	v_add_f64 v[3:4], v[5:6], v[3:4]
	v_cndmask_b32_e64 v5, 0, 8, vcc_lo
	v_cmp_gt_u32_e32 vcc_lo, 28, v11
	v_add_lshl_u32 v8, v5, v11, 2
	ds_bpermute_b32 v5, v8, v3
	ds_bpermute_b32 v6, v8, v4
	s_waitcnt lgkmcnt(0)
	v_add_f64 v[3:4], v[3:4], v[5:6]
	v_cndmask_b32_e64 v5, 0, 4, vcc_lo
	v_cmp_gt_u32_e32 vcc_lo, 30, v11
	v_add_lshl_u32 v9, v5, v11, 2
	ds_bpermute_b32 v5, v9, v3
	ds_bpermute_b32 v6, v9, v4
	s_waitcnt lgkmcnt(0)
	v_add_f64 v[3:4], v[3:4], v[5:6]
	v_cndmask_b32_e64 v5, 0, 2, vcc_lo
	v_cmp_ne_u32_e32 vcc_lo, 31, v11
	v_add_lshl_u32 v10, v5, v11, 2
	ds_bpermute_b32 v5, v10, v3
	ds_bpermute_b32 v6, v10, v4
	s_waitcnt lgkmcnt(0)
	v_add_f64 v[3:4], v[3:4], v[5:6]
	v_add_co_ci_u32_e64 v5, null, 0, v11, vcc_lo
	v_cmp_eq_u32_e32 vcc_lo, 0, v13
	v_lshlrev_b32_e32 v11, 2, v5
	ds_bpermute_b32 v5, v11, v3
	ds_bpermute_b32 v6, v11, v4
	s_and_saveexec_b32 s0, vcc_lo
	s_cbranch_execz .LBB25_21
; %bb.20:
	s_waitcnt lgkmcnt(0)
	v_add_f64 v[3:4], v[3:4], v[5:6]
	v_add_nc_u32_e32 v5, 0, v12
	ds_write_b64 v5, v[3:4]
.LBB25_21:
	s_or_b32 exec_lo, exec_lo, s0
	s_waitcnt lgkmcnt(0)
	s_barrier
	buffer_gl0_inv
	s_load_dword s7, s[4:5], 0x44
	v_mov_b32_e32 v3, 0
	v_mov_b32_e32 v4, 0
	v_lshl_add_u32 v13, v13, 3, 0
	s_waitcnt lgkmcnt(0)
	s_bfe_u32 s0, s7, 0xb0005
	v_cmp_gt_u32_e64 s0, s0, v0
	s_and_saveexec_b32 s1, s0
; %bb.22:
	ds_read_b64 v[3:4], v13
; %bb.23:
	s_or_b32 exec_lo, exec_lo, s1
	v_cmp_gt_u32_e64 s1, 32, v0
	s_and_saveexec_b32 s8, s1
	s_cbranch_execz .LBB25_25
; %bb.24:
	s_waitcnt lgkmcnt(0)
	ds_bpermute_b32 v5, v7, v3
	ds_bpermute_b32 v6, v7, v4
	s_waitcnt lgkmcnt(0)
	v_add_f64 v[3:4], v[3:4], v[5:6]
	ds_bpermute_b32 v5, v8, v3
	ds_bpermute_b32 v6, v8, v4
	s_waitcnt lgkmcnt(0)
	v_add_f64 v[3:4], v[3:4], v[5:6]
	;; [unrolled: 4-line block ×5, first 2 shown]
.LBB25_25:
	s_or_b32 exec_lo, exec_lo, s8
	ds_bpermute_b32 v5, v7, v1
	ds_bpermute_b32 v6, v7, v2
	s_waitcnt lgkmcnt(0)
	s_barrier
	buffer_gl0_inv
	v_add_f64 v[1:2], v[1:2], v[5:6]
	ds_bpermute_b32 v5, v8, v1
	ds_bpermute_b32 v6, v8, v2
	s_waitcnt lgkmcnt(0)
	v_add_f64 v[1:2], v[1:2], v[5:6]
	ds_bpermute_b32 v5, v9, v1
	ds_bpermute_b32 v6, v9, v2
	s_waitcnt lgkmcnt(0)
	;; [unrolled: 4-line block ×3, first 2 shown]
	v_add_f64 v[1:2], v[1:2], v[5:6]
	ds_bpermute_b32 v5, v11, v1
	ds_bpermute_b32 v6, v11, v2
	s_and_saveexec_b32 s8, vcc_lo
	s_cbranch_execz .LBB25_27
; %bb.26:
	s_waitcnt lgkmcnt(0)
	v_add_f64 v[1:2], v[1:2], v[5:6]
	v_add_nc_u32_e32 v5, 0, v12
	ds_write_b64 v5, v[1:2]
.LBB25_27:
	s_or_b32 exec_lo, exec_lo, s8
	v_mov_b32_e32 v1, 0
	v_mov_b32_e32 v2, 0
	s_waitcnt lgkmcnt(0)
	s_barrier
	buffer_gl0_inv
	s_and_saveexec_b32 s8, s0
; %bb.28:
	ds_read_b64 v[1:2], v13
; %bb.29:
	s_or_b32 exec_lo, exec_lo, s8
	s_and_saveexec_b32 s0, s1
	s_cbranch_execz .LBB25_31
; %bb.30:
	s_waitcnt lgkmcnt(0)
	ds_bpermute_b32 v5, v7, v1
	ds_bpermute_b32 v6, v7, v2
	s_waitcnt lgkmcnt(0)
	v_add_f64 v[1:2], v[1:2], v[5:6]
	ds_bpermute_b32 v5, v8, v1
	ds_bpermute_b32 v6, v8, v2
	s_waitcnt lgkmcnt(0)
	v_add_f64 v[1:2], v[1:2], v[5:6]
	ds_bpermute_b32 v5, v9, v1
	ds_bpermute_b32 v6, v9, v2
	s_waitcnt lgkmcnt(0)
	v_add_f64 v[1:2], v[1:2], v[5:6]
	ds_bpermute_b32 v5, v10, v1
	ds_bpermute_b32 v6, v10, v2
	s_waitcnt lgkmcnt(0)
	v_add_f64 v[1:2], v[1:2], v[5:6]
	ds_bpermute_b32 v5, v11, v1
	ds_bpermute_b32 v6, v11, v2
	s_waitcnt lgkmcnt(0)
	v_add_f64 v[1:2], v[1:2], v[5:6]
.LBB25_31:
	s_or_b32 exec_lo, exec_lo, s0
	s_mov_b32 s0, exec_lo
	v_cmpx_eq_u32_e32 0, v0
	s_cbranch_execz .LBB25_33
; %bb.32:
	v_mov_b32_e32 v5, 0
	s_waitcnt lgkmcnt(0)
	ds_write2_b64 v5, v[3:4], v[1:2] offset1:1
.LBB25_33:
	s_or_b32 exec_lo, exec_lo, s0
	s_waitcnt lgkmcnt(0)
	s_barrier
	buffer_gl0_inv
	s_mov_b32 s0, exec_lo
	v_cmpx_gt_i32_e64 s18, v0
	s_cbranch_execz .LBB25_39
; %bb.34:
	v_cvt_f64_i32_e32 v[6:7], s18
	s_load_dwordx2 s[4:5], s[4:5], 0x28
	s_and_b32 s1, 0xffff, s7
	s_mov_b32 s8, 0
	s_waitcnt lgkmcnt(0)
	s_add_u32 s4, s4, s16
	v_div_scale_f64 v[1:2], null, v[6:7], v[6:7], 1.0
	s_addc_u32 s5, s5, s17
	s_cmp_lg_u64 s[2:3], 0
	s_cselect_b32 s7, -1, 0
	v_rcp_f64_e32 v[3:4], v[1:2]
	v_fma_f64 v[8:9], -v[1:2], v[3:4], 1.0
	v_fma_f64 v[3:4], v[3:4], v[8:9], v[3:4]
	v_fma_f64 v[8:9], -v[1:2], v[3:4], 1.0
	v_fma_f64 v[3:4], v[3:4], v[8:9], v[3:4]
	v_div_scale_f64 v[8:9], vcc_lo, 1.0, v[6:7], 1.0
	v_mul_f64 v[10:11], v[8:9], v[3:4]
	v_fma_f64 v[1:2], -v[1:2], v[10:11], v[8:9]
	v_div_fmas_f64 v[1:2], v[1:2], v[3:4], v[10:11]
	v_mov_b32_e32 v3, 0
	v_div_fixup_f64 v[1:2], v[1:2], v[6:7], 1.0
	v_mul_f64 v[8:9], v[1:2], s[14:15]
	ds_read2_b64 v[2:5], v3 offset1:1
	s_branch .LBB25_37
.LBB25_35:                              ;   in Loop: Header=BB25_37 Depth=1
	v_add_co_u32 v16, vcc_lo, s2, v10
	v_add_co_ci_u32_e64 v17, null, s3, v11, vcc_lo
	global_load_dwordx2 v[16:17], v[16:17], off
.LBB25_36:                              ;   in Loop: Header=BB25_37 Depth=1
	s_waitcnt vmcnt(1)
	v_add_f64 v[14:15], v[14:15], -s[12:13]
	s_waitcnt vmcnt(0)
	v_mul_f64 v[16:17], v[16:17], v[6:7]
	v_add_nc_u32_e32 v0, s1, v0
	v_add_co_u32 v10, s0, s4, v10
	v_add_co_ci_u32_e64 v11, null, s5, v11, s0
	v_cmp_le_i32_e32 vcc_lo, s18, v0
	s_or_b32 s8, vcc_lo, s8
	v_mul_f64 v[14:15], s[14:15], v[14:15]
	s_waitcnt lgkmcnt(0)
	v_mul_f64 v[14:15], v[4:5], v[14:15]
	v_fma_f64 v[12:13], v[12:13], v[16:17], -v[14:15]
	v_add_f64 v[12:13], v[12:13], -v[2:3]
	v_mul_f64 v[12:13], v[8:9], v[12:13]
	global_store_dwordx2 v[10:11], v[12:13], off
	s_andn2_b32 exec_lo, exec_lo, s8
	s_cbranch_execz .LBB25_39
.LBB25_37:                              ; =>This Inner Loop Header: Depth=1
	v_ashrrev_i32_e32 v1, 31, v0
	v_lshlrev_b64 v[10:11], 3, v[0:1]
	v_add_co_u32 v12, vcc_lo, s6, v10
	v_add_co_ci_u32_e64 v13, null, s19, v11, vcc_lo
	v_add_co_u32 v16, vcc_lo, s20, v10
	v_add_co_ci_u32_e64 v17, null, s21, v11, vcc_lo
	global_load_dwordx2 v[14:15], v[12:13], off
	global_load_dwordx2 v[12:13], v[16:17], off
	s_andn2_b32 vcc_lo, exec_lo, s7
	s_cbranch_vccz .LBB25_35
; %bb.38:                               ;   in Loop: Header=BB25_37 Depth=1
	v_mov_b32_e32 v16, 0
	v_mov_b32_e32 v17, 0x3ff00000
	s_branch .LBB25_36
.LBB25_39:
	s_endpgm
	.section	.rodata,"a",@progbits
	.p2align	6, 0x0
	.amdhsa_kernel _ZN2at6native12_GLOBAL__N_128layer_norm_grad_input_kernelIddLb0EEEvPKT_S5_PKT0_S8_S5_PS3_i
		.amdhsa_group_segment_fixed_size 0
		.amdhsa_private_segment_fixed_size 0
		.amdhsa_kernarg_size 312
		.amdhsa_user_sgpr_count 6
		.amdhsa_user_sgpr_private_segment_buffer 1
		.amdhsa_user_sgpr_dispatch_ptr 0
		.amdhsa_user_sgpr_queue_ptr 0
		.amdhsa_user_sgpr_kernarg_segment_ptr 1
		.amdhsa_user_sgpr_dispatch_id 0
		.amdhsa_user_sgpr_flat_scratch_init 0
		.amdhsa_user_sgpr_private_segment_size 0
		.amdhsa_wavefront_size32 1
		.amdhsa_uses_dynamic_stack 0
		.amdhsa_system_sgpr_private_segment_wavefront_offset 0
		.amdhsa_system_sgpr_workgroup_id_x 1
		.amdhsa_system_sgpr_workgroup_id_y 0
		.amdhsa_system_sgpr_workgroup_id_z 0
		.amdhsa_system_sgpr_workgroup_info 0
		.amdhsa_system_vgpr_workitem_id 0
		.amdhsa_next_free_vgpr 35
		.amdhsa_next_free_sgpr 23
		.amdhsa_reserve_vcc 1
		.amdhsa_reserve_flat_scratch 0
		.amdhsa_float_round_mode_32 0
		.amdhsa_float_round_mode_16_64 0
		.amdhsa_float_denorm_mode_32 3
		.amdhsa_float_denorm_mode_16_64 3
		.amdhsa_dx10_clamp 1
		.amdhsa_ieee_mode 1
		.amdhsa_fp16_overflow 0
		.amdhsa_workgroup_processor_mode 1
		.amdhsa_memory_ordered 1
		.amdhsa_forward_progress 1
		.amdhsa_shared_vgpr_count 0
		.amdhsa_exception_fp_ieee_invalid_op 0
		.amdhsa_exception_fp_denorm_src 0
		.amdhsa_exception_fp_ieee_div_zero 0
		.amdhsa_exception_fp_ieee_overflow 0
		.amdhsa_exception_fp_ieee_underflow 0
		.amdhsa_exception_fp_ieee_inexact 0
		.amdhsa_exception_int_div_zero 0
	.end_amdhsa_kernel
	.section	.text._ZN2at6native12_GLOBAL__N_128layer_norm_grad_input_kernelIddLb0EEEvPKT_S5_PKT0_S8_S5_PS3_i,"axG",@progbits,_ZN2at6native12_GLOBAL__N_128layer_norm_grad_input_kernelIddLb0EEEvPKT_S5_PKT0_S8_S5_PS3_i,comdat
.Lfunc_end25:
	.size	_ZN2at6native12_GLOBAL__N_128layer_norm_grad_input_kernelIddLb0EEEvPKT_S5_PKT0_S8_S5_PS3_i, .Lfunc_end25-_ZN2at6native12_GLOBAL__N_128layer_norm_grad_input_kernelIddLb0EEEvPKT_S5_PKT0_S8_S5_PS3_i
                                        ; -- End function
	.set _ZN2at6native12_GLOBAL__N_128layer_norm_grad_input_kernelIddLb0EEEvPKT_S5_PKT0_S8_S5_PS3_i.num_vgpr, 35
	.set _ZN2at6native12_GLOBAL__N_128layer_norm_grad_input_kernelIddLb0EEEvPKT_S5_PKT0_S8_S5_PS3_i.num_agpr, 0
	.set _ZN2at6native12_GLOBAL__N_128layer_norm_grad_input_kernelIddLb0EEEvPKT_S5_PKT0_S8_S5_PS3_i.numbered_sgpr, 23
	.set _ZN2at6native12_GLOBAL__N_128layer_norm_grad_input_kernelIddLb0EEEvPKT_S5_PKT0_S8_S5_PS3_i.num_named_barrier, 0
	.set _ZN2at6native12_GLOBAL__N_128layer_norm_grad_input_kernelIddLb0EEEvPKT_S5_PKT0_S8_S5_PS3_i.private_seg_size, 0
	.set _ZN2at6native12_GLOBAL__N_128layer_norm_grad_input_kernelIddLb0EEEvPKT_S5_PKT0_S8_S5_PS3_i.uses_vcc, 1
	.set _ZN2at6native12_GLOBAL__N_128layer_norm_grad_input_kernelIddLb0EEEvPKT_S5_PKT0_S8_S5_PS3_i.uses_flat_scratch, 0
	.set _ZN2at6native12_GLOBAL__N_128layer_norm_grad_input_kernelIddLb0EEEvPKT_S5_PKT0_S8_S5_PS3_i.has_dyn_sized_stack, 0
	.set _ZN2at6native12_GLOBAL__N_128layer_norm_grad_input_kernelIddLb0EEEvPKT_S5_PKT0_S8_S5_PS3_i.has_recursion, 0
	.set _ZN2at6native12_GLOBAL__N_128layer_norm_grad_input_kernelIddLb0EEEvPKT_S5_PKT0_S8_S5_PS3_i.has_indirect_call, 0
	.section	.AMDGPU.csdata,"",@progbits
; Kernel info:
; codeLenInByte = 2344
; TotalNumSgprs: 25
; NumVgprs: 35
; ScratchSize: 0
; MemoryBound: 0
; FloatMode: 240
; IeeeMode: 1
; LDSByteSize: 0 bytes/workgroup (compile time only)
; SGPRBlocks: 0
; VGPRBlocks: 4
; NumSGPRsForWavesPerEU: 25
; NumVGPRsForWavesPerEU: 35
; Occupancy: 16
; WaveLimiterHint : 0
; COMPUTE_PGM_RSRC2:SCRATCH_EN: 0
; COMPUTE_PGM_RSRC2:USER_SGPR: 6
; COMPUTE_PGM_RSRC2:TRAP_HANDLER: 0
; COMPUTE_PGM_RSRC2:TGID_X_EN: 1
; COMPUTE_PGM_RSRC2:TGID_Y_EN: 0
; COMPUTE_PGM_RSRC2:TGID_Z_EN: 0
; COMPUTE_PGM_RSRC2:TIDIG_COMP_CNT: 0
	.section	.text._ZN2at6native12_GLOBAL__N_133GammaBetaBackwardSimpleCUDAKernelIddLb0EEEvllPKT_S5_PKT0_S8_PS3_S9_,"axG",@progbits,_ZN2at6native12_GLOBAL__N_133GammaBetaBackwardSimpleCUDAKernelIddLb0EEEvllPKT_S5_PKT0_S8_PS3_S9_,comdat
	.globl	_ZN2at6native12_GLOBAL__N_133GammaBetaBackwardSimpleCUDAKernelIddLb0EEEvllPKT_S5_PKT0_S8_PS3_S9_ ; -- Begin function _ZN2at6native12_GLOBAL__N_133GammaBetaBackwardSimpleCUDAKernelIddLb0EEEvllPKT_S5_PKT0_S8_PS3_S9_
	.p2align	8
	.type	_ZN2at6native12_GLOBAL__N_133GammaBetaBackwardSimpleCUDAKernelIddLb0EEEvllPKT_S5_PKT0_S8_PS3_S9_,@function
_ZN2at6native12_GLOBAL__N_133GammaBetaBackwardSimpleCUDAKernelIddLb0EEEvllPKT_S5_PKT0_S8_PS3_S9_: ; @_ZN2at6native12_GLOBAL__N_133GammaBetaBackwardSimpleCUDAKernelIddLb0EEEvllPKT_S5_PKT0_S8_PS3_S9_
; %bb.0:
	s_clause 0x1
	s_load_dword s0, s[4:5], 0x4c
	s_load_dwordx16 s[8:23], s[4:5], 0x0
	v_mov_b32_e32 v1, 0
	s_waitcnt lgkmcnt(0)
	s_and_b32 s0, s0, 0xffff
	v_mad_u64_u32 v[0:1], null, s0, s6, v[0:1]
	s_mov_b32 s0, exec_lo
	v_cmpx_gt_i64_e64 s[10:11], v[0:1]
	s_cbranch_execz .LBB26_14
; %bb.1:
	v_cmp_lt_i64_e64 s0, s[8:9], 1
	v_lshlrev_b64 v[0:1], 3, v[0:1]
	s_and_b32 vcc_lo, exec_lo, s0
	s_cbranch_vccnz .LBB26_9
; %bb.2:
	s_cmp_lg_u64 s[20:21], 0
	v_mov_b32_e32 v2, 0
	v_mov_b32_e32 v4, 0
	;; [unrolled: 1-line block ×6, first 2 shown]
	s_cselect_b32 s2, -1, 0
	s_cmp_lg_u64 s[22:23], 0
	s_cselect_b32 s3, -1, 0
	s_lshl_b64 s[0:1], s[10:11], 3
	s_branch .LBB26_5
.LBB26_3:                               ;   in Loop: Header=BB26_5 Depth=1
	v_add_co_u32 v10, vcc_lo, s12, v6
	v_add_co_ci_u32_e64 v11, null, s13, v7, vcc_lo
	global_load_dwordx2 v[10:11], v[10:11], off
.LBB26_4:                               ;   in Loop: Header=BB26_5 Depth=1
	v_add_f64 v[2:3], v[2:3], v[8:9]
	s_waitcnt vmcnt(0)
	v_add_f64 v[4:5], v[4:5], v[10:11]
	s_add_u32 s8, s8, -1
	s_addc_u32 s9, s9, -1
	v_add_co_u32 v6, vcc_lo, v6, s0
	s_add_u32 s18, s18, 8
	v_add_co_ci_u32_e64 v7, null, s1, v7, vcc_lo
	s_addc_u32 s19, s19, 0
	s_add_u32 s16, s16, 8
	s_addc_u32 s17, s17, 0
	s_cmp_eq_u64 s[8:9], 0
	s_cbranch_scc1 .LBB26_10
.LBB26_5:                               ; =>This Inner Loop Header: Depth=1
	v_mov_b32_e32 v8, 0
	v_mov_b32_e32 v9, 0
	s_andn2_b32 vcc_lo, exec_lo, s2
	s_cbranch_vccnz .LBB26_7
; %bb.6:                                ;   in Loop: Header=BB26_5 Depth=1
	v_add_co_u32 v8, vcc_lo, s14, v6
	v_add_co_ci_u32_e64 v9, null, s15, v7, vcc_lo
	v_add_co_u32 v10, vcc_lo, s12, v6
	v_add_co_ci_u32_e64 v11, null, s13, v7, vcc_lo
	global_load_dwordx2 v[8:9], v[8:9], off
	s_load_dwordx2 s[4:5], s[16:17], 0x0
	global_load_dwordx2 v[10:11], v[10:11], off
	s_waitcnt vmcnt(1) lgkmcnt(0)
	v_add_f64 v[8:9], v[8:9], -s[4:5]
	s_load_dwordx2 s[4:5], s[18:19], 0x0
	s_waitcnt vmcnt(0)
	v_mul_f64 v[8:9], v[10:11], v[8:9]
	s_waitcnt lgkmcnt(0)
	v_mul_f64 v[8:9], s[4:5], v[8:9]
.LBB26_7:                               ;   in Loop: Header=BB26_5 Depth=1
	s_andn2_b32 vcc_lo, exec_lo, s3
	s_cbranch_vccz .LBB26_3
; %bb.8:                                ;   in Loop: Header=BB26_5 Depth=1
	v_mov_b32_e32 v10, 0
	v_mov_b32_e32 v11, 0
	s_branch .LBB26_4
.LBB26_9:
	v_mov_b32_e32 v2, 0
	v_mov_b32_e32 v4, 0
	;; [unrolled: 1-line block ×4, first 2 shown]
.LBB26_10:
	s_cmp_lg_u64 s[20:21], 0
	s_cbranch_scc0 .LBB26_12
; %bb.11:
	v_add_co_u32 v6, vcc_lo, s20, v0
	v_add_co_ci_u32_e64 v7, null, s21, v1, vcc_lo
	global_store_dwordx2 v[6:7], v[2:3], off
.LBB26_12:
	s_cmp_eq_u64 s[22:23], 0
	s_cbranch_scc1 .LBB26_14
; %bb.13:
	v_add_co_u32 v0, vcc_lo, s22, v0
	v_add_co_ci_u32_e64 v1, null, s23, v1, vcc_lo
	global_store_dwordx2 v[0:1], v[4:5], off
.LBB26_14:
	s_endpgm
	.section	.rodata,"a",@progbits
	.p2align	6, 0x0
	.amdhsa_kernel _ZN2at6native12_GLOBAL__N_133GammaBetaBackwardSimpleCUDAKernelIddLb0EEEvllPKT_S5_PKT0_S8_PS3_S9_
		.amdhsa_group_segment_fixed_size 0
		.amdhsa_private_segment_fixed_size 0
		.amdhsa_kernarg_size 320
		.amdhsa_user_sgpr_count 6
		.amdhsa_user_sgpr_private_segment_buffer 1
		.amdhsa_user_sgpr_dispatch_ptr 0
		.amdhsa_user_sgpr_queue_ptr 0
		.amdhsa_user_sgpr_kernarg_segment_ptr 1
		.amdhsa_user_sgpr_dispatch_id 0
		.amdhsa_user_sgpr_flat_scratch_init 0
		.amdhsa_user_sgpr_private_segment_size 0
		.amdhsa_wavefront_size32 1
		.amdhsa_uses_dynamic_stack 0
		.amdhsa_system_sgpr_private_segment_wavefront_offset 0
		.amdhsa_system_sgpr_workgroup_id_x 1
		.amdhsa_system_sgpr_workgroup_id_y 0
		.amdhsa_system_sgpr_workgroup_id_z 0
		.amdhsa_system_sgpr_workgroup_info 0
		.amdhsa_system_vgpr_workitem_id 0
		.amdhsa_next_free_vgpr 12
		.amdhsa_next_free_sgpr 24
		.amdhsa_reserve_vcc 1
		.amdhsa_reserve_flat_scratch 0
		.amdhsa_float_round_mode_32 0
		.amdhsa_float_round_mode_16_64 0
		.amdhsa_float_denorm_mode_32 3
		.amdhsa_float_denorm_mode_16_64 3
		.amdhsa_dx10_clamp 1
		.amdhsa_ieee_mode 1
		.amdhsa_fp16_overflow 0
		.amdhsa_workgroup_processor_mode 1
		.amdhsa_memory_ordered 1
		.amdhsa_forward_progress 1
		.amdhsa_shared_vgpr_count 0
		.amdhsa_exception_fp_ieee_invalid_op 0
		.amdhsa_exception_fp_denorm_src 0
		.amdhsa_exception_fp_ieee_div_zero 0
		.amdhsa_exception_fp_ieee_overflow 0
		.amdhsa_exception_fp_ieee_underflow 0
		.amdhsa_exception_fp_ieee_inexact 0
		.amdhsa_exception_int_div_zero 0
	.end_amdhsa_kernel
	.section	.text._ZN2at6native12_GLOBAL__N_133GammaBetaBackwardSimpleCUDAKernelIddLb0EEEvllPKT_S5_PKT0_S8_PS3_S9_,"axG",@progbits,_ZN2at6native12_GLOBAL__N_133GammaBetaBackwardSimpleCUDAKernelIddLb0EEEvllPKT_S5_PKT0_S8_PS3_S9_,comdat
.Lfunc_end26:
	.size	_ZN2at6native12_GLOBAL__N_133GammaBetaBackwardSimpleCUDAKernelIddLb0EEEvllPKT_S5_PKT0_S8_PS3_S9_, .Lfunc_end26-_ZN2at6native12_GLOBAL__N_133GammaBetaBackwardSimpleCUDAKernelIddLb0EEEvllPKT_S5_PKT0_S8_PS3_S9_
                                        ; -- End function
	.set _ZN2at6native12_GLOBAL__N_133GammaBetaBackwardSimpleCUDAKernelIddLb0EEEvllPKT_S5_PKT0_S8_PS3_S9_.num_vgpr, 12
	.set _ZN2at6native12_GLOBAL__N_133GammaBetaBackwardSimpleCUDAKernelIddLb0EEEvllPKT_S5_PKT0_S8_PS3_S9_.num_agpr, 0
	.set _ZN2at6native12_GLOBAL__N_133GammaBetaBackwardSimpleCUDAKernelIddLb0EEEvllPKT_S5_PKT0_S8_PS3_S9_.numbered_sgpr, 24
	.set _ZN2at6native12_GLOBAL__N_133GammaBetaBackwardSimpleCUDAKernelIddLb0EEEvllPKT_S5_PKT0_S8_PS3_S9_.num_named_barrier, 0
	.set _ZN2at6native12_GLOBAL__N_133GammaBetaBackwardSimpleCUDAKernelIddLb0EEEvllPKT_S5_PKT0_S8_PS3_S9_.private_seg_size, 0
	.set _ZN2at6native12_GLOBAL__N_133GammaBetaBackwardSimpleCUDAKernelIddLb0EEEvllPKT_S5_PKT0_S8_PS3_S9_.uses_vcc, 1
	.set _ZN2at6native12_GLOBAL__N_133GammaBetaBackwardSimpleCUDAKernelIddLb0EEEvllPKT_S5_PKT0_S8_PS3_S9_.uses_flat_scratch, 0
	.set _ZN2at6native12_GLOBAL__N_133GammaBetaBackwardSimpleCUDAKernelIddLb0EEEvllPKT_S5_PKT0_S8_PS3_S9_.has_dyn_sized_stack, 0
	.set _ZN2at6native12_GLOBAL__N_133GammaBetaBackwardSimpleCUDAKernelIddLb0EEEvllPKT_S5_PKT0_S8_PS3_S9_.has_recursion, 0
	.set _ZN2at6native12_GLOBAL__N_133GammaBetaBackwardSimpleCUDAKernelIddLb0EEEvllPKT_S5_PKT0_S8_PS3_S9_.has_indirect_call, 0
	.section	.AMDGPU.csdata,"",@progbits
; Kernel info:
; codeLenInByte = 444
; TotalNumSgprs: 26
; NumVgprs: 12
; ScratchSize: 0
; MemoryBound: 1
; FloatMode: 240
; IeeeMode: 1
; LDSByteSize: 0 bytes/workgroup (compile time only)
; SGPRBlocks: 0
; VGPRBlocks: 1
; NumSGPRsForWavesPerEU: 26
; NumVGPRsForWavesPerEU: 12
; Occupancy: 16
; WaveLimiterHint : 0
; COMPUTE_PGM_RSRC2:SCRATCH_EN: 0
; COMPUTE_PGM_RSRC2:USER_SGPR: 6
; COMPUTE_PGM_RSRC2:TRAP_HANDLER: 0
; COMPUTE_PGM_RSRC2:TGID_X_EN: 1
; COMPUTE_PGM_RSRC2:TGID_Y_EN: 0
; COMPUTE_PGM_RSRC2:TGID_Z_EN: 0
; COMPUTE_PGM_RSRC2:TIDIG_COMP_CNT: 0
	.section	.text._ZN2at6native12_GLOBAL__N_135GammaBetaBackwardCUDAKernelTemplateIddLj64ELj1ELj32ELb1ELb1ELb0EEEvllPKT_S5_PKT0_S8_PS3_S9_,"axG",@progbits,_ZN2at6native12_GLOBAL__N_135GammaBetaBackwardCUDAKernelTemplateIddLj64ELj1ELj32ELb1ELb1ELb0EEEvllPKT_S5_PKT0_S8_PS3_S9_,comdat
	.globl	_ZN2at6native12_GLOBAL__N_135GammaBetaBackwardCUDAKernelTemplateIddLj64ELj1ELj32ELb1ELb1ELb0EEEvllPKT_S5_PKT0_S8_PS3_S9_ ; -- Begin function _ZN2at6native12_GLOBAL__N_135GammaBetaBackwardCUDAKernelTemplateIddLj64ELj1ELj32ELb1ELb1ELb0EEEvllPKT_S5_PKT0_S8_PS3_S9_
	.p2align	8
	.type	_ZN2at6native12_GLOBAL__N_135GammaBetaBackwardCUDAKernelTemplateIddLj64ELj1ELj32ELb1ELb1ELb0EEEvllPKT_S5_PKT0_S8_PS3_S9_,@function
_ZN2at6native12_GLOBAL__N_135GammaBetaBackwardCUDAKernelTemplateIddLj64ELj1ELj32ELb1ELb1ELb0EEEvllPKT_S5_PKT0_S8_PS3_S9_: ; @_ZN2at6native12_GLOBAL__N_135GammaBetaBackwardCUDAKernelTemplateIddLj64ELj1ELj32ELb1ELb1ELb0EEEvllPKT_S5_PKT0_S8_PS3_S9_
; %bb.0:
	s_load_dwordx4 s[0:3], s[4:5], 0x0
	s_lshl_b32 s20, s7, 5
	s_mov_b32 s21, 0
	s_waitcnt lgkmcnt(0)
	v_cmp_gt_i64_e64 s8, s[0:1], s[20:21]
	s_and_b32 vcc_lo, exec_lo, s8
	s_cbranch_vccnz .LBB27_2
; %bb.1:
	s_add_u32 s22, s4, 64
	s_addc_u32 s23, s5, 0
	s_mov_b32 s8, s21
	s_branch .LBB27_3
.LBB27_2:
	s_mov_b32 s8, -1
                                        ; implicit-def: $sgpr22_sgpr23
.LBB27_3:
	s_load_dwordx4 s[16:19], s[4:5], 0x30
	v_mov_b32_e32 v12, 0
	v_mov_b32_e32 v18, 0
	;; [unrolled: 1-line block ×4, first 2 shown]
	s_andn2_b32 vcc_lo, exec_lo, s8
	s_cbranch_vccnz .LBB27_8
; %bb.4:
	s_clause 0x2
	s_load_dword s24, s[4:5], 0x4c
	s_load_dword s26, s[4:5], 0x44
	s_load_dwordx8 s[8:15], s[4:5], 0x10
	v_lshlrev_b32_e32 v4, 5, v1
	s_add_u32 s22, s4, 64
	s_addc_u32 s23, s5, 0
	v_mov_b32_e32 v3, 0
	v_lshl_or_b32 v2, s6, 6, v0
	v_mov_b32_e32 v18, 0
	v_mov_b32_e32 v12, 0
	;; [unrolled: 1-line block ×12, first 2 shown]
	s_waitcnt lgkmcnt(0)
	s_and_b32 s4, s24, 0xffff
	s_lshl_b32 s24, s26, 5
	v_mad_u32_u24 v5, v1, s4, v0
	v_add_co_u32 v7, s4, v4, s20
	v_add_co_ci_u32_e64 v10, null, 0, 0, s4
	v_and_b32_e32 v6, 31, v5
	v_mul_lo_u32 v8, s3, v7
	v_mad_u64_u32 v[4:5], null, s2, v7, 0
	v_mul_lo_u32 v9, s2, v10
	s_mul_i32 s4, s3, s24
	s_mul_hi_u32 s5, s2, s24
	v_mov_b32_e32 v66, 44
	v_mov_b32_e32 v67, 48
	;; [unrolled: 1-line block ×5, first 2 shown]
	v_add3_u32 v5, v5, v9, v8
	v_mov_b32_e32 v71, 64
	v_mov_b32_e32 v72, 0x44
	;; [unrolled: 1-line block ×4, first 2 shown]
	v_lshlrev_b64 v[8:9], 3, v[4:5]
	v_add_co_u32 v4, vcc_lo, v7, v6
	v_add_co_ci_u32_e64 v5, null, 0, v10, vcc_lo
	v_lshlrev_b64 v[10:11], 3, v[2:3]
	v_mov_b32_e32 v75, 0x50
	v_mov_b32_e32 v76, 0x54
	v_lshlrev_b64 v[6:7], 3, v[4:5]
	v_mov_b32_e32 v77, 0x58
	v_mov_b32_e32 v78, 0x5c
	v_add_co_u32 v2, vcc_lo, v8, v10
	v_mov_b32_e32 v79, 0x60
	v_mov_b32_e32 v80, 0x64
	;; [unrolled: 1-line block ×10, first 2 shown]
	v_add_co_ci_u32_e64 v87, null, v9, v11, vcc_lo
	s_mov_b32 s25, 0
	s_add_i32 s5, s5, s4
	s_mul_i32 s4, s2, s24
	s_lshl_b64 s[26:27], s[24:25], 3
	s_lshl_b64 s[4:5], s[4:5], 3
	;; [unrolled: 1-line block ×3, first 2 shown]
	s_branch .LBB27_6
.LBB27_5:                               ;   in Loop: Header=BB27_6 Depth=1
	s_or_b32 exec_lo, exec_lo, s25
	v_add_co_u32 v14, vcc_lo, s10, v2
	v_add_co_ci_u32_e64 v15, null, s11, v87, vcc_lo
	s_waitcnt vmcnt(1)
	ds_bpermute_b32 v48, v3, v10
	v_add_co_u32 v16, vcc_lo, v14, s28
	global_load_dwordx2 v[32:33], v[14:15], off
	v_add_co_ci_u32_e64 v17, null, s29, v15, vcc_lo
	v_add_co_u32 v20, vcc_lo, s8, v2
	v_add_co_ci_u32_e64 v21, null, s9, v87, vcc_lo
	global_load_dwordx2 v[38:39], v[16:17], off
	global_load_dwordx2 v[14:15], v[20:21], off
	v_add_co_u32 v22, vcc_lo, v16, s28
	v_add_co_ci_u32_e64 v23, null, s29, v17, vcc_lo
	v_add_co_u32 v20, vcc_lo, v20, s28
	v_add_co_ci_u32_e64 v21, null, s29, v21, vcc_lo
	global_load_dwordx2 v[42:43], v[22:23], off
	global_load_dwordx2 v[16:17], v[20:21], off
	v_add_co_u32 v22, vcc_lo, v22, s28
	v_add_co_ci_u32_e64 v23, null, s29, v23, vcc_lo
	v_add_co_u32 v24, vcc_lo, v20, s28
	v_add_co_ci_u32_e64 v25, null, s29, v21, vcc_lo
	global_load_dwordx2 v[44:45], v[22:23], off
	global_load_dwordx2 v[20:21], v[24:25], off
	v_add_co_u32 v26, vcc_lo, v22, s28
	v_add_co_ci_u32_e64 v27, null, s29, v23, vcc_lo
	v_add_co_u32 v24, vcc_lo, v24, s28
	v_add_co_ci_u32_e64 v25, null, s29, v25, vcc_lo
	global_load_dwordx2 v[46:47], v[26:27], off
	global_load_dwordx2 v[22:23], v[24:25], off
	v_add_co_u32 v26, vcc_lo, v26, s28
	v_add_co_ci_u32_e64 v27, null, s29, v27, vcc_lo
	v_add_co_u32 v28, vcc_lo, v24, s28
	v_add_co_ci_u32_e64 v29, null, s29, v25, vcc_lo
	global_load_dwordx2 v[88:89], v[26:27], off
	global_load_dwordx2 v[24:25], v[28:29], off
	v_add_co_u32 v30, vcc_lo, v26, s28
	v_add_co_ci_u32_e64 v31, null, s29, v27, vcc_lo
	v_add_co_u32 v28, vcc_lo, v28, s28
	v_add_co_ci_u32_e64 v29, null, s29, v29, vcc_lo
	global_load_dwordx2 v[90:91], v[30:31], off
	global_load_dwordx2 v[26:27], v[28:29], off
	v_add_co_u32 v34, vcc_lo, v30, s28
	v_add_co_ci_u32_e64 v35, null, s29, v31, vcc_lo
	v_add_co_u32 v30, vcc_lo, v28, s28
	v_add_co_ci_u32_e64 v31, null, s29, v29, vcc_lo
	global_load_dwordx2 v[92:93], v[34:35], off
	global_load_dwordx2 v[28:29], v[30:31], off
	v_add_co_u32 v36, vcc_lo, v30, s28
	v_add_co_ci_u32_e64 v37, null, s29, v31, vcc_lo
	v_add_co_u32 v34, vcc_lo, v34, s28
	v_add_co_ci_u32_e64 v35, null, s29, v35, vcc_lo
	global_load_dwordx2 v[30:31], v[36:37], off
	v_add_co_u32 v52, vcc_lo, v36, s28
	global_load_dwordx2 v[40:41], v[34:35], off
	ds_bpermute_b32 v49, v3, v11
	v_add_co_ci_u32_e64 v53, null, s29, v37, vcc_lo
	v_add_co_u32 v34, vcc_lo, v34, s28
	v_add_co_ci_u32_e64 v35, null, s29, v35, vcc_lo
	global_load_dwordx2 v[36:37], v[52:53], off
	global_load_dwordx2 v[50:51], v[34:35], off
	ds_bpermute_b32 v54, v56, v10
	ds_bpermute_b32 v55, v56, v11
	;; [unrolled: 1-line block ×4, first 2 shown]
	s_waitcnt vmcnt(19)
	ds_bpermute_b32 v98, v3, v8
	ds_bpermute_b32 v99, v3, v9
	;; [unrolled: 1-line block ×8, first 2 shown]
	s_add_u32 s20, s20, s24
	s_addc_u32 s21, s21, 0
	v_cmp_lt_i64_e64 s25, s[20:21], s[0:1]
	s_waitcnt vmcnt(18) lgkmcnt(12)
	v_add_f64 v[32:33], v[32:33], -v[48:49]
	v_add_co_u32 v48, vcc_lo, v34, s28
	v_add_co_ci_u32_e64 v49, null, s29, v35, vcc_lo
	v_add_co_u32 v94, vcc_lo, v52, s28
	v_add_co_ci_u32_e64 v95, null, s29, v53, vcc_lo
	global_load_dwordx2 v[52:53], v[48:49], off
	v_add_co_u32 v100, vcc_lo, v48, s28
	global_load_dwordx2 v[34:35], v[94:95], off
	s_waitcnt vmcnt(19) lgkmcnt(10)
	v_add_f64 v[38:39], v[38:39], -v[54:55]
	v_add_co_ci_u32_e64 v101, null, s29, v49, vcc_lo
	v_add_co_u32 v94, vcc_lo, v94, s28
	v_add_co_ci_u32_e64 v95, null, s29, v95, vcc_lo
	s_waitcnt vmcnt(17) lgkmcnt(8)
	v_add_f64 v[42:43], v[42:43], -v[96:97]
	v_add_f64 v[12:13], v[12:13], v[14:15]
	v_mul_f64 v[54:55], v[14:15], v[32:33]
	global_load_dwordx2 v[48:49], v[100:101], off
	global_load_dwordx2 v[32:33], v[94:95], off
	v_add_co_u32 v94, vcc_lo, v94, s28
	v_add_co_ci_u32_e64 v95, null, s29, v95, vcc_lo
	v_add_co_u32 v100, vcc_lo, v100, s28
	v_add_co_ci_u32_e64 v101, null, s29, v101, vcc_lo
	s_waitcnt vmcnt(17) lgkmcnt(4)
	v_add_f64 v[44:45], v[44:45], -v[102:103]
	ds_bpermute_b32 v102, v60, v10
	ds_bpermute_b32 v103, v60, v11
	v_mul_f64 v[38:39], v[16:17], v[38:39]
	s_waitcnt vmcnt(15) lgkmcnt(4)
	v_add_f64 v[46:47], v[46:47], -v[104:105]
	v_mul_f64 v[42:43], v[20:21], v[42:43]
	ds_bpermute_b32 v104, v61, v10
	v_fma_f64 v[96:97], v[54:55], v[98:99], v[18:19]
	ds_bpermute_b32 v98, v56, v8
	ds_bpermute_b32 v99, v56, v9
	global_load_dwordx2 v[18:19], v[94:95], off
	global_load_dwordx2 v[54:55], v[100:101], off
	v_add_co_u32 v94, vcc_lo, v94, s28
	v_add_co_ci_u32_e64 v95, null, s29, v95, vcc_lo
	v_add_co_u32 v100, vcc_lo, v100, s28
	v_add_co_ci_u32_e64 v101, null, s29, v101, vcc_lo
	s_waitcnt vmcnt(16)
	v_mul_f64 v[44:45], v[22:23], v[44:45]
	s_waitcnt vmcnt(15) lgkmcnt(3)
	v_add_f64 v[88:89], v[88:89], -v[102:103]
	ds_bpermute_b32 v105, v61, v11
	ds_bpermute_b32 v102, v60, v8
	;; [unrolled: 1-line block ×3, first 2 shown]
	v_add_f64 v[12:13], v[12:13], v[16:17]
	s_waitcnt vmcnt(14)
	v_mul_f64 v[46:47], v[24:25], v[46:47]
	s_waitcnt lgkmcnt(3)
	v_fma_f64 v[96:97], v[38:39], v[98:99], v[96:97]
	ds_bpermute_b32 v98, v57, v8
	ds_bpermute_b32 v99, v57, v9
	global_load_dwordx2 v[38:39], v[94:95], off
	global_load_dwordx2 v[106:107], v[100:101], off
	v_add_co_u32 v94, vcc_lo, v94, s28
	v_add_co_ci_u32_e64 v95, null, s29, v95, vcc_lo
	s_waitcnt vmcnt(15) lgkmcnt(4)
	v_add_f64 v[90:91], v[90:91], -v[104:105]
	s_waitcnt vmcnt(14)
	v_mul_f64 v[88:89], v[26:27], v[88:89]
	ds_bpermute_b32 v104, v61, v8
	ds_bpermute_b32 v105, v61, v9
	v_add_f64 v[12:13], v[12:13], v[20:21]
	ds_bpermute_b32 v20, v65, v10
	ds_bpermute_b32 v21, v65, v11
	s_waitcnt lgkmcnt(4)
	v_fma_f64 v[96:97], v[42:43], v[98:99], v[96:97]
	ds_bpermute_b32 v98, v58, v8
	ds_bpermute_b32 v99, v58, v9
	global_load_dwordx2 v[42:43], v[94:95], off
	s_waitcnt vmcnt(13)
	v_mul_f64 v[90:91], v[28:29], v[90:91]
	v_add_f64 v[12:13], v[12:13], v[22:23]
	s_waitcnt lgkmcnt(0)
	v_fma_f64 v[44:45], v[44:45], v[98:99], v[96:97]
	v_add_co_u32 v96, vcc_lo, v100, s28
	v_add_co_ci_u32_e64 v97, null, s29, v101, vcc_lo
	v_add_co_u32 v94, vcc_lo, v94, s28
	v_add_co_ci_u32_e64 v95, null, s29, v95, vcc_lo
	global_load_dwordx2 v[98:99], v[96:97], off
	ds_bpermute_b32 v100, v62, v10
	ds_bpermute_b32 v101, v62, v11
	v_add_co_u32 v96, vcc_lo, v96, s28
	v_add_co_ci_u32_e64 v97, null, s29, v97, vcc_lo
	v_add_f64 v[12:13], v[12:13], v[24:25]
	ds_bpermute_b32 v24, v66, v8
	ds_bpermute_b32 v25, v66, v9
	v_fma_f64 v[46:47], v[46:47], v[108:109], v[44:45]
	global_load_dwordx2 v[44:45], v[94:95], off
	s_waitcnt lgkmcnt(2)
	v_add_f64 v[92:93], v[92:93], -v[100:101]
	ds_bpermute_b32 v100, v62, v8
	ds_bpermute_b32 v101, v62, v9
	v_add_f64 v[12:13], v[12:13], v[26:27]
	v_fma_f64 v[46:47], v[88:89], v[102:103], v[46:47]
	global_load_dwordx2 v[88:89], v[96:97], off
	v_add_co_u32 v96, vcc_lo, v96, s28
	v_add_co_ci_u32_e64 v97, null, s29, v97, vcc_lo
	v_add_co_u32 v94, vcc_lo, v94, s28
	v_add_co_ci_u32_e64 v95, null, s29, v95, vcc_lo
	s_waitcnt vmcnt(15)
	v_mul_f64 v[92:93], v[30:31], v[92:93]
	v_add_f64 v[12:13], v[12:13], v[28:29]
	ds_bpermute_b32 v28, v68, v8
	ds_bpermute_b32 v29, v68, v9
	v_fma_f64 v[90:91], v[90:91], v[104:105], v[46:47]
	global_load_dwordx2 v[102:103], v[96:97], off
	global_load_dwordx2 v[46:47], v[94:95], off
	v_add_co_u32 v96, vcc_lo, v96, s28
	v_add_co_ci_u32_e64 v97, null, s29, v97, vcc_lo
	v_add_co_u32 v94, vcc_lo, v94, s28
	v_add_co_ci_u32_e64 v95, null, s29, v95, vcc_lo
	global_load_dwordx2 v[104:105], v[96:97], off
	v_add_f64 v[12:13], v[12:13], v[30:31]
	ds_bpermute_b32 v30, v69, v8
	ds_bpermute_b32 v31, v69, v9
	s_waitcnt lgkmcnt(4)
	v_fma_f64 v[90:91], v[92:93], v[100:101], v[90:91]
	global_load_dwordx2 v[92:93], v[94:95], off
	v_add_co_u32 v94, vcc_lo, v94, s28
	v_add_co_ci_u32_e64 v95, null, s29, v95, vcc_lo
	v_add_co_u32 v14, vcc_lo, v96, s28
	v_add_co_ci_u32_e64 v15, null, s29, v97, vcc_lo
	global_load_dwordx2 v[100:101], v[94:95], off
	ds_bpermute_b32 v96, v63, v10
	ds_bpermute_b32 v97, v63, v11
	global_load_dwordx2 v[16:17], v[14:15], off
	v_add_co_u32 v14, vcc_lo, v14, s28
	v_add_co_ci_u32_e64 v15, null, s29, v15, vcc_lo
	v_add_co_u32 v22, vcc_lo, v94, s28
	v_add_co_ci_u32_e64 v23, null, s29, v95, vcc_lo
	ds_bpermute_b32 v94, v67, v10
	ds_bpermute_b32 v95, v67, v11
	s_waitcnt vmcnt(19)
	v_add_f64 v[12:13], v[12:13], v[36:37]
	s_waitcnt lgkmcnt(2)
	v_add_f64 v[40:41], v[40:41], -v[96:97]
	ds_bpermute_b32 v96, v64, v10
	ds_bpermute_b32 v97, v64, v11
	s_waitcnt vmcnt(18) lgkmcnt(0)
	v_add_f64 v[50:51], v[50:51], -v[96:97]
	v_mul_f64 v[40:41], v[36:37], v[40:41]
	ds_bpermute_b32 v96, v63, v8
	ds_bpermute_b32 v97, v63, v9
	s_waitcnt lgkmcnt(0)
	v_fma_f64 v[40:41], v[40:41], v[96:97], v[90:91]
	ds_bpermute_b32 v90, v64, v8
	ds_bpermute_b32 v91, v64, v9
	global_load_dwordx2 v[96:97], v[14:15], off
	s_waitcnt vmcnt(18)
	v_add_f64 v[20:21], v[52:53], -v[20:21]
	ds_bpermute_b32 v52, v66, v10
	ds_bpermute_b32 v53, v66, v11
	s_waitcnt vmcnt(17)
	v_mul_f64 v[50:51], v[34:35], v[50:51]
	v_add_f64 v[12:13], v[12:13], v[34:35]
	ds_bpermute_b32 v34, v72, v10
	ds_bpermute_b32 v35, v72, v11
	s_waitcnt vmcnt(16) lgkmcnt(2)
	v_add_f64 v[48:49], v[48:49], -v[52:53]
	global_load_dwordx2 v[52:53], v[22:23], off
	s_waitcnt vmcnt(16)
	v_mul_f64 v[20:21], v[32:33], v[20:21]
	v_fma_f64 v[40:41], v[50:51], v[90:91], v[40:41]
	ds_bpermute_b32 v50, v65, v8
	ds_bpermute_b32 v51, v65, v9
	v_add_co_u32 v22, vcc_lo, v22, s28
	v_add_co_ci_u32_e64 v23, null, s29, v23, vcc_lo
	v_add_co_u32 v14, vcc_lo, v14, s28
	v_add_co_ci_u32_e64 v15, null, s29, v15, vcc_lo
	ds_bpermute_b32 v90, v68, v10
	ds_bpermute_b32 v91, v68, v11
	s_waitcnt vmcnt(14)
	v_add_f64 v[54:55], v[54:55], -v[94:95]
	global_load_dwordx2 v[94:95], v[22:23], off
	v_add_f64 v[12:13], v[12:13], v[32:33]
	v_mul_f64 v[48:49], v[18:19], v[48:49]
	s_waitcnt lgkmcnt(2)
	v_fma_f64 v[20:21], v[20:21], v[50:51], v[40:41]
	global_load_dwordx2 v[40:41], v[14:15], off
	v_add_co_u32 v14, vcc_lo, v14, s28
	v_add_co_ci_u32_e64 v15, null, s29, v15, vcc_lo
	v_add_co_u32 v22, vcc_lo, v22, s28
	v_add_co_ci_u32_e64 v23, null, s29, v23, vcc_lo
	global_load_dwordx2 v[26:27], v[14:15], off
	ds_bpermute_b32 v50, v67, v8
	ds_bpermute_b32 v51, v67, v9
	s_waitcnt vmcnt(15) lgkmcnt(2)
	v_add_f64 v[90:91], v[106:107], -v[90:91]
	v_mul_f64 v[54:55], v[38:39], v[54:55]
	v_add_co_u32 v14, vcc_lo, v14, s28
	v_add_co_ci_u32_e64 v15, null, s29, v15, vcc_lo
	v_add_f64 v[12:13], v[12:13], v[18:19]
	v_fma_f64 v[20:21], v[48:49], v[24:25], v[20:21]
	global_load_dwordx2 v[24:25], v[22:23], off
	v_add_co_u32 v22, vcc_lo, v22, s28
	v_add_co_ci_u32_e64 v23, null, s29, v23, vcc_lo
	global_load_dwordx2 v[106:107], v[14:15], off
	ds_bpermute_b32 v48, v69, v10
	ds_bpermute_b32 v49, v69, v11
	v_add_co_u32 v14, vcc_lo, v14, s28
	v_add_co_ci_u32_e64 v15, null, s29, v15, vcc_lo
	s_waitcnt vmcnt(16)
	v_mul_f64 v[90:91], v[42:43], v[90:91]
	v_add_f64 v[12:13], v[12:13], v[38:39]
	s_waitcnt lgkmcnt(2)
	v_fma_f64 v[20:21], v[54:55], v[50:51], v[20:21]
	global_load_dwordx2 v[50:51], v[22:23], off
	v_add_co_u32 v22, vcc_lo, v22, s28
	v_add_co_ci_u32_e64 v23, null, s29, v23, vcc_lo
	ds_bpermute_b32 v54, v70, v10
	ds_bpermute_b32 v55, v70, v11
	v_add_f64 v[12:13], v[12:13], v[42:43]
	s_waitcnt vmcnt(16) lgkmcnt(2)
	v_add_f64 v[48:49], v[98:99], -v[48:49]
	global_load_dwordx2 v[98:99], v[14:15], off
	v_fma_f64 v[20:21], v[90:91], v[28:29], v[20:21]
	global_load_dwordx2 v[28:29], v[22:23], off
	v_add_co_u32 v22, vcc_lo, v22, s28
	v_add_co_ci_u32_e64 v23, null, s29, v23, vcc_lo
	v_add_co_u32 v14, vcc_lo, v14, s28
	v_add_co_ci_u32_e64 v15, null, s29, v15, vcc_lo
	global_load_dwordx2 v[90:91], v[22:23], off
	v_add_co_u32 v22, vcc_lo, v22, s28
	v_add_co_ci_u32_e64 v23, null, s29, v23, vcc_lo
	v_add_co_u32 v36, vcc_lo, v14, s28
	v_add_co_ci_u32_e64 v37, null, s29, v15, vcc_lo
	global_load_dwordx2 v[14:15], v[14:15], off
	s_waitcnt vmcnt(19)
	v_mul_f64 v[48:49], v[44:45], v[48:49]
	v_add_f64 v[12:13], v[12:13], v[44:45]
	s_waitcnt vmcnt(18) lgkmcnt(0)
	v_add_f64 v[54:55], v[88:89], -v[54:55]
	ds_bpermute_b32 v88, v71, v10
	ds_bpermute_b32 v89, v71, v11
	v_fma_f64 v[20:21], v[48:49], v[30:31], v[20:21]
	global_load_dwordx2 v[30:31], v[22:23], off
	global_load_dwordx2 v[48:49], v[36:37], off
	v_add_co_u32 v22, vcc_lo, v22, s28
	v_add_co_ci_u32_e64 v23, null, s29, v23, vcc_lo
	v_add_co_u32 v32, vcc_lo, v36, s28
	v_add_co_ci_u32_e64 v33, null, s29, v37, vcc_lo
	global_load_dwordx2 v[36:37], v[22:23], off
	v_add_co_u32 v22, vcc_lo, v22, s28
	s_waitcnt vmcnt(20) lgkmcnt(0)
	v_add_f64 v[88:89], v[102:103], -v[88:89]
	s_waitcnt vmcnt(19)
	v_mul_f64 v[54:55], v[46:47], v[54:55]
	ds_bpermute_b32 v102, v70, v8
	ds_bpermute_b32 v103, v70, v9
	v_add_co_ci_u32_e64 v23, null, s29, v23, vcc_lo
	v_add_co_u32 v18, vcc_lo, v32, s28
	s_waitcnt vmcnt(18)
	v_add_f64 v[34:35], v[104:105], -v[34:35]
	global_load_dwordx2 v[104:105], v[32:33], off
	v_add_co_ci_u32_e64 v19, null, s29, v33, vcc_lo
	v_add_f64 v[12:13], v[12:13], v[46:47]
	s_waitcnt vmcnt(18)
	v_mul_f64 v[88:89], v[92:93], v[88:89]
	s_waitcnt lgkmcnt(0)
	v_fma_f64 v[20:21], v[54:55], v[102:103], v[20:21]
	ds_bpermute_b32 v54, v71, v8
	ds_bpermute_b32 v55, v71, v9
	global_load_dwordx2 v[32:33], v[22:23], off
	global_load_dwordx2 v[102:103], v[18:19], off
	v_add_co_u32 v18, vcc_lo, v18, s28
	v_add_co_ci_u32_e64 v19, null, s29, v19, vcc_lo
	v_add_co_u32 v22, vcc_lo, v22, s28
	s_waitcnt vmcnt(19)
	v_mul_f64 v[34:35], v[100:101], v[34:35]
	v_add_co_ci_u32_e64 v23, null, s29, v23, vcc_lo
	v_add_f64 v[12:13], v[12:13], v[92:93]
	ds_bpermute_b32 v92, v74, v10
	ds_bpermute_b32 v93, v74, v11
	s_waitcnt lgkmcnt(2)
	v_fma_f64 v[20:21], v[88:89], v[54:55], v[20:21]
	ds_bpermute_b32 v54, v72, v8
	ds_bpermute_b32 v55, v72, v9
	global_load_dwordx2 v[38:39], v[18:19], off
	global_load_dwordx2 v[88:89], v[22:23], off
	v_add_co_u32 v22, vcc_lo, v22, s28
	v_add_co_ci_u32_e64 v23, null, s29, v23, vcc_lo
	v_add_co_u32 v18, vcc_lo, v18, s28
	v_add_co_ci_u32_e64 v19, null, s29, v19, vcc_lo
	v_add_f64 v[12:13], v[12:13], v[100:101]
	ds_bpermute_b32 v100, v75, v10
	ds_bpermute_b32 v101, v75, v11
	s_waitcnt lgkmcnt(2)
	v_fma_f64 v[20:21], v[34:35], v[54:55], v[20:21]
	v_add_co_u32 v54, vcc_lo, v22, s28
	ds_bpermute_b32 v34, v73, v10
	ds_bpermute_b32 v35, v73, v11
	v_add_co_ci_u32_e64 v55, null, s29, v23, vcc_lo
	v_add_co_u32 v42, vcc_lo, v18, s28
	v_add_co_ci_u32_e64 v43, null, s29, v19, vcc_lo
	global_load_dwordx2 v[18:19], v[18:19], off
	global_load_dwordx2 v[22:23], v[22:23], off
	s_waitcnt vmcnt(22) lgkmcnt(0)
	v_add_f64 v[16:17], v[16:17], -v[34:35]
	v_add_co_u32 v34, vcc_lo, v54, s28
	v_add_co_ci_u32_e64 v35, null, s29, v55, vcc_lo
	v_add_co_u32 v44, vcc_lo, v42, s28
	v_add_co_ci_u32_e64 v45, null, s29, v43, vcc_lo
	global_load_dwordx2 v[42:43], v[42:43], off
	global_load_dwordx2 v[54:55], v[54:55], off
	v_add_co_u32 v46, vcc_lo, v34, s28
	v_add_co_ci_u32_e64 v47, null, s29, v35, vcc_lo
	global_load_dwordx2 v[44:45], v[44:45], off
	global_load_dwordx2 v[34:35], v[34:35], off
	global_load_dwordx2 v[46:47], v[46:47], off
	s_waitcnt vmcnt(26)
	v_add_f64 v[92:93], v[96:97], -v[92:93]
	ds_bpermute_b32 v96, v73, v8
	ds_bpermute_b32 v97, v73, v9
	v_add_co_u32 v2, vcc_lo, v2, s4
	v_add_co_ci_u32_e64 v87, null, s5, v87, vcc_lo
	v_add_co_u32 v6, vcc_lo, v6, s26
	v_add_co_ci_u32_e64 v7, null, s27, v7, vcc_lo
	;; [unrolled: 2-line block ×3, first 2 shown]
	s_and_b32 vcc_lo, exec_lo, s25
	s_waitcnt vmcnt(25)
	v_mul_f64 v[16:17], v[52:53], v[16:17]
	v_add_f64 v[12:13], v[12:13], v[52:53]
	ds_bpermute_b32 v52, v77, v10
	ds_bpermute_b32 v53, v77, v11
	s_waitcnt vmcnt(24)
	v_mul_f64 v[92:93], v[94:95], v[92:93]
	s_waitcnt lgkmcnt(2)
	v_fma_f64 v[16:17], v[16:17], v[96:97], v[20:21]
	ds_bpermute_b32 v20, v74, v8
	ds_bpermute_b32 v96, v76, v10
	s_waitcnt vmcnt(23)
	v_add_f64 v[40:41], v[40:41], -v[100:101]
	ds_bpermute_b32 v97, v76, v11
	ds_bpermute_b32 v21, v74, v9
	v_add_f64 v[12:13], v[12:13], v[94:95]
	ds_bpermute_b32 v100, v75, v8
	ds_bpermute_b32 v101, v75, v9
	s_waitcnt vmcnt(22) lgkmcnt(3)
	v_add_f64 v[26:27], v[26:27], -v[96:97]
	s_waitcnt vmcnt(21)
	v_mul_f64 v[40:41], v[24:25], v[40:41]
	s_waitcnt lgkmcnt(2)
	v_fma_f64 v[16:17], v[92:93], v[20:21], v[16:17]
	ds_bpermute_b32 v20, v76, v8
	v_add_f64 v[12:13], v[12:13], v[24:25]
	ds_bpermute_b32 v92, v78, v10
	s_waitcnt vmcnt(20)
	v_add_f64 v[52:53], v[106:107], -v[52:53]
	ds_bpermute_b32 v93, v78, v11
	ds_bpermute_b32 v21, v76, v9
	;; [unrolled: 1-line block ×4, first 2 shown]
	s_waitcnt vmcnt(19)
	v_mul_f64 v[26:27], v[50:51], v[26:27]
	s_waitcnt lgkmcnt(6)
	v_fma_f64 v[16:17], v[40:41], v[100:101], v[16:17]
	ds_bpermute_b32 v40, v79, v10
	v_add_f64 v[12:13], v[12:13], v[50:51]
	ds_bpermute_b32 v41, v79, v11
	s_waitcnt vmcnt(18) lgkmcnt(5)
	v_add_f64 v[92:93], v[98:99], -v[92:93]
	s_waitcnt vmcnt(17)
	v_mul_f64 v[52:53], v[28:29], v[52:53]
	s_waitcnt lgkmcnt(4)
	v_fma_f64 v[16:17], v[26:27], v[20:21], v[16:17]
	ds_bpermute_b32 v20, v78, v8
	v_add_f64 v[12:13], v[12:13], v[28:29]
	ds_bpermute_b32 v26, v80, v10
	ds_bpermute_b32 v27, v80, v11
	;; [unrolled: 1-line block ×5, first 2 shown]
	s_waitcnt vmcnt(15) lgkmcnt(6)
	v_add_f64 v[14:15], v[14:15], -v[40:41]
	v_mul_f64 v[40:41], v[90:91], v[92:93]
	v_fma_f64 v[16:17], v[52:53], v[24:25], v[16:17]
	ds_bpermute_b32 v24, v79, v8
	v_add_f64 v[12:13], v[12:13], v[90:91]
	ds_bpermute_b32 v25, v79, v9
	s_waitcnt vmcnt(14)
	v_mul_f64 v[14:15], v[30:31], v[14:15]
	s_waitcnt vmcnt(13) lgkmcnt(5)
	v_add_f64 v[26:27], v[48:49], -v[26:27]
	s_waitcnt lgkmcnt(4)
	v_fma_f64 v[16:17], v[40:41], v[20:21], v[16:17]
	ds_bpermute_b32 v20, v80, v8
	v_add_f64 v[12:13], v[12:13], v[30:31]
	ds_bpermute_b32 v40, v82, v10
	ds_bpermute_b32 v41, v82, v11
	;; [unrolled: 1-line block ×3, first 2 shown]
	s_waitcnt vmcnt(11) lgkmcnt(6)
	v_add_f64 v[28:29], v[104:105], -v[28:29]
	v_mul_f64 v[26:27], v[36:37], v[26:27]
	s_waitcnt lgkmcnt(4)
	v_fma_f64 v[14:15], v[14:15], v[24:25], v[16:17]
	ds_bpermute_b32 v16, v81, v8
	v_add_f64 v[12:13], v[12:13], v[36:37]
	ds_bpermute_b32 v24, v83, v10
	ds_bpermute_b32 v25, v83, v11
	ds_bpermute_b32 v17, v81, v9
	s_waitcnt vmcnt(9) lgkmcnt(5)
	v_add_f64 v[30:31], v[102:103], -v[40:41]
	v_mul_f64 v[28:29], v[32:33], v[28:29]
	s_waitcnt lgkmcnt(4)
	v_fma_f64 v[14:15], v[26:27], v[20:21], v[14:15]
	ds_bpermute_b32 v20, v82, v8
	v_add_f64 v[12:13], v[12:13], v[32:33]
	ds_bpermute_b32 v26, v84, v10
	ds_bpermute_b32 v27, v84, v11
	;; [unrolled: 1-line block ×3, first 2 shown]
	s_waitcnt vmcnt(8) lgkmcnt(5)
	v_add_f64 v[24:25], v[38:39], -v[24:25]
	s_waitcnt vmcnt(7)
	v_mul_f64 v[30:31], v[88:89], v[30:31]
	s_waitcnt lgkmcnt(4)
	v_fma_f64 v[14:15], v[28:29], v[16:17], v[14:15]
	ds_bpermute_b32 v16, v83, v8
	v_add_f64 v[12:13], v[12:13], v[88:89]
	ds_bpermute_b32 v28, v85, v10
	ds_bpermute_b32 v29, v85, v11
	;; [unrolled: 1-line block ×5, first 2 shown]
	s_waitcnt vmcnt(6) lgkmcnt(7)
	v_add_f64 v[18:19], v[18:19], -v[26:27]
	s_waitcnt vmcnt(5)
	v_mul_f64 v[24:25], v[22:23], v[24:25]
	s_waitcnt lgkmcnt(6)
	v_fma_f64 v[14:15], v[30:31], v[20:21], v[14:15]
	v_add_f64 v[12:13], v[12:13], v[22:23]
	ds_bpermute_b32 v20, v84, v8
	ds_bpermute_b32 v21, v84, v9
	s_waitcnt vmcnt(4) lgkmcnt(5)
	v_add_f64 v[26:27], v[42:43], -v[28:29]
	s_waitcnt vmcnt(3)
	v_mul_f64 v[18:19], v[54:55], v[18:19]
	s_waitcnt lgkmcnt(4)
	v_fma_f64 v[14:15], v[24:25], v[16:17], v[14:15]
	v_add_f64 v[12:13], v[12:13], v[54:55]
	ds_bpermute_b32 v16, v85, v8
	s_waitcnt vmcnt(2) lgkmcnt(3)
	v_add_f64 v[10:11], v[44:45], -v[10:11]
	ds_bpermute_b32 v17, v85, v9
	ds_bpermute_b32 v8, v86, v8
	;; [unrolled: 1-line block ×3, first 2 shown]
	s_waitcnt vmcnt(1)
	v_mul_f64 v[22:23], v[34:35], v[26:27]
	s_waitcnt lgkmcnt(4)
	v_fma_f64 v[14:15], v[18:19], v[20:21], v[14:15]
	v_add_f64 v[12:13], v[12:13], v[34:35]
	s_waitcnt vmcnt(0)
	v_mul_f64 v[10:11], v[46:47], v[10:11]
	s_waitcnt lgkmcnt(2)
	v_fma_f64 v[14:15], v[22:23], v[16:17], v[14:15]
	v_add_f64 v[12:13], v[12:13], v[46:47]
	s_waitcnt lgkmcnt(0)
	v_fma_f64 v[18:19], v[10:11], v[8:9], v[14:15]
	s_cbranch_vccz .LBB27_8
.LBB27_6:                               ; =>This Inner Loop Header: Depth=1
	v_mov_b32_e32 v8, 0
	v_mov_b32_e32 v10, 0
	;; [unrolled: 1-line block ×4, first 2 shown]
	s_mov_b32 s25, exec_lo
	v_cmpx_gt_i64_e64 s[0:1], v[4:5]
	s_cbranch_execz .LBB27_5
; %bb.7:                                ;   in Loop: Header=BB27_6 Depth=1
	v_add_co_u32 v8, vcc_lo, s12, v6
	v_add_co_ci_u32_e64 v9, null, s13, v7, vcc_lo
	v_add_co_u32 v14, vcc_lo, s14, v6
	v_add_co_ci_u32_e64 v15, null, s15, v7, vcc_lo
	global_load_dwordx2 v[10:11], v[8:9], off
	global_load_dwordx2 v[8:9], v[14:15], off
	s_branch .LBB27_5
.LBB27_8:
	s_load_dword s0, s[22:23], 0xc
	v_mov_b32_e32 v2, 0
	s_waitcnt lgkmcnt(0)
	s_lshr_b32 s0, s0, 16
	v_mad_u64_u32 v[1:2], null, s0, s7, v[1:2]
	s_mov_b32 s7, 0
	s_lshl_b64 s[0:1], s[6:7], 6
	s_cmp_eq_u64 s[16:17], 0
	v_or_b32_e32 v5, s0, v0
	v_mov_b32_e32 v6, s1
	v_mul_lo_u32 v0, v2, s2
	v_mul_lo_u32 v4, v1, s3
	v_lshlrev_b64 v[2:3], 3, v[5:6]
	s_cbranch_scc1 .LBB27_10
; %bb.9:
	v_mad_u64_u32 v[5:6], null, v1, s2, 0
	v_add3_u32 v6, v6, v4, v0
	v_lshlrev_b64 v[5:6], 3, v[5:6]
	v_add_co_u32 v5, vcc_lo, s16, v5
	v_add_co_ci_u32_e64 v6, null, s17, v6, vcc_lo
	v_add_co_u32 v5, vcc_lo, v5, v2
	v_add_co_ci_u32_e64 v6, null, v6, v3, vcc_lo
	global_store_dwordx2 v[5:6], v[18:19], off
.LBB27_10:
	s_cmp_eq_u64 s[18:19], 0
	s_cbranch_scc1 .LBB27_12
; %bb.11:
	v_mad_u64_u32 v[5:6], null, v1, s2, 0
	v_add3_u32 v6, v6, v4, v0
	v_lshlrev_b64 v[0:1], 3, v[5:6]
	v_add_co_u32 v0, vcc_lo, s18, v0
	v_add_co_ci_u32_e64 v1, null, s19, v1, vcc_lo
	v_add_co_u32 v0, vcc_lo, v0, v2
	v_add_co_ci_u32_e64 v1, null, v1, v3, vcc_lo
	global_store_dwordx2 v[0:1], v[12:13], off
.LBB27_12:
	s_endpgm
	.section	.rodata,"a",@progbits
	.p2align	6, 0x0
	.amdhsa_kernel _ZN2at6native12_GLOBAL__N_135GammaBetaBackwardCUDAKernelTemplateIddLj64ELj1ELj32ELb1ELb1ELb0EEEvllPKT_S5_PKT0_S8_PS3_S9_
		.amdhsa_group_segment_fixed_size 0
		.amdhsa_private_segment_fixed_size 0
		.amdhsa_kernarg_size 320
		.amdhsa_user_sgpr_count 6
		.amdhsa_user_sgpr_private_segment_buffer 1
		.amdhsa_user_sgpr_dispatch_ptr 0
		.amdhsa_user_sgpr_queue_ptr 0
		.amdhsa_user_sgpr_kernarg_segment_ptr 1
		.amdhsa_user_sgpr_dispatch_id 0
		.amdhsa_user_sgpr_flat_scratch_init 0
		.amdhsa_user_sgpr_private_segment_size 0
		.amdhsa_wavefront_size32 1
		.amdhsa_uses_dynamic_stack 0
		.amdhsa_system_sgpr_private_segment_wavefront_offset 0
		.amdhsa_system_sgpr_workgroup_id_x 1
		.amdhsa_system_sgpr_workgroup_id_y 1
		.amdhsa_system_sgpr_workgroup_id_z 0
		.amdhsa_system_sgpr_workgroup_info 0
		.amdhsa_system_vgpr_workitem_id 1
		.amdhsa_next_free_vgpr 110
		.amdhsa_next_free_sgpr 30
		.amdhsa_reserve_vcc 1
		.amdhsa_reserve_flat_scratch 0
		.amdhsa_float_round_mode_32 0
		.amdhsa_float_round_mode_16_64 0
		.amdhsa_float_denorm_mode_32 3
		.amdhsa_float_denorm_mode_16_64 3
		.amdhsa_dx10_clamp 1
		.amdhsa_ieee_mode 1
		.amdhsa_fp16_overflow 0
		.amdhsa_workgroup_processor_mode 1
		.amdhsa_memory_ordered 1
		.amdhsa_forward_progress 1
		.amdhsa_shared_vgpr_count 0
		.amdhsa_exception_fp_ieee_invalid_op 0
		.amdhsa_exception_fp_denorm_src 0
		.amdhsa_exception_fp_ieee_div_zero 0
		.amdhsa_exception_fp_ieee_overflow 0
		.amdhsa_exception_fp_ieee_underflow 0
		.amdhsa_exception_fp_ieee_inexact 0
		.amdhsa_exception_int_div_zero 0
	.end_amdhsa_kernel
	.section	.text._ZN2at6native12_GLOBAL__N_135GammaBetaBackwardCUDAKernelTemplateIddLj64ELj1ELj32ELb1ELb1ELb0EEEvllPKT_S5_PKT0_S8_PS3_S9_,"axG",@progbits,_ZN2at6native12_GLOBAL__N_135GammaBetaBackwardCUDAKernelTemplateIddLj64ELj1ELj32ELb1ELb1ELb0EEEvllPKT_S5_PKT0_S8_PS3_S9_,comdat
.Lfunc_end27:
	.size	_ZN2at6native12_GLOBAL__N_135GammaBetaBackwardCUDAKernelTemplateIddLj64ELj1ELj32ELb1ELb1ELb0EEEvllPKT_S5_PKT0_S8_PS3_S9_, .Lfunc_end27-_ZN2at6native12_GLOBAL__N_135GammaBetaBackwardCUDAKernelTemplateIddLj64ELj1ELj32ELb1ELb1ELb0EEEvllPKT_S5_PKT0_S8_PS3_S9_
                                        ; -- End function
	.set _ZN2at6native12_GLOBAL__N_135GammaBetaBackwardCUDAKernelTemplateIddLj64ELj1ELj32ELb1ELb1ELb0EEEvllPKT_S5_PKT0_S8_PS3_S9_.num_vgpr, 110
	.set _ZN2at6native12_GLOBAL__N_135GammaBetaBackwardCUDAKernelTemplateIddLj64ELj1ELj32ELb1ELb1ELb0EEEvllPKT_S5_PKT0_S8_PS3_S9_.num_agpr, 0
	.set _ZN2at6native12_GLOBAL__N_135GammaBetaBackwardCUDAKernelTemplateIddLj64ELj1ELj32ELb1ELb1ELb0EEEvllPKT_S5_PKT0_S8_PS3_S9_.numbered_sgpr, 30
	.set _ZN2at6native12_GLOBAL__N_135GammaBetaBackwardCUDAKernelTemplateIddLj64ELj1ELj32ELb1ELb1ELb0EEEvllPKT_S5_PKT0_S8_PS3_S9_.num_named_barrier, 0
	.set _ZN2at6native12_GLOBAL__N_135GammaBetaBackwardCUDAKernelTemplateIddLj64ELj1ELj32ELb1ELb1ELb0EEEvllPKT_S5_PKT0_S8_PS3_S9_.private_seg_size, 0
	.set _ZN2at6native12_GLOBAL__N_135GammaBetaBackwardCUDAKernelTemplateIddLj64ELj1ELj32ELb1ELb1ELb0EEEvllPKT_S5_PKT0_S8_PS3_S9_.uses_vcc, 1
	.set _ZN2at6native12_GLOBAL__N_135GammaBetaBackwardCUDAKernelTemplateIddLj64ELj1ELj32ELb1ELb1ELb0EEEvllPKT_S5_PKT0_S8_PS3_S9_.uses_flat_scratch, 0
	.set _ZN2at6native12_GLOBAL__N_135GammaBetaBackwardCUDAKernelTemplateIddLj64ELj1ELj32ELb1ELb1ELb0EEEvllPKT_S5_PKT0_S8_PS3_S9_.has_dyn_sized_stack, 0
	.set _ZN2at6native12_GLOBAL__N_135GammaBetaBackwardCUDAKernelTemplateIddLj64ELj1ELj32ELb1ELb1ELb0EEEvllPKT_S5_PKT0_S8_PS3_S9_.has_recursion, 0
	.set _ZN2at6native12_GLOBAL__N_135GammaBetaBackwardCUDAKernelTemplateIddLj64ELj1ELj32ELb1ELb1ELb0EEEvllPKT_S5_PKT0_S8_PS3_S9_.has_indirect_call, 0
	.section	.AMDGPU.csdata,"",@progbits
; Kernel info:
; codeLenInByte = 4792
; TotalNumSgprs: 32
; NumVgprs: 110
; ScratchSize: 0
; MemoryBound: 0
; FloatMode: 240
; IeeeMode: 1
; LDSByteSize: 0 bytes/workgroup (compile time only)
; SGPRBlocks: 0
; VGPRBlocks: 13
; NumSGPRsForWavesPerEU: 32
; NumVGPRsForWavesPerEU: 110
; Occupancy: 9
; WaveLimiterHint : 0
; COMPUTE_PGM_RSRC2:SCRATCH_EN: 0
; COMPUTE_PGM_RSRC2:USER_SGPR: 6
; COMPUTE_PGM_RSRC2:TRAP_HANDLER: 0
; COMPUTE_PGM_RSRC2:TGID_X_EN: 1
; COMPUTE_PGM_RSRC2:TGID_Y_EN: 1
; COMPUTE_PGM_RSRC2:TGID_Z_EN: 0
; COMPUTE_PGM_RSRC2:TIDIG_COMP_CNT: 1
	.section	.text._ZN2at6native12_GLOBAL__N_135GammaBetaBackwardCUDAKernelTemplateIddLj64ELj1ELj32ELb1ELb0ELb0EEEvllPKT_S5_PKT0_S8_PS3_S9_,"axG",@progbits,_ZN2at6native12_GLOBAL__N_135GammaBetaBackwardCUDAKernelTemplateIddLj64ELj1ELj32ELb1ELb0ELb0EEEvllPKT_S5_PKT0_S8_PS3_S9_,comdat
	.globl	_ZN2at6native12_GLOBAL__N_135GammaBetaBackwardCUDAKernelTemplateIddLj64ELj1ELj32ELb1ELb0ELb0EEEvllPKT_S5_PKT0_S8_PS3_S9_ ; -- Begin function _ZN2at6native12_GLOBAL__N_135GammaBetaBackwardCUDAKernelTemplateIddLj64ELj1ELj32ELb1ELb0ELb0EEEvllPKT_S5_PKT0_S8_PS3_S9_
	.p2align	8
	.type	_ZN2at6native12_GLOBAL__N_135GammaBetaBackwardCUDAKernelTemplateIddLj64ELj1ELj32ELb1ELb0ELb0EEEvllPKT_S5_PKT0_S8_PS3_S9_,@function
_ZN2at6native12_GLOBAL__N_135GammaBetaBackwardCUDAKernelTemplateIddLj64ELj1ELj32ELb1ELb0ELb0EEEvllPKT_S5_PKT0_S8_PS3_S9_: ; @_ZN2at6native12_GLOBAL__N_135GammaBetaBackwardCUDAKernelTemplateIddLj64ELj1ELj32ELb1ELb0ELb0EEEvllPKT_S5_PKT0_S8_PS3_S9_
; %bb.0:
	s_mov_b64 s[38:39], s[2:3]
	s_mov_b64 s[36:37], s[0:1]
	s_mov_b32 s0, s7
	s_add_u32 s36, s36, s8
	s_addc_u32 s37, s37, 0
	s_lshl_b32 s7, s6, 6
	buffer_store_dword v1, off, s[36:39], 0 offset:492 ; 4-byte Folded Spill
	buffer_store_dword v2, off, s[36:39], 0 offset:496 ; 4-byte Folded Spill
	buffer_store_dword v0, off, s[36:39], 0 offset:48 ; 4-byte Folded Spill
	s_clause 0x1
	s_load_dwordx8 s[8:15], s[4:5], 0x0
	s_load_dwordx4 s[16:19], s[4:5], 0x20
	s_mov_b32 s21, 0
	s_or_b32 s20, s7, 63
	s_waitcnt lgkmcnt(0)
	v_cmp_le_i64_e64 s1, s[10:11], s[20:21]
	s_lshl_b32 s20, s0, 5
	v_cmp_gt_i64_e64 s28, s[8:9], s[20:21]
	s_and_b32 vcc_lo, exec_lo, s1
	v_cndmask_b32_e64 v0, 0, 1, s28
	v_cmp_ne_u32_e64 s1, 1, v0
	s_cbranch_vccz .LBB28_140
; %bb.1:
	v_mov_b32_e32 v0, 0
	v_mov_b32_e32 v1, 0
	s_and_b32 vcc_lo, exec_lo, s1
	buffer_store_dword v0, off, s[36:39], 0 ; 4-byte Folded Spill
	buffer_store_dword v1, off, s[36:39], 0 offset:4 ; 4-byte Folded Spill
	v_mov_b32_e32 v0, 0
	v_mov_b32_e32 v1, 0
	buffer_store_dword v0, off, s[36:39], 0 offset:8 ; 4-byte Folded Spill
	buffer_store_dword v1, off, s[36:39], 0 offset:12 ; 4-byte Folded Spill
	s_cbranch_vccnz .LBB28_141
; %bb.2:
	s_clause 0x2
	buffer_load_dword v0, off, s[36:39], 0 offset:492
	buffer_load_dword v1, off, s[36:39], 0 offset:496
	;; [unrolled: 1-line block ×3, first 2 shown]
	v_mov_b32_e32 v7, 0
	s_load_dword s2, s[4:5], 0x44
	s_add_u32 s22, s4, 64
	s_addc_u32 s23, s5, 0
	s_mov_b64 s[26:27], s[20:21]
	v_mov_b32_e32 v141, v7
	s_waitcnt lgkmcnt(0)
	s_lshl_b32 s29, s2, 5
	s_mul_i32 s2, s11, s29
	s_mul_hi_u32 s3, s10, s29
	s_mul_i32 s24, s10, s29
	s_add_i32 s25, s3, s2
	s_waitcnt vmcnt(2)
	v_lshlrev_b32_e32 v140, 5, v0
	s_waitcnt vmcnt(0)
	v_add_nc_u32_e32 v6, s7, v6
	v_add_co_u32 v0, s1, v140, s20
	v_add_co_ci_u32_e64 v1, null, 0, 0, s1
	v_cmp_gt_i64_e64 s1, s[10:11], v[6:7]
	v_mul_lo_u32 v4, s11, v0
	v_mad_u64_u32 v[2:3], null, s10, v0, 0
	v_mul_lo_u32 v5, s10, v1
	v_lshlrev_b64 v[8:9], 3, v[6:7]
	v_add_co_u32 v6, vcc_lo, v0, 31
	v_add_co_ci_u32_e64 v10, null, 0, v1, vcc_lo
	v_mul_lo_u32 v14, s11, v6
	v_add3_u32 v3, v3, v5, v4
	v_mul_lo_u32 v15, s10, v10
	v_mad_u64_u32 v[10:11], null, s10, v6, 0
	v_add_co_u32 v6, vcc_lo, v0, 30
	v_lshlrev_b64 v[4:5], 3, v[2:3]
	v_add_co_ci_u32_e64 v12, null, 0, v1, vcc_lo
	v_mul_lo_u32 v16, s11, v6
	v_add3_u32 v11, v11, v15, v14
	v_add_co_u32 v13, vcc_lo, s12, v4
	v_mul_lo_u32 v17, s10, v12
	buffer_store_dword v13, off, s[36:39], 0 offset:16 ; 4-byte Folded Spill
	v_add_co_ci_u32_e64 v13, null, s13, v5, vcc_lo
	v_add_co_u32 v4, vcc_lo, s14, v4
	buffer_store_dword v13, off, s[36:39], 0 offset:20 ; 4-byte Folded Spill
	v_mad_u64_u32 v[12:13], null, s10, v6, 0
	buffer_store_dword v4, off, s[36:39], 0 offset:24 ; 4-byte Folded Spill
	v_add_co_ci_u32_e64 v4, null, s15, v5, vcc_lo
	v_add_co_u32 v6, vcc_lo, v0, 29
	v_add_co_ci_u32_e64 v14, null, 0, v1, vcc_lo
	buffer_store_dword v4, off, s[36:39], 0 offset:28 ; 4-byte Folded Spill
	v_lshlrev_b64 v[4:5], 3, v[10:11]
	v_add3_u32 v13, v13, v17, v16
	v_mul_lo_u32 v15, s11, v6
	v_mul_lo_u32 v14, s10, v14
	v_add_co_u32 v10, vcc_lo, s12, v4
	buffer_store_dword v10, off, s[36:39], 0 offset:32 ; 4-byte Folded Spill
	v_add_co_ci_u32_e64 v10, null, s13, v5, vcc_lo
	v_add_co_u32 v4, vcc_lo, s14, v4
	buffer_store_dword v10, off, s[36:39], 0 offset:36 ; 4-byte Folded Spill
	v_lshlrev_b64 v[10:11], 3, v[12:13]
	v_mad_u64_u32 v[12:13], null, s10, v6, 0
	buffer_store_dword v4, off, s[36:39], 0 offset:40 ; 4-byte Folded Spill
	v_add_co_ci_u32_e64 v4, null, s15, v5, vcc_lo
	v_add_co_u32 v150, vcc_lo, s12, v10
	v_add_co_ci_u32_e64 v151, null, s13, v11, vcc_lo
	v_add3_u32 v13, v13, v14, v15
	v_add_co_u32 v6, vcc_lo, v0, 28
	buffer_store_dword v4, off, s[36:39], 0 offset:44 ; 4-byte Folded Spill
	v_add_co_u32 v152, s2, s14, v10
	v_lshlrev_b64 v[4:5], 3, v[12:13]
	v_add_co_ci_u32_e64 v10, null, 0, v1, vcc_lo
	v_add_co_u32 v12, vcc_lo, v0, 27
	v_add_co_ci_u32_e64 v13, null, 0, v1, vcc_lo
	v_add_co_ci_u32_e64 v153, null, s15, v11, s2
	v_mul_lo_u32 v14, s11, v6
	v_mul_lo_u32 v15, s10, v10
	v_mad_u64_u32 v[10:11], null, s10, v6, 0
	v_mul_lo_u32 v6, s11, v12
	v_mul_lo_u32 v16, s10, v13
	v_mad_u64_u32 v[12:13], null, s10, v12, 0
	v_add_co_u32 v154, vcc_lo, s12, v4
	v_add_co_ci_u32_e64 v155, null, s13, v5, vcc_lo
	v_add3_u32 v11, v11, v15, v14
	v_add_co_u32 v156, vcc_lo, s14, v4
	v_add_co_ci_u32_e64 v157, null, s15, v5, vcc_lo
	v_add3_u32 v13, v13, v16, v6
	v_add_co_u32 v6, vcc_lo, v0, 26
	v_add_co_ci_u32_e64 v14, null, 0, v1, vcc_lo
	v_lshlrev_b64 v[4:5], 3, v[10:11]
	v_lshlrev_b64 v[10:11], 3, v[12:13]
	v_mul_lo_u32 v15, s11, v6
	v_mul_lo_u32 v14, s10, v14
	v_mad_u64_u32 v[12:13], null, s10, v6, 0
	v_add_co_u32 v158, vcc_lo, s12, v4
	v_add_co_ci_u32_e64 v159, null, s13, v5, vcc_lo
	v_add_co_u32 v160, vcc_lo, s14, v4
	v_add_co_ci_u32_e64 v161, null, s15, v5, vcc_lo
	;; [unrolled: 2-line block ×3, first 2 shown]
	v_add3_u32 v13, v13, v14, v15
	v_add_co_u32 v5, vcc_lo, v0, 25
	v_add_co_ci_u32_e64 v6, null, 0, v1, vcc_lo
	v_add_co_u32 v14, vcc_lo, v0, 24
	v_add_co_u32 v4, s2, s14, v10
	v_add_co_ci_u32_e64 v15, null, 0, v1, vcc_lo
	v_add_co_ci_u32_e64 v164, null, s15, v11, s2
	v_lshlrev_b64 v[10:11], 3, v[12:13]
	v_mul_lo_u32 v16, s11, v5
	v_mul_lo_u32 v17, s10, v6
	v_mad_u64_u32 v[12:13], null, s10, v5, 0
	v_mul_lo_u32 v18, s11, v14
	v_mul_lo_u32 v19, s10, v15
	v_mad_u64_u32 v[14:15], null, s10, v14, 0
	v_add_co_u32 v5, vcc_lo, s12, v10
	v_add_co_ci_u32_e64 v6, null, s13, v11, vcc_lo
	v_add_co_u32 v165, vcc_lo, s14, v10
	v_add3_u32 v13, v13, v17, v16
	v_add_co_ci_u32_e64 v166, null, s15, v11, vcc_lo
	v_add_co_u32 v16, vcc_lo, v0, 23
	v_add3_u32 v15, v15, v19, v18
	v_add_co_ci_u32_e64 v17, null, 0, v1, vcc_lo
	v_lshlrev_b64 v[10:11], 3, v[12:13]
	v_mul_lo_u32 v18, s11, v16
	v_lshlrev_b64 v[12:13], 3, v[14:15]
	v_mul_lo_u32 v17, s10, v17
	v_mad_u64_u32 v[14:15], null, s10, v16, 0
	v_add_co_u32 v167, vcc_lo, s12, v10
	v_add_co_ci_u32_e64 v168, null, s13, v11, vcc_lo
	v_add_co_u32 v169, vcc_lo, s14, v10
	v_add3_u32 v15, v15, v17, v18
	v_add_co_ci_u32_e64 v170, null, s15, v11, vcc_lo
	v_add_co_u32 v171, vcc_lo, s12, v12
	v_add_co_ci_u32_e64 v172, null, s13, v13, vcc_lo
	v_add_co_u32 v16, vcc_lo, v0, 22
	v_add_co_u32 v173, s2, s14, v12
	v_lshlrev_b64 v[10:11], 3, v[14:15]
	v_add_co_ci_u32_e64 v12, null, 0, v1, vcc_lo
	v_add_co_u32 v14, vcc_lo, v0, 21
	v_add_co_ci_u32_e64 v15, null, 0, v1, vcc_lo
	v_add_co_ci_u32_e64 v174, null, s15, v13, s2
	v_mul_lo_u32 v17, s11, v16
	v_mul_lo_u32 v18, s10, v12
	v_mad_u64_u32 v[12:13], null, s10, v16, 0
	v_mul_lo_u32 v16, s11, v14
	v_mul_lo_u32 v19, s10, v15
	v_mad_u64_u32 v[14:15], null, s10, v14, 0
	v_add_co_u32 v175, vcc_lo, s12, v10
	v_add_co_ci_u32_e64 v176, null, s13, v11, vcc_lo
	v_add_co_u32 v177, vcc_lo, s14, v10
	v_add_co_ci_u32_e64 v178, null, s15, v11, vcc_lo
	v_add3_u32 v15, v15, v19, v16
	v_add_co_u32 v16, vcc_lo, v0, 20
	v_add3_u32 v13, v13, v18, v17
	v_add_co_ci_u32_e64 v17, null, 0, v1, vcc_lo
	v_mul_lo_u32 v18, s11, v16
	v_lshlrev_b64 v[10:11], 3, v[12:13]
	v_lshlrev_b64 v[12:13], 3, v[14:15]
	v_mul_lo_u32 v17, s10, v17
	v_mad_u64_u32 v[14:15], null, s10, v16, 0
	v_add_co_u32 v179, vcc_lo, s12, v10
	v_add_co_ci_u32_e64 v180, null, s13, v11, vcc_lo
	v_add_co_u32 v181, vcc_lo, s14, v10
	v_add3_u32 v15, v15, v17, v18
	v_add_co_ci_u32_e64 v182, null, s15, v11, vcc_lo
	v_add_co_u32 v183, vcc_lo, s12, v12
	v_add_co_ci_u32_e64 v184, null, s13, v13, vcc_lo
	v_add_co_u32 v16, vcc_lo, v0, 19
	v_add_co_u32 v185, s2, s14, v12
	v_lshlrev_b64 v[10:11], 3, v[14:15]
	v_add_co_ci_u32_e64 v12, null, 0, v1, vcc_lo
	v_add_co_u32 v14, vcc_lo, v0, 18
	v_add_co_ci_u32_e64 v15, null, 0, v1, vcc_lo
	v_add_co_ci_u32_e64 v186, null, s15, v13, s2
	v_mul_lo_u32 v17, s11, v16
	v_mul_lo_u32 v18, s10, v12
	v_mad_u64_u32 v[12:13], null, s10, v16, 0
	v_mul_lo_u32 v16, s11, v14
	v_mul_lo_u32 v19, s10, v15
	v_mad_u64_u32 v[14:15], null, s10, v14, 0
	v_add_co_u32 v187, vcc_lo, s12, v10
	v_add_co_ci_u32_e64 v188, null, s13, v11, vcc_lo
	v_add_co_u32 v189, vcc_lo, s14, v10
	v_add_co_ci_u32_e64 v190, null, s15, v11, vcc_lo
	v_add3_u32 v15, v15, v19, v16
	v_add_co_u32 v16, vcc_lo, v0, 17
	v_add3_u32 v13, v13, v18, v17
	v_add_co_ci_u32_e64 v17, null, 0, v1, vcc_lo
	v_mul_lo_u32 v18, s11, v16
	v_lshlrev_b64 v[10:11], 3, v[12:13]
	;; [unrolled: 33-line block ×4, first 2 shown]
	v_lshlrev_b64 v[12:13], 3, v[14:15]
	v_mul_lo_u32 v17, s10, v17
	v_mad_u64_u32 v[14:15], null, s10, v16, 0
	v_add_co_u32 v215, vcc_lo, s12, v10
	v_add_co_ci_u32_e64 v216, null, s13, v11, vcc_lo
	v_add_co_u32 v217, vcc_lo, s14, v10
	v_add3_u32 v15, v15, v17, v18
	v_add_co_ci_u32_e64 v218, null, s15, v11, vcc_lo
	v_add_co_u32 v219, vcc_lo, s12, v12
	v_add_co_ci_u32_e64 v220, null, s13, v13, vcc_lo
	v_add_co_u32 v16, vcc_lo, v0, 10
	v_add_co_u32 v221, s2, s14, v12
	v_lshlrev_b64 v[10:11], 3, v[14:15]
	v_add_co_ci_u32_e64 v12, null, 0, v1, vcc_lo
	v_add_co_u32 v14, vcc_lo, v0, 9
	v_add_co_ci_u32_e64 v15, null, 0, v1, vcc_lo
	v_add_co_ci_u32_e64 v222, null, s15, v13, s2
	v_mul_lo_u32 v17, s11, v16
	v_mul_lo_u32 v18, s10, v12
	v_mad_u64_u32 v[12:13], null, s10, v16, 0
	v_mul_lo_u32 v16, s11, v14
	v_mul_lo_u32 v19, s10, v15
	v_mad_u64_u32 v[14:15], null, s10, v14, 0
	v_add_co_u32 v223, vcc_lo, s12, v10
	v_add_co_ci_u32_e64 v224, null, s13, v11, vcc_lo
	v_add_co_u32 v225, vcc_lo, s14, v10
	v_add3_u32 v13, v13, v18, v17
	v_add_co_ci_u32_e64 v226, null, s15, v11, vcc_lo
	v_add3_u32 v15, v15, v19, v16
	v_add_co_u32 v16, vcc_lo, v0, 8
	v_add_co_ci_u32_e64 v17, null, 0, v1, vcc_lo
	v_lshlrev_b64 v[10:11], 3, v[12:13]
	v_lshlrev_b64 v[12:13], 3, v[14:15]
	v_mul_lo_u32 v18, s11, v16
	v_mul_lo_u32 v17, s10, v17
	v_mad_u64_u32 v[14:15], null, s10, v16, 0
	v_add_co_u32 v227, vcc_lo, s12, v10
	v_add_co_ci_u32_e64 v228, null, s13, v11, vcc_lo
	v_add_co_u32 v229, vcc_lo, s14, v10
	v_add_co_ci_u32_e64 v230, null, s15, v11, vcc_lo
	v_add_co_u32 v231, vcc_lo, s12, v12
	v_add3_u32 v15, v15, v17, v18
	v_add_co_ci_u32_e64 v232, null, s13, v13, vcc_lo
	v_add_co_u32 v16, vcc_lo, v0, 7
	v_add_co_u32 v233, s2, s14, v12
	v_add_co_ci_u32_e64 v12, null, 0, v1, vcc_lo
	v_lshlrev_b64 v[10:11], 3, v[14:15]
	v_add_co_u32 v14, vcc_lo, v0, 6
	v_add_co_ci_u32_e64 v15, null, 0, v1, vcc_lo
	v_add_co_ci_u32_e64 v234, null, s15, v13, s2
	v_mul_lo_u32 v17, s11, v16
	v_mul_lo_u32 v18, s10, v12
	v_mad_u64_u32 v[12:13], null, s10, v16, 0
	v_mul_lo_u32 v16, s11, v14
	v_mul_lo_u32 v19, s10, v15
	v_mad_u64_u32 v[14:15], null, s10, v14, 0
	v_add_co_u32 v235, vcc_lo, s12, v10
	v_add3_u32 v13, v13, v18, v17
	v_add_co_ci_u32_e64 v236, null, s13, v11, vcc_lo
	v_add_co_u32 v237, vcc_lo, s14, v10
	v_add_co_ci_u32_e64 v238, null, s15, v11, vcc_lo
	v_add3_u32 v15, v15, v19, v16
	v_add_co_u32 v16, vcc_lo, v0, 5
	v_lshlrev_b64 v[10:11], 3, v[12:13]
	v_add_co_ci_u32_e64 v17, null, 0, v1, vcc_lo
	v_lshlrev_b64 v[12:13], 3, v[14:15]
	v_mul_lo_u32 v18, s11, v16
	v_mad_u64_u32 v[14:15], null, s10, v16, 0
	v_add_co_u32 v239, vcc_lo, s12, v10
	v_mul_lo_u32 v17, s10, v17
	v_add_co_ci_u32_e64 v240, null, s13, v11, vcc_lo
	v_add_co_u32 v241, vcc_lo, s14, v10
	v_add_co_ci_u32_e64 v242, null, s15, v11, vcc_lo
	v_add_co_u32 v243, vcc_lo, s12, v12
	;; [unrolled: 2-line block ×3, first 2 shown]
	v_add3_u32 v15, v15, v17, v18
	v_add_co_u32 v245, s2, s14, v12
	v_add_co_ci_u32_e64 v12, null, 0, v1, vcc_lo
	v_add_co_ci_u32_e64 v246, null, s15, v13, s2
	v_lshlrev_b64 v[10:11], 3, v[14:15]
	v_mul_lo_u32 v17, s11, v16
	v_add_co_u32 v14, vcc_lo, v0, 3
	v_mul_lo_u32 v18, s10, v12
	v_mad_u64_u32 v[12:13], null, s10, v16, 0
	v_add_co_ci_u32_e64 v15, null, 0, v1, vcc_lo
	v_mul_lo_u32 v16, s11, v14
	v_add_co_u32 v247, vcc_lo, s12, v10
	v_mul_lo_u32 v19, s10, v15
	v_mad_u64_u32 v[14:15], null, s10, v14, 0
	v_add3_u32 v13, v13, v18, v17
	v_add_co_ci_u32_e64 v248, null, s13, v11, vcc_lo
	v_add_co_u32 v249, vcc_lo, s14, v10
	v_add_co_ci_u32_e64 v250, null, s15, v11, vcc_lo
	v_lshlrev_b64 v[10:11], 3, v[12:13]
	v_add_co_u32 v12, vcc_lo, v0, 2
	v_add3_u32 v15, v15, v19, v16
	v_add_co_ci_u32_e64 v13, null, 0, v1, vcc_lo
	v_add_co_u32 v251, vcc_lo, s12, v10
	v_lshlrev_b64 v[0:1], 3, v[14:15]
	v_mul_lo_u32 v14, s11, v12
	v_mul_lo_u32 v15, s10, v13
	v_mad_u64_u32 v[12:13], null, s10, v12, 0
	v_add_co_ci_u32_e64 v252, null, s13, v11, vcc_lo
	v_add_co_u32 v253, vcc_lo, s14, v10
	v_add_co_ci_u32_e64 v254, null, s15, v11, vcc_lo
	v_add3_u32 v13, v13, v15, v14
	v_add_co_u32 v255, vcc_lo, s12, v0
	v_add_co_ci_u32_e64 v34, null, s13, v1, vcc_lo
	v_add_co_u32 v35, vcc_lo, s14, v0
	v_add_co_ci_u32_e64 v40, null, s15, v1, vcc_lo
	v_lshlrev_b64 v[0:1], 3, v[12:13]
	v_add_co_u32 v2, vcc_lo, v2, s10
	v_add_co_ci_u32_e64 v3, null, s11, v3, vcc_lo
	s_lshl_b64 s[2:3], s[24:25], 3
	v_add_co_u32 v41, vcc_lo, s12, v0
	v_add_co_ci_u32_e64 v46, null, s13, v1, vcc_lo
	v_lshlrev_b64 v[2:3], 3, v[2:3]
	v_add_co_u32 v47, vcc_lo, s14, v0
	v_add_co_ci_u32_e64 v142, null, s15, v1, vcc_lo
	v_mov_b32_e32 v0, 0
	v_mov_b32_e32 v1, 0
	v_add_co_u32 v143, vcc_lo, s12, v2
	v_add_co_ci_u32_e64 v144, null, s13, v3, vcc_lo
	buffer_store_dword v0, off, s[36:39], 0 offset:8 ; 4-byte Folded Spill
	buffer_store_dword v1, off, s[36:39], 0 offset:12 ; 4-byte Folded Spill
	v_add_co_u32 v145, vcc_lo, s14, v2
	v_mov_b32_e32 v0, 0
	v_mov_b32_e32 v1, 0
	v_add_co_ci_u32_e64 v54, null, s15, v3, vcc_lo
	s_mov_b64 s[24:25], 31
	buffer_store_dword v0, off, s[36:39], 0 ; 4-byte Folded Spill
	buffer_store_dword v1, off, s[36:39], 0 offset:4 ; 4-byte Folded Spill
	s_branch .LBB28_5
.LBB28_3:                               ;   in Loop: Header=BB28_5 Depth=1
	s_or_b32 exec_lo, exec_lo, s30
	s_clause 0x1
	buffer_load_dword v138, off, s[36:39], 0 offset:8
	buffer_load_dword v139, off, s[36:39], 0 offset:12
	s_waitcnt vmcnt(3)
	ds_bpermute_b32 v50, v7, v10
	ds_bpermute_b32 v51, v7, v11
	s_waitcnt vmcnt(2)
	ds_bpermute_b32 v55, v7, v12
	s_waitcnt lgkmcnt(1)
	v_add_f64 v[50:51], v[56:57], -v[50:51]
	ds_bpermute_b32 v56, v7, v13
	v_mul_f64 v[50:51], v[14:15], v[50:51]
	s_waitcnt vmcnt(0) lgkmcnt(0)
	v_fma_f64 v[50:51], v[50:51], v[55:56], v[138:139]
	s_clause 0x1
	buffer_load_dword v138, off, s[36:39], 0 offset:52
	buffer_load_dword v139, off, s[36:39], 0 offset:56
	ds_bpermute_b32 v55, v7, v10 offset:4
	ds_bpermute_b32 v56, v7, v11 offset:4
	s_waitcnt vmcnt(0) lgkmcnt(0)
	v_add_f64 v[55:56], v[138:139], -v[55:56]
	ds_bpermute_b32 v138, v7, v12 offset:4
	ds_bpermute_b32 v139, v7, v13 offset:4
	v_mul_f64 v[55:56], v[22:23], v[55:56]
	s_waitcnt lgkmcnt(0)
	v_fma_f64 v[50:51], v[55:56], v[138:139], v[50:51]
	s_clause 0x1
	buffer_load_dword v138, off, s[36:39], 0 offset:60
	buffer_load_dword v139, off, s[36:39], 0 offset:64
	ds_bpermute_b32 v55, v7, v10 offset:8
	ds_bpermute_b32 v56, v7, v11 offset:8
	s_waitcnt vmcnt(0) lgkmcnt(0)
	v_add_f64 v[55:56], v[138:139], -v[55:56]
	ds_bpermute_b32 v138, v7, v12 offset:8
	ds_bpermute_b32 v139, v7, v13 offset:8
	v_mul_f64 v[55:56], v[20:21], v[55:56]
	s_waitcnt lgkmcnt(0)
	v_fma_f64 v[50:51], v[55:56], v[138:139], v[50:51]
	s_clause 0x3
	buffer_load_dword v55, off, s[36:39], 0
	buffer_load_dword v56, off, s[36:39], 0 offset:4
	buffer_load_dword v138, off, s[36:39], 0 offset:68
	;; [unrolled: 1-line block ×3, first 2 shown]
	s_waitcnt vmcnt(2)
	v_add_f64 v[14:15], v[55:56], v[14:15]
	ds_bpermute_b32 v55, v7, v10 offset:12
	ds_bpermute_b32 v56, v7, v11 offset:12
	s_waitcnt lgkmcnt(0)
	v_add_f64 v[55:56], v[146:147], -v[55:56]
	v_add_f64 v[14:15], v[14:15], v[22:23]
	ds_bpermute_b32 v22, v7, v10 offset:16
	ds_bpermute_b32 v23, v7, v11 offset:16
	v_mul_f64 v[55:56], v[28:29], v[55:56]
	v_add_f64 v[14:15], v[14:15], v[20:21]
	ds_bpermute_b32 v20, v7, v10 offset:20
	ds_bpermute_b32 v21, v7, v11 offset:20
	s_waitcnt lgkmcnt(2)
	v_add_f64 v[22:23], v[148:149], -v[22:23]
	s_waitcnt vmcnt(0) lgkmcnt(0)
	v_add_f64 v[20:21], v[138:139], -v[20:21]
	ds_bpermute_b32 v138, v7, v12 offset:12
	ds_bpermute_b32 v139, v7, v13 offset:12
	v_add_f64 v[14:15], v[14:15], v[28:29]
	v_mul_f64 v[22:23], v[24:25], v[22:23]
	ds_bpermute_b32 v28, v7, v10 offset:24
	ds_bpermute_b32 v29, v7, v11 offset:24
	s_waitcnt lgkmcnt(2)
	v_fma_f64 v[50:51], v[55:56], v[138:139], v[50:51]
	ds_bpermute_b32 v55, v7, v12 offset:16
	ds_bpermute_b32 v56, v7, v13 offset:16
	v_mul_f64 v[20:21], v[32:33], v[20:21]
	s_waitcnt lgkmcnt(2)
	v_add_f64 v[28:29], v[58:59], -v[28:29]
	v_add_f64 v[14:15], v[14:15], v[24:25]
	ds_bpermute_b32 v138, v7, v10 offset:28
	ds_bpermute_b32 v139, v7, v11 offset:28
	;; [unrolled: 1-line block ×4, first 2 shown]
	s_waitcnt lgkmcnt(4)
	v_fma_f64 v[22:23], v[22:23], v[55:56], v[50:51]
	ds_bpermute_b32 v50, v7, v10 offset:32
	ds_bpermute_b32 v51, v7, v11 offset:32
	v_mul_f64 v[28:29], v[26:27], v[28:29]
	s_waitcnt lgkmcnt(4)
	v_add_f64 v[55:56], v[62:63], -v[138:139]
	v_add_f64 v[14:15], v[14:15], v[32:33]
	s_waitcnt lgkmcnt(0)
	v_add_f64 v[32:33], v[66:67], -v[50:51]
	v_fma_f64 v[20:21], v[20:21], v[24:25], v[22:23]
	ds_bpermute_b32 v22, v7, v12 offset:24
	ds_bpermute_b32 v23, v7, v13 offset:24
	;; [unrolled: 1-line block ×3, first 2 shown]
	v_mul_f64 v[50:51], v[38:39], v[55:56]
	v_add_f64 v[14:15], v[14:15], v[26:27]
	ds_bpermute_b32 v25, v7, v11 offset:36
	ds_bpermute_b32 v26, v7, v10 offset:40
	;; [unrolled: 1-line block ×3, first 2 shown]
	s_waitcnt lgkmcnt(4)
	v_fma_f64 v[20:21], v[28:29], v[22:23], v[20:21]
	ds_bpermute_b32 v22, v7, v12 offset:28
	ds_bpermute_b32 v23, v7, v13 offset:28
	v_mul_f64 v[28:29], v[30:31], v[32:33]
	s_waitcnt lgkmcnt(4)
	v_add_f64 v[24:25], v[70:71], -v[24:25]
	v_add_f64 v[14:15], v[14:15], v[38:39]
	s_waitcnt lgkmcnt(2)
	v_add_f64 v[26:27], v[74:75], -v[26:27]
	ds_bpermute_b32 v32, v7, v10 offset:44
	ds_bpermute_b32 v33, v7, v11 offset:44
	s_waitcnt lgkmcnt(2)
	v_fma_f64 v[20:21], v[50:51], v[22:23], v[20:21]
	ds_bpermute_b32 v22, v7, v12 offset:32
	ds_bpermute_b32 v23, v7, v13 offset:32
	v_mul_f64 v[24:25], v[44:45], v[24:25]
	v_add_f64 v[14:15], v[14:15], v[30:31]
	s_waitcnt lgkmcnt(2)
	v_add_f64 v[30:31], v[78:79], -v[32:33]
	v_mul_f64 v[26:27], v[36:37], v[26:27]
	s_waitcnt lgkmcnt(0)
	v_fma_f64 v[20:21], v[28:29], v[22:23], v[20:21]
	ds_bpermute_b32 v22, v7, v12 offset:36
	ds_bpermute_b32 v23, v7, v13 offset:36
	;; [unrolled: 1-line block ×4, first 2 shown]
	v_add_f64 v[14:15], v[14:15], v[44:45]
	v_mul_f64 v[30:31], v[52:53], v[30:31]
	s_waitcnt lgkmcnt(2)
	v_fma_f64 v[20:21], v[24:25], v[22:23], v[20:21]
	ds_bpermute_b32 v22, v7, v12 offset:40
	ds_bpermute_b32 v23, v7, v13 offset:40
	s_waitcnt lgkmcnt(2)
	v_add_f64 v[28:29], v[82:83], -v[28:29]
	ds_bpermute_b32 v24, v7, v10 offset:52
	v_add_f64 v[14:15], v[14:15], v[36:37]
	ds_bpermute_b32 v25, v7, v11 offset:52
	s_waitcnt lgkmcnt(2)
	v_fma_f64 v[20:21], v[26:27], v[22:23], v[20:21]
	ds_bpermute_b32 v22, v7, v12 offset:44
	ds_bpermute_b32 v23, v7, v13 offset:44
	v_mul_f64 v[28:29], v[42:43], v[28:29]
	s_waitcnt lgkmcnt(2)
	v_add_f64 v[24:25], v[86:87], -v[24:25]
	v_add_f64 v[14:15], v[14:15], v[52:53]
	ds_bpermute_b32 v26, v7, v10 offset:56
	ds_bpermute_b32 v27, v7, v11 offset:56
	s_waitcnt lgkmcnt(2)
	v_fma_f64 v[20:21], v[30:31], v[22:23], v[20:21]
	ds_bpermute_b32 v22, v7, v12 offset:48
	ds_bpermute_b32 v23, v7, v13 offset:48
	;; [unrolled: 1-line block ×3, first 2 shown]
	v_mul_f64 v[24:25], v[64:65], v[24:25]
	s_waitcnt lgkmcnt(3)
	v_add_f64 v[26:27], v[90:91], -v[26:27]
	v_add_f64 v[14:15], v[14:15], v[42:43]
	ds_bpermute_b32 v31, v7, v11 offset:60
	s_waitcnt lgkmcnt(2)
	v_fma_f64 v[20:21], v[28:29], v[22:23], v[20:21]
	ds_bpermute_b32 v22, v7, v12 offset:52
	ds_bpermute_b32 v23, v7, v13 offset:52
	;; [unrolled: 1-line block ×4, first 2 shown]
	s_waitcnt lgkmcnt(4)
	v_add_f64 v[30:31], v[94:95], -v[30:31]
	v_mul_f64 v[26:27], v[48:49], v[26:27]
	v_add_f64 v[14:15], v[14:15], v[64:65]
	s_waitcnt lgkmcnt(2)
	v_fma_f64 v[20:21], v[24:25], v[22:23], v[20:21]
	ds_bpermute_b32 v22, v7, v12 offset:56
	ds_bpermute_b32 v23, v7, v13 offset:56
	s_waitcnt lgkmcnt(2)
	v_add_f64 v[28:29], v[98:99], -v[28:29]
	ds_bpermute_b32 v24, v7, v10 offset:68
	v_mul_f64 v[30:31], v[72:73], v[30:31]
	ds_bpermute_b32 v25, v7, v11 offset:68
	v_add_f64 v[14:15], v[14:15], v[48:49]
	s_waitcnt lgkmcnt(2)
	v_fma_f64 v[20:21], v[26:27], v[22:23], v[20:21]
	ds_bpermute_b32 v22, v7, v12 offset:60
	ds_bpermute_b32 v23, v7, v13 offset:60
	v_mul_f64 v[28:29], v[60:61], v[28:29]
	s_waitcnt lgkmcnt(2)
	v_add_f64 v[24:25], v[102:103], -v[24:25]
	ds_bpermute_b32 v26, v7, v10 offset:72
	ds_bpermute_b32 v27, v7, v11 offset:72
	v_add_f64 v[14:15], v[14:15], v[72:73]
	s_waitcnt lgkmcnt(2)
	v_fma_f64 v[20:21], v[30:31], v[22:23], v[20:21]
	ds_bpermute_b32 v22, v7, v12 offset:64
	ds_bpermute_b32 v23, v7, v13 offset:64
	ds_bpermute_b32 v30, v7, v10 offset:76
	s_waitcnt lgkmcnt(3)
	v_add_f64 v[26:27], v[106:107], -v[26:27]
	v_mul_f64 v[24:25], v[80:81], v[24:25]
	ds_bpermute_b32 v31, v7, v11 offset:76
	v_add_f64 v[14:15], v[14:15], v[60:61]
	s_waitcnt lgkmcnt(2)
	v_fma_f64 v[20:21], v[28:29], v[22:23], v[20:21]
	ds_bpermute_b32 v22, v7, v12 offset:68
	ds_bpermute_b32 v23, v7, v13 offset:68
	ds_bpermute_b32 v28, v7, v10 offset:80
	s_waitcnt lgkmcnt(3)
	v_add_f64 v[30:31], v[108:109], -v[30:31]
	v_mul_f64 v[26:27], v[68:69], v[26:27]
	;; [unrolled: 10-line block ×8, first 2 shown]
	ds_bpermute_b32 v27, v7, v11 offset:104
	v_add_f64 v[14:15], v[14:15], v[104:105]
	ds_bpermute_b32 v24, v7, v10 offset:108
	ds_bpermute_b32 v25, v7, v11 offset:108
	s_waitcnt lgkmcnt(4)
	v_fma_f64 v[20:21], v[28:29], v[22:23], v[20:21]
	ds_bpermute_b32 v22, v7, v12 offset:96
	ds_bpermute_b32 v23, v7, v13 offset:96
	s_waitcnt lgkmcnt(4)
	v_add_f64 v[26:27], v[126:127], -v[26:27]
	v_mul_f64 v[2:3], v[110:111], v[2:3]
	v_add_f64 v[14:15], v[14:15], v[92:93]
	s_waitcnt lgkmcnt(2)
	v_add_f64 v[24:25], v[130:131], -v[24:25]
	s_waitcnt lgkmcnt(0)
	v_fma_f64 v[0:1], v[0:1], v[22:23], v[20:21]
	ds_bpermute_b32 v20, v7, v12 offset:100
	ds_bpermute_b32 v21, v7, v13 offset:100
	;; [unrolled: 1-line block ×3, first 2 shown]
	v_mul_f64 v[26:27], v[100:101], v[26:27]
	ds_bpermute_b32 v23, v7, v11 offset:112
	v_add_f64 v[14:15], v[14:15], v[110:111]
	v_mul_f64 v[24:25], v[118:119], v[24:25]
	s_waitcnt lgkmcnt(2)
	v_fma_f64 v[0:1], v[2:3], v[20:21], v[0:1]
	ds_bpermute_b32 v2, v7, v12 offset:104
	ds_bpermute_b32 v3, v7, v13 offset:104
	s_waitcnt lgkmcnt(2)
	v_add_f64 v[22:23], v[132:133], -v[22:23]
	ds_bpermute_b32 v20, v7, v10 offset:116
	ds_bpermute_b32 v21, v7, v11 offset:116
	v_add_f64 v[14:15], v[14:15], v[100:101]
	s_waitcnt lgkmcnt(2)
	v_fma_f64 v[0:1], v[26:27], v[2:3], v[0:1]
	ds_bpermute_b32 v2, v7, v12 offset:108
	ds_bpermute_b32 v3, v7, v13 offset:108
	s_waitcnt lgkmcnt(2)
	v_add_f64 v[20:21], v[134:135], -v[20:21]
	v_mul_f64 v[22:23], v[114:115], v[22:23]
	ds_bpermute_b32 v26, v7, v10 offset:120
	ds_bpermute_b32 v27, v7, v11 offset:120
	v_add_f64 v[14:15], v[14:15], v[118:119]
	s_waitcnt lgkmcnt(2)
	v_fma_f64 v[0:1], v[24:25], v[2:3], v[0:1]
	ds_bpermute_b32 v2, v7, v12 offset:112
	ds_bpermute_b32 v3, v7, v13 offset:112
	v_mul_f64 v[20:21], v[128:129], v[20:21]
	s_waitcnt lgkmcnt(2)
	v_add_f64 v[24:25], v[136:137], -v[26:27]
	v_add_f64 v[14:15], v[14:15], v[114:115]
	s_waitcnt lgkmcnt(0)
	v_fma_f64 v[0:1], v[22:23], v[2:3], v[0:1]
	ds_bpermute_b32 v2, v7, v12 offset:116
	ds_bpermute_b32 v3, v7, v13 offset:116
	v_mul_f64 v[22:23], v[124:125], v[24:25]
	ds_bpermute_b32 v24, v7, v12 offset:120
	ds_bpermute_b32 v25, v7, v13 offset:120
	v_add_f64 v[14:15], v[14:15], v[128:129]
	s_waitcnt lgkmcnt(2)
	v_fma_f64 v[1:2], v[20:21], v[2:3], v[0:1]
	ds_bpermute_b32 v0, v7, v12 offset:124
	ds_bpermute_b32 v12, v7, v10 offset:124
	v_add_f64 v[20:21], v[14:15], v[124:125]
	s_waitcnt lgkmcnt(2)
	v_fma_f64 v[2:3], v[22:23], v[24:25], v[1:2]
	ds_bpermute_b32 v1, v7, v13 offset:124
	ds_bpermute_b32 v13, v7, v11 offset:124
.LBB28_4:                               ;   in Loop: Header=BB28_5 Depth=1
	s_waitcnt lgkmcnt(0)
	v_add_f64 v[10:11], v[18:19], -v[12:13]
	v_add_f64 v[12:13], v[20:21], v[16:17]
	s_add_u32 s26, s26, s29
	s_addc_u32 s27, s27, 0
	s_add_u32 s24, s24, s29
	v_cmp_lt_i64_e64 s30, s[26:27], s[8:9]
	s_addc_u32 s25, 0, s25
	buffer_store_dword v12, off, s[36:39], 0 ; 4-byte Folded Spill
	buffer_store_dword v13, off, s[36:39], 0 offset:4 ; 4-byte Folded Spill
	buffer_load_dword v12, off, s[36:39], 0 offset:16 ; 4-byte Folded Reload
	v_mul_f64 v[10:11], v[16:17], v[10:11]
	v_fma_f64 v[0:1], v[10:11], v[0:1], v[2:3]
	s_waitcnt vmcnt(0)
	v_add_co_u32 v12, vcc_lo, v12, s2
	buffer_store_dword v12, off, s[36:39], 0 offset:16 ; 4-byte Folded Spill
	buffer_load_dword v12, off, s[36:39], 0 offset:20 ; 4-byte Folded Reload
	s_waitcnt vmcnt(0)
	v_add_co_ci_u32_e64 v12, null, s3, v12, vcc_lo
	buffer_store_dword v12, off, s[36:39], 0 offset:20 ; 4-byte Folded Spill
	buffer_load_dword v12, off, s[36:39], 0 offset:24 ; 4-byte Folded Reload
	s_waitcnt vmcnt(0)
	v_add_co_u32 v12, vcc_lo, v12, s2
	buffer_store_dword v12, off, s[36:39], 0 offset:24 ; 4-byte Folded Spill
	buffer_load_dword v12, off, s[36:39], 0 offset:28 ; 4-byte Folded Reload
	s_waitcnt vmcnt(0)
	v_add_co_ci_u32_e64 v12, null, s3, v12, vcc_lo
	buffer_store_dword v12, off, s[36:39], 0 offset:28 ; 4-byte Folded Spill
	buffer_load_dword v12, off, s[36:39], 0 offset:32 ; 4-byte Folded Reload
	;; [unrolled: 8-line block ×3, first 2 shown]
	s_waitcnt vmcnt(0)
	v_add_co_u32 v12, vcc_lo, v12, s2
	buffer_store_dword v12, off, s[36:39], 0 offset:40 ; 4-byte Folded Spill
	buffer_load_dword v12, off, s[36:39], 0 offset:44 ; 4-byte Folded Reload
	s_waitcnt vmcnt(0)
	v_add_co_ci_u32_e64 v12, null, s3, v12, vcc_lo
	v_add_co_u32 v150, vcc_lo, v150, s2
	v_add_co_ci_u32_e64 v151, null, s3, v151, vcc_lo
	v_add_co_u32 v152, vcc_lo, v152, s2
	;; [unrolled: 2-line block ×61, first 2 shown]
	v_add_co_ci_u32_e64 v141, null, 0, v141, vcc_lo
	s_and_b32 vcc_lo, exec_lo, s30
	buffer_store_dword v12, off, s[36:39], 0 offset:44 ; 4-byte Folded Spill
	buffer_store_dword v0, off, s[36:39], 0 offset:8 ; 4-byte Folded Spill
	;; [unrolled: 1-line block ×3, first 2 shown]
	s_cbranch_vccz .LBB28_141
.LBB28_5:                               ; =>This Inner Loop Header: Depth=1
	s_add_u32 s30, s20, s24
	s_addc_u32 s31, 0, s25
	v_add_co_u32 v10, vcc_lo, s20, v140
	v_cmp_ge_i64_e64 s30, s[30:31], s[8:9]
	v_add_co_ci_u32_e64 v11, null, 0, v141, vcc_lo
                                        ; implicit-def: $vgpr0_vgpr1
                                        ; implicit-def: $vgpr16_vgpr17
                                        ; implicit-def: $vgpr18_vgpr19
                                        ; implicit-def: $vgpr12
                                        ; implicit-def: $vgpr20_vgpr21
                                        ; implicit-def: $vgpr2_vgpr3
	s_and_b32 vcc_lo, exec_lo, s30
	s_mov_b32 s30, -1
	s_cbranch_vccz .LBB28_73
; %bb.6:                                ;   in Loop: Header=BB28_5 Depth=1
	s_load_dword s30, s[22:23], 0xc
	s_clause 0x2
	buffer_load_dword v0, off, s[36:39], 0 offset:492
	buffer_load_dword v1, off, s[36:39], 0 offset:496
	;; [unrolled: 1-line block ×3, first 2 shown]
	v_mov_b32_e32 v20, 0
	v_mov_b32_e32 v14, 0
	;; [unrolled: 1-line block ×6, first 2 shown]
	s_waitcnt lgkmcnt(0)
	s_and_b32 s30, s30, 0xffff
	s_waitcnt vmcnt(0)
	v_mad_u32_u24 v0, v0, s30, v1
	s_mov_b32 s30, exec_lo
	v_and_b32_e32 v0, 31, v0
	v_add_co_u32 v0, vcc_lo, v10, v0
	v_add_co_ci_u32_e64 v1, null, 0, v11, vcc_lo
	v_cmpx_gt_i64_e64 s[8:9], v[0:1]
	s_cbranch_execz .LBB28_8
; %bb.7:                                ;   in Loop: Header=BB28_5 Depth=1
	v_lshlrev_b64 v[0:1], 3, v[0:1]
	v_add_co_u32 v2, vcc_lo, s16, v0
	v_add_co_ci_u32_e64 v3, null, s17, v1, vcc_lo
	v_add_co_u32 v0, vcc_lo, s18, v0
	v_add_co_ci_u32_e64 v1, null, s19, v1, vcc_lo
	global_load_dwordx2 v[12:13], v[2:3], off
	global_load_dwordx2 v[14:15], v[0:1], off
.LBB28_8:                               ;   in Loop: Header=BB28_5 Depth=1
	s_or_b32 exec_lo, exec_lo, s30
	v_cmp_gt_i64_e32 vcc_lo, s[8:9], v[10:11]
	v_mov_b32_e32 v44, 0
	v_mov_b32_e32 v45, 0
	s_and_b32 s31, s1, vcc_lo
	s_and_saveexec_b32 s30, s31
	s_cbranch_execz .LBB28_10
; %bb.9:                                ;   in Loop: Header=BB28_5 Depth=1
	s_clause 0x3
	buffer_load_dword v0, off, s[36:39], 0 offset:16
	buffer_load_dword v1, off, s[36:39], 0 offset:20
	;; [unrolled: 1-line block ×4, first 2 shown]
	s_waitcnt vmcnt(3)
	v_add_co_u32 v0, vcc_lo, v0, v8
	s_waitcnt vmcnt(2)
	v_add_co_ci_u32_e64 v1, null, v1, v9, vcc_lo
	s_waitcnt vmcnt(1)
	v_add_co_u32 v2, vcc_lo, v2, v8
	s_waitcnt vmcnt(0)
	v_add_co_ci_u32_e64 v3, null, v3, v9, vcc_lo
	global_load_dwordx2 v[20:21], v[0:1], off
	global_load_dwordx2 v[44:45], v[2:3], off
.LBB28_10:                              ;   in Loop: Header=BB28_5 Depth=1
	s_or_b32 exec_lo, exec_lo, s30
	v_add_co_u32 v0, vcc_lo, v10, 1
	v_add_co_ci_u32_e64 v1, null, 0, v11, vcc_lo
	v_mov_b32_e32 v22, 0
	v_mov_b32_e32 v24, 0
	;; [unrolled: 1-line block ×3, first 2 shown]
	v_cmp_gt_i64_e32 vcc_lo, s[8:9], v[0:1]
	v_mov_b32_e32 v0, 0
	v_mov_b32_e32 v25, 0
	;; [unrolled: 1-line block ×3, first 2 shown]
	buffer_store_dword v0, off, s[36:39], 0 offset:52 ; 4-byte Folded Spill
	buffer_store_dword v1, off, s[36:39], 0 offset:56 ; 4-byte Folded Spill
	s_and_b32 s31, s1, vcc_lo
	s_and_saveexec_b32 s30, s31
	s_cbranch_execz .LBB28_12
; %bb.11:                               ;   in Loop: Header=BB28_5 Depth=1
	v_add_co_u32 v0, vcc_lo, v143, v8
	v_add_co_ci_u32_e64 v1, null, v144, v9, vcc_lo
	v_add_co_u32 v2, vcc_lo, v145, v8
	v_add_co_ci_u32_e64 v3, null, v54, v9, vcc_lo
	global_load_dwordx2 v[24:25], v[0:1], off
	global_load_dwordx2 v[0:1], v[2:3], off
	s_waitcnt vmcnt(0)
	buffer_store_dword v0, off, s[36:39], 0 offset:52 ; 4-byte Folded Spill
	buffer_store_dword v1, off, s[36:39], 0 offset:56 ; 4-byte Folded Spill
.LBB28_12:                              ;   in Loop: Header=BB28_5 Depth=1
	s_or_b32 exec_lo, exec_lo, s30
	v_add_co_u32 v0, vcc_lo, v10, 2
	v_add_co_ci_u32_e64 v1, null, 0, v11, vcc_lo
	v_mov_b32_e32 v66, 0
	v_mov_b32_e32 v67, 0
	v_cmp_gt_i64_e32 vcc_lo, s[8:9], v[0:1]
	s_and_b32 s31, s1, vcc_lo
	s_and_saveexec_b32 s30, s31
	s_cbranch_execz .LBB28_14
; %bb.13:                               ;   in Loop: Header=BB28_5 Depth=1
	v_add_co_u32 v0, vcc_lo, v41, v8
	v_add_co_ci_u32_e64 v1, null, v46, v9, vcc_lo
	v_add_co_u32 v2, vcc_lo, v47, v8
	v_add_co_ci_u32_e64 v3, null, v142, v9, vcc_lo
	global_load_dwordx2 v[22:23], v[0:1], off
	global_load_dwordx2 v[66:67], v[2:3], off
.LBB28_14:                              ;   in Loop: Header=BB28_5 Depth=1
	s_or_b32 exec_lo, exec_lo, s30
	v_add_co_u32 v0, vcc_lo, v10, 3
	v_add_co_ci_u32_e64 v1, null, 0, v11, vcc_lo
	v_mov_b32_e32 v26, 0
	v_mov_b32_e32 v28, 0
	;; [unrolled: 1-line block ×3, first 2 shown]
	v_cmp_gt_i64_e32 vcc_lo, s[8:9], v[0:1]
	v_mov_b32_e32 v0, 0
	v_mov_b32_e32 v29, 0
	;; [unrolled: 1-line block ×3, first 2 shown]
	buffer_store_dword v0, off, s[36:39], 0 offset:60 ; 4-byte Folded Spill
	buffer_store_dword v1, off, s[36:39], 0 offset:64 ; 4-byte Folded Spill
	s_and_b32 s31, s1, vcc_lo
	s_and_saveexec_b32 s30, s31
	s_cbranch_execz .LBB28_16
; %bb.15:                               ;   in Loop: Header=BB28_5 Depth=1
	v_add_co_u32 v0, vcc_lo, v255, v8
	v_add_co_ci_u32_e64 v1, null, v34, v9, vcc_lo
	v_add_co_u32 v2, vcc_lo, v35, v8
	v_add_co_ci_u32_e64 v3, null, v40, v9, vcc_lo
	global_load_dwordx2 v[28:29], v[0:1], off
	global_load_dwordx2 v[0:1], v[2:3], off
	s_waitcnt vmcnt(0)
	buffer_store_dword v0, off, s[36:39], 0 offset:60 ; 4-byte Folded Spill
	buffer_store_dword v1, off, s[36:39], 0 offset:64 ; 4-byte Folded Spill
.LBB28_16:                              ;   in Loop: Header=BB28_5 Depth=1
	s_or_b32 exec_lo, exec_lo, s30
	v_add_co_u32 v0, vcc_lo, v10, 4
	v_add_co_ci_u32_e64 v1, null, 0, v11, vcc_lo
	v_mov_b32_e32 v60, 0
	v_mov_b32_e32 v61, 0
	v_cmp_gt_i64_e32 vcc_lo, s[8:9], v[0:1]
	s_and_b32 s31, s1, vcc_lo
	s_and_saveexec_b32 s30, s31
	s_cbranch_execz .LBB28_18
; %bb.17:                               ;   in Loop: Header=BB28_5 Depth=1
	v_add_co_u32 v0, vcc_lo, v251, v8
	v_add_co_ci_u32_e64 v1, null, v252, v9, vcc_lo
	v_add_co_u32 v2, vcc_lo, v253, v8
	v_add_co_ci_u32_e64 v3, null, v254, v9, vcc_lo
	global_load_dwordx2 v[26:27], v[0:1], off
	global_load_dwordx2 v[60:61], v[2:3], off
.LBB28_18:                              ;   in Loop: Header=BB28_5 Depth=1
	s_or_b32 exec_lo, exec_lo, s30
	v_add_co_u32 v0, vcc_lo, v10, 5
	v_add_co_ci_u32_e64 v1, null, 0, v11, vcc_lo
	v_mov_b32_e32 v30, 0
	v_mov_b32_e32 v32, 0
	;; [unrolled: 1-line block ×3, first 2 shown]
	v_cmp_gt_i64_e32 vcc_lo, s[8:9], v[0:1]
	v_mov_b32_e32 v31, 0
	v_mov_b32_e32 v33, 0
	;; [unrolled: 1-line block ×3, first 2 shown]
	s_and_b32 s31, s1, vcc_lo
	s_and_saveexec_b32 s30, s31
	s_cbranch_execz .LBB28_20
; %bb.19:                               ;   in Loop: Header=BB28_5 Depth=1
	v_add_co_u32 v0, vcc_lo, v247, v8
	v_add_co_ci_u32_e64 v1, null, v248, v9, vcc_lo
	v_add_co_u32 v2, vcc_lo, v249, v8
	v_add_co_ci_u32_e64 v3, null, v250, v9, vcc_lo
	global_load_dwordx2 v[32:33], v[0:1], off
	global_load_dwordx2 v[68:69], v[2:3], off
.LBB28_20:                              ;   in Loop: Header=BB28_5 Depth=1
	s_or_b32 exec_lo, exec_lo, s30
	v_add_co_u32 v0, vcc_lo, v10, 6
	v_add_co_ci_u32_e64 v1, null, 0, v11, vcc_lo
	v_cmp_gt_i64_e32 vcc_lo, s[8:9], v[0:1]
	v_mov_b32_e32 v0, 0
	v_mov_b32_e32 v1, 0
	buffer_store_dword v0, off, s[36:39], 0 offset:68 ; 4-byte Folded Spill
	buffer_store_dword v1, off, s[36:39], 0 offset:72 ; 4-byte Folded Spill
	s_and_b32 s31, s1, vcc_lo
	s_and_saveexec_b32 s30, s31
	s_cbranch_execz .LBB28_22
; %bb.21:                               ;   in Loop: Header=BB28_5 Depth=1
	v_add_co_u32 v0, vcc_lo, v243, v8
	v_add_co_ci_u32_e64 v1, null, v244, v9, vcc_lo
	v_add_co_u32 v2, vcc_lo, v245, v8
	v_add_co_ci_u32_e64 v3, null, v246, v9, vcc_lo
	global_load_dwordx2 v[30:31], v[0:1], off
	global_load_dwordx2 v[0:1], v[2:3], off
	s_waitcnt vmcnt(0)
	buffer_store_dword v0, off, s[36:39], 0 offset:68 ; 4-byte Folded Spill
	buffer_store_dword v1, off, s[36:39], 0 offset:72 ; 4-byte Folded Spill
.LBB28_22:                              ;   in Loop: Header=BB28_5 Depth=1
	s_or_b32 exec_lo, exec_lo, s30
	v_add_co_u32 v0, vcc_lo, v10, 7
	v_add_co_ci_u32_e64 v1, null, 0, v11, vcc_lo
	v_mov_b32_e32 v36, 0
	v_mov_b32_e32 v42, 0
	;; [unrolled: 1-line block ×3, first 2 shown]
	v_cmp_gt_i64_e32 vcc_lo, s[8:9], v[0:1]
	v_mov_b32_e32 v0, 0
	v_mov_b32_e32 v43, 0
	;; [unrolled: 1-line block ×3, first 2 shown]
	buffer_store_dword v0, off, s[36:39], 0 offset:76 ; 4-byte Folded Spill
	buffer_store_dword v1, off, s[36:39], 0 offset:80 ; 4-byte Folded Spill
	s_and_b32 s31, s1, vcc_lo
	s_and_saveexec_b32 s30, s31
	s_cbranch_execz .LBB28_24
; %bb.23:                               ;   in Loop: Header=BB28_5 Depth=1
	v_add_co_u32 v0, vcc_lo, v239, v8
	v_add_co_ci_u32_e64 v1, null, v240, v9, vcc_lo
	v_add_co_u32 v2, vcc_lo, v241, v8
	v_add_co_ci_u32_e64 v3, null, v242, v9, vcc_lo
	global_load_dwordx2 v[42:43], v[0:1], off
	global_load_dwordx2 v[0:1], v[2:3], off
	s_waitcnt vmcnt(0)
	buffer_store_dword v0, off, s[36:39], 0 offset:76 ; 4-byte Folded Spill
	buffer_store_dword v1, off, s[36:39], 0 offset:80 ; 4-byte Folded Spill
.LBB28_24:                              ;   in Loop: Header=BB28_5 Depth=1
	s_or_b32 exec_lo, exec_lo, s30
	v_add_co_u32 v0, vcc_lo, v10, 8
	v_add_co_ci_u32_e64 v1, null, 0, v11, vcc_lo
	v_cmp_gt_i64_e32 vcc_lo, s[8:9], v[0:1]
	v_mov_b32_e32 v0, 0
	v_mov_b32_e32 v1, 0
	buffer_store_dword v0, off, s[36:39], 0 offset:84 ; 4-byte Folded Spill
	buffer_store_dword v1, off, s[36:39], 0 offset:88 ; 4-byte Folded Spill
	s_and_b32 s31, s1, vcc_lo
	s_and_saveexec_b32 s30, s31
	s_cbranch_execz .LBB28_26
; %bb.25:                               ;   in Loop: Header=BB28_5 Depth=1
	v_add_co_u32 v0, vcc_lo, v235, v8
	v_add_co_ci_u32_e64 v1, null, v236, v9, vcc_lo
	v_add_co_u32 v2, vcc_lo, v237, v8
	v_add_co_ci_u32_e64 v3, null, v238, v9, vcc_lo
	global_load_dwordx2 v[36:37], v[0:1], off
	global_load_dwordx2 v[0:1], v[2:3], off
	s_waitcnt vmcnt(0)
	buffer_store_dword v0, off, s[36:39], 0 offset:84 ; 4-byte Folded Spill
	buffer_store_dword v1, off, s[36:39], 0 offset:88 ; 4-byte Folded Spill
.LBB28_26:                              ;   in Loop: Header=BB28_5 Depth=1
	s_or_b32 exec_lo, exec_lo, s30
	v_add_co_u32 v0, vcc_lo, v10, 9
	v_add_co_ci_u32_e64 v1, null, 0, v11, vcc_lo
	v_mov_b32_e32 v50, 0
	v_mov_b32_e32 v52, 0
	v_mov_b32_e32 v51, 0
	v_cmp_gt_i64_e32 vcc_lo, s[8:9], v[0:1]
	v_mov_b32_e32 v0, 0
	v_mov_b32_e32 v53, 0
	;; [unrolled: 1-line block ×3, first 2 shown]
	buffer_store_dword v0, off, s[36:39], 0 offset:92 ; 4-byte Folded Spill
	buffer_store_dword v1, off, s[36:39], 0 offset:96 ; 4-byte Folded Spill
	s_and_b32 s31, s1, vcc_lo
	s_and_saveexec_b32 s30, s31
	s_cbranch_execz .LBB28_28
; %bb.27:                               ;   in Loop: Header=BB28_5 Depth=1
	v_add_co_u32 v0, vcc_lo, v231, v8
	v_add_co_ci_u32_e64 v1, null, v232, v9, vcc_lo
	v_add_co_u32 v2, vcc_lo, v233, v8
	v_add_co_ci_u32_e64 v3, null, v234, v9, vcc_lo
	global_load_dwordx2 v[52:53], v[0:1], off
	global_load_dwordx2 v[0:1], v[2:3], off
	s_waitcnt vmcnt(0)
	buffer_store_dword v0, off, s[36:39], 0 offset:92 ; 4-byte Folded Spill
	buffer_store_dword v1, off, s[36:39], 0 offset:96 ; 4-byte Folded Spill
.LBB28_28:                              ;   in Loop: Header=BB28_5 Depth=1
	s_or_b32 exec_lo, exec_lo, s30
	v_add_co_u32 v0, vcc_lo, v10, 10
	v_add_co_ci_u32_e64 v1, null, 0, v11, vcc_lo
	v_cmp_gt_i64_e32 vcc_lo, s[8:9], v[0:1]
	v_mov_b32_e32 v0, 0
	v_mov_b32_e32 v1, 0
	buffer_store_dword v0, off, s[36:39], 0 offset:100 ; 4-byte Folded Spill
	buffer_store_dword v1, off, s[36:39], 0 offset:104 ; 4-byte Folded Spill
	s_and_b32 s31, s1, vcc_lo
	s_and_saveexec_b32 s30, s31
	s_cbranch_execz .LBB28_30
; %bb.29:                               ;   in Loop: Header=BB28_5 Depth=1
	v_add_co_u32 v0, vcc_lo, v227, v8
	v_add_co_ci_u32_e64 v1, null, v228, v9, vcc_lo
	v_add_co_u32 v2, vcc_lo, v229, v8
	v_add_co_ci_u32_e64 v3, null, v230, v9, vcc_lo
	global_load_dwordx2 v[50:51], v[0:1], off
	global_load_dwordx2 v[0:1], v[2:3], off
	s_waitcnt vmcnt(0)
	buffer_store_dword v0, off, s[36:39], 0 offset:100 ; 4-byte Folded Spill
	buffer_store_dword v1, off, s[36:39], 0 offset:104 ; 4-byte Folded Spill
.LBB28_30:                              ;   in Loop: Header=BB28_5 Depth=1
	s_or_b32 exec_lo, exec_lo, s30
	v_add_co_u32 v0, vcc_lo, v10, 11
	v_add_co_ci_u32_e64 v1, null, 0, v11, vcc_lo
	v_mov_b32_e32 v56, 0
	v_mov_b32_e32 v62, 0
	v_mov_b32_e32 v74, 0
	v_cmp_gt_i64_e32 vcc_lo, s[8:9], v[0:1]
	v_mov_b32_e32 v57, 0
	v_mov_b32_e32 v63, 0
	v_mov_b32_e32 v75, 0
	s_and_b32 s31, s1, vcc_lo
	s_and_saveexec_b32 s30, s31
	s_cbranch_execz .LBB28_32
; %bb.31:                               ;   in Loop: Header=BB28_5 Depth=1
	v_add_co_u32 v0, vcc_lo, v223, v8
	v_add_co_ci_u32_e64 v1, null, v224, v9, vcc_lo
	v_add_co_u32 v2, vcc_lo, v225, v8
	v_add_co_ci_u32_e64 v3, null, v226, v9, vcc_lo
	global_load_dwordx2 v[62:63], v[0:1], off
	global_load_dwordx2 v[74:75], v[2:3], off
.LBB28_32:                              ;   in Loop: Header=BB28_5 Depth=1
	s_or_b32 exec_lo, exec_lo, s30
	v_add_co_u32 v0, vcc_lo, v10, 12
	v_add_co_ci_u32_e64 v1, null, 0, v11, vcc_lo
	v_mov_b32_e32 v76, 0
	v_mov_b32_e32 v77, 0
	v_cmp_gt_i64_e32 vcc_lo, s[8:9], v[0:1]
	s_and_b32 s31, s1, vcc_lo
	s_and_saveexec_b32 s30, s31
	s_cbranch_execz .LBB28_34
; %bb.33:                               ;   in Loop: Header=BB28_5 Depth=1
	v_add_co_u32 v0, vcc_lo, v219, v8
	v_add_co_ci_u32_e64 v1, null, v220, v9, vcc_lo
	v_add_co_u32 v2, vcc_lo, v221, v8
	v_add_co_ci_u32_e64 v3, null, v222, v9, vcc_lo
	global_load_dwordx2 v[56:57], v[0:1], off
	global_load_dwordx2 v[76:77], v[2:3], off
.LBB28_34:                              ;   in Loop: Header=BB28_5 Depth=1
	s_or_b32 exec_lo, exec_lo, s30
	v_add_co_u32 v0, vcc_lo, v10, 13
	v_add_co_ci_u32_e64 v1, null, 0, v11, vcc_lo
	v_mov_b32_e32 v64, 0
	v_mov_b32_e32 v70, 0
	v_mov_b32_e32 v82, 0
	v_cmp_gt_i64_e32 vcc_lo, s[8:9], v[0:1]
	v_mov_b32_e32 v65, 0
	v_mov_b32_e32 v71, 0
	v_mov_b32_e32 v83, 0
	s_and_b32 s31, s1, vcc_lo
	s_and_saveexec_b32 s30, s31
	s_cbranch_execz .LBB28_36
; %bb.35:                               ;   in Loop: Header=BB28_5 Depth=1
	v_add_co_u32 v0, vcc_lo, v215, v8
	v_add_co_ci_u32_e64 v1, null, v216, v9, vcc_lo
	v_add_co_u32 v2, vcc_lo, v217, v8
	v_add_co_ci_u32_e64 v3, null, v218, v9, vcc_lo
	global_load_dwordx2 v[70:71], v[0:1], off
	global_load_dwordx2 v[82:83], v[2:3], off
.LBB28_36:                              ;   in Loop: Header=BB28_5 Depth=1
	s_or_b32 exec_lo, exec_lo, s30
	v_add_co_u32 v0, vcc_lo, v10, 14
	v_add_co_ci_u32_e64 v1, null, 0, v11, vcc_lo
	v_mov_b32_e32 v84, 0
	v_mov_b32_e32 v85, 0
	v_cmp_gt_i64_e32 vcc_lo, s[8:9], v[0:1]
	s_and_b32 s31, s1, vcc_lo
	s_and_saveexec_b32 s30, s31
	s_cbranch_execz .LBB28_38
; %bb.37:                               ;   in Loop: Header=BB28_5 Depth=1
	v_add_co_u32 v0, vcc_lo, v211, v8
	v_add_co_ci_u32_e64 v1, null, v212, v9, vcc_lo
	v_add_co_u32 v2, vcc_lo, v213, v8
	v_add_co_ci_u32_e64 v3, null, v214, v9, vcc_lo
	global_load_dwordx2 v[64:65], v[0:1], off
	global_load_dwordx2 v[84:85], v[2:3], off
.LBB28_38:                              ;   in Loop: Header=BB28_5 Depth=1
	;; [unrolled: 38-line block ×10, first 2 shown]
	s_or_b32 exec_lo, exec_lo, s30
	v_add_co_u32 v16, vcc_lo, v10, 31
	v_add_co_ci_u32_e64 v17, null, 0, v11, vcc_lo
	v_mov_b32_e32 v18, 0
	v_mov_b32_e32 v19, 0
	v_cmp_gt_i64_e32 vcc_lo, s[8:9], v[16:17]
	v_mov_b32_e32 v16, 0
	v_mov_b32_e32 v17, 0
	s_and_b32 s31, s1, vcc_lo
	s_and_saveexec_b32 s30, s31
	s_cbranch_execz .LBB28_72
; %bb.71:                               ;   in Loop: Header=BB28_5 Depth=1
	s_clause 0x3
	buffer_load_dword v16, off, s[36:39], 0 offset:32
	buffer_load_dword v17, off, s[36:39], 0 offset:36
	;; [unrolled: 1-line block ×4, first 2 shown]
	s_waitcnt vmcnt(3)
	v_add_co_u32 v16, vcc_lo, v16, v8
	s_waitcnt vmcnt(2)
	v_add_co_ci_u32_e64 v17, null, v17, v9, vcc_lo
	s_waitcnt vmcnt(1)
	v_add_co_u32 v18, vcc_lo, v18, v8
	s_waitcnt vmcnt(0)
	v_add_co_ci_u32_e64 v19, null, v19, v9, vcc_lo
	global_load_dwordx2 v[16:17], v[16:17], off
	global_load_dwordx2 v[18:19], v[18:19], off
.LBB28_72:                              ;   in Loop: Header=BB28_5 Depth=1
	s_or_b32 exec_lo, exec_lo, s30
	s_waitcnt vmcnt(1)
	ds_bpermute_b32 v38, v7, v12
	ds_bpermute_b32 v39, v7, v13
	ds_bpermute_b32 v48, v7, v12 offset:4
	ds_bpermute_b32 v49, v7, v13 offset:4
	s_mov_b32 s30, 0
	s_waitcnt vmcnt(0) lgkmcnt(2)
	v_add_f64 v[38:39], v[44:45], -v[38:39]
	s_clause 0x3
	buffer_load_dword v44, off, s[36:39], 0 offset:52
	buffer_load_dword v45, off, s[36:39], 0 offset:56
	;; [unrolled: 1-line block ×4, first 2 shown]
	v_mul_f64 v[38:39], v[20:21], v[38:39]
	s_waitcnt vmcnt(2) lgkmcnt(0)
	v_add_f64 v[48:49], v[44:45], -v[48:49]
	ds_bpermute_b32 v44, v7, v14
	ds_bpermute_b32 v45, v7, v15
	s_waitcnt vmcnt(0) lgkmcnt(0)
	v_fma_f64 v[38:39], v[38:39], v[44:45], v[58:59]
	v_mul_f64 v[44:45], v[24:25], v[48:49]
	ds_bpermute_b32 v48, v7, v14 offset:4
	ds_bpermute_b32 v49, v7, v15 offset:4
	s_waitcnt lgkmcnt(0)
	v_fma_f64 v[38:39], v[44:45], v[48:49], v[38:39]
	ds_bpermute_b32 v44, v7, v12 offset:8
	ds_bpermute_b32 v45, v7, v13 offset:8
	;; [unrolled: 1-line block ×4, first 2 shown]
	s_waitcnt lgkmcnt(2)
	v_add_f64 v[44:45], v[66:67], -v[44:45]
	v_mul_f64 v[44:45], v[22:23], v[44:45]
	s_waitcnt lgkmcnt(0)
	v_fma_f64 v[38:39], v[44:45], v[48:49], v[38:39]
	s_clause 0x1
	buffer_load_dword v48, off, s[36:39], 0 offset:60
	buffer_load_dword v49, off, s[36:39], 0 offset:64
	ds_bpermute_b32 v44, v7, v12 offset:12
	ds_bpermute_b32 v45, v7, v13 offset:12
	s_waitcnt vmcnt(0) lgkmcnt(0)
	v_add_f64 v[44:45], v[48:49], -v[44:45]
	ds_bpermute_b32 v48, v7, v14 offset:12
	ds_bpermute_b32 v49, v7, v15 offset:12
	v_mul_f64 v[44:45], v[28:29], v[44:45]
	s_waitcnt lgkmcnt(0)
	v_fma_f64 v[38:39], v[44:45], v[48:49], v[38:39]
	s_clause 0x1
	buffer_load_dword v44, off, s[36:39], 0
	buffer_load_dword v45, off, s[36:39], 0 offset:4
	s_waitcnt vmcnt(0)
	v_add_f64 v[20:21], v[44:45], v[20:21]
	s_clause 0x3
	buffer_load_dword v44, off, s[36:39], 0 offset:68
	buffer_load_dword v45, off, s[36:39], 0 offset:72
	;; [unrolled: 1-line block ×4, first 2 shown]
	v_add_f64 v[20:21], v[20:21], v[24:25]
	ds_bpermute_b32 v24, v7, v12 offset:16
	ds_bpermute_b32 v25, v7, v13 offset:16
	s_waitcnt lgkmcnt(0)
	v_add_f64 v[24:25], v[60:61], -v[24:25]
	v_add_f64 v[20:21], v[20:21], v[22:23]
	ds_bpermute_b32 v22, v7, v12 offset:20
	ds_bpermute_b32 v23, v7, v13 offset:20
	v_mul_f64 v[24:25], v[26:27], v[24:25]
	v_add_f64 v[20:21], v[20:21], v[28:29]
	ds_bpermute_b32 v28, v7, v12 offset:24
	ds_bpermute_b32 v29, v7, v13 offset:24
	s_waitcnt lgkmcnt(2)
	v_add_f64 v[22:23], v[68:69], -v[22:23]
	v_add_f64 v[20:21], v[20:21], v[26:27]
	ds_bpermute_b32 v26, v7, v12 offset:28
	ds_bpermute_b32 v27, v7, v13 offset:28
	v_mul_f64 v[22:23], v[32:33], v[22:23]
	v_add_f64 v[20:21], v[20:21], v[32:33]
	ds_bpermute_b32 v32, v7, v12 offset:36
	ds_bpermute_b32 v33, v7, v13 offset:36
	v_add_f64 v[20:21], v[20:21], v[30:31]
	v_add_f64 v[20:21], v[20:21], v[42:43]
	;; [unrolled: 1-line block ×9, first 2 shown]
	s_waitcnt vmcnt(2) lgkmcnt(4)
	v_add_f64 v[28:29], v[44:45], -v[28:29]
	ds_bpermute_b32 v44, v7, v14 offset:16
	ds_bpermute_b32 v45, v7, v15 offset:16
	s_waitcnt vmcnt(0) lgkmcnt(4)
	v_add_f64 v[26:27], v[48:49], -v[26:27]
	v_add_f64 v[20:21], v[20:21], v[78:79]
	s_waitcnt lgkmcnt(0)
	v_fma_f64 v[24:25], v[24:25], v[44:45], v[38:39]
	ds_bpermute_b32 v38, v7, v14 offset:20
	ds_bpermute_b32 v39, v7, v15 offset:20
	v_mul_f64 v[28:29], v[30:31], v[28:29]
	ds_bpermute_b32 v44, v7, v12 offset:32
	ds_bpermute_b32 v45, v7, v13 offset:32
	v_mul_f64 v[26:27], v[42:43], v[26:27]
	v_add_f64 v[20:21], v[20:21], v[72:73]
	s_waitcnt lgkmcnt(2)
	v_fma_f64 v[22:23], v[22:23], v[38:39], v[24:25]
	s_clause 0x3
	buffer_load_dword v38, off, s[36:39], 0 offset:84
	buffer_load_dword v39, off, s[36:39], 0 offset:88
	;; [unrolled: 1-line block ×4, first 2 shown]
	ds_bpermute_b32 v24, v7, v14 offset:24
	ds_bpermute_b32 v25, v7, v15 offset:24
	v_add_f64 v[20:21], v[20:21], v[86:87]
	s_waitcnt lgkmcnt(0)
	v_fma_f64 v[22:23], v[28:29], v[24:25], v[22:23]
	ds_bpermute_b32 v24, v7, v14 offset:28
	ds_bpermute_b32 v25, v7, v15 offset:28
	;; [unrolled: 1-line block ×4, first 2 shown]
	v_add_f64 v[20:21], v[20:21], v[80:81]
	s_waitcnt lgkmcnt(2)
	v_fma_f64 v[22:23], v[26:27], v[24:25], v[22:23]
	ds_bpermute_b32 v24, v7, v14 offset:32
	ds_bpermute_b32 v25, v7, v15 offset:32
	;; [unrolled: 1-line block ×4, first 2 shown]
	v_add_f64 v[20:21], v[20:21], v[94:95]
	s_waitcnt lgkmcnt(0)
	v_add_f64 v[26:27], v[74:75], -v[26:27]
	v_add_f64 v[20:21], v[20:21], v[88:89]
	v_mul_f64 v[26:27], v[62:63], v[26:27]
	v_add_f64 v[20:21], v[20:21], v[102:103]
	v_add_f64 v[20:21], v[20:21], v[96:97]
	;; [unrolled: 1-line block ×10, first 2 shown]
	s_waitcnt vmcnt(2)
	v_add_f64 v[38:39], v[38:39], -v[44:45]
	s_waitcnt vmcnt(0)
	v_add_f64 v[30:31], v[30:31], -v[32:33]
	v_mul_f64 v[32:33], v[36:37], v[38:39]
	s_clause 0x1
	buffer_load_dword v38, off, s[36:39], 0 offset:100
	buffer_load_dword v39, off, s[36:39], 0 offset:104
	v_mul_f64 v[30:31], v[52:53], v[30:31]
	v_fma_f64 v[22:23], v[32:33], v[24:25], v[22:23]
	ds_bpermute_b32 v24, v7, v14 offset:36
	ds_bpermute_b32 v25, v7, v15 offset:36
	;; [unrolled: 1-line block ×4, first 2 shown]
	s_waitcnt lgkmcnt(2)
	v_fma_f64 v[22:23], v[30:31], v[24:25], v[22:23]
	ds_bpermute_b32 v24, v7, v14 offset:40
	ds_bpermute_b32 v25, v7, v15 offset:40
	s_waitcnt lgkmcnt(2)
	v_add_f64 v[32:33], v[76:77], -v[32:33]
	ds_bpermute_b32 v30, v7, v12 offset:52
	ds_bpermute_b32 v31, v7, v13 offset:52
	s_waitcnt lgkmcnt(0)
	v_add_f64 v[30:31], v[82:83], -v[30:31]
	v_mul_f64 v[32:33], v[56:57], v[32:33]
	v_mul_f64 v[30:31], v[70:71], v[30:31]
	s_waitcnt vmcnt(0)
	v_add_f64 v[28:29], v[38:39], -v[28:29]
	v_mul_f64 v[28:29], v[50:51], v[28:29]
	v_fma_f64 v[22:23], v[28:29], v[24:25], v[22:23]
	ds_bpermute_b32 v24, v7, v14 offset:44
	ds_bpermute_b32 v25, v7, v15 offset:44
	;; [unrolled: 1-line block ×4, first 2 shown]
	s_waitcnt lgkmcnt(2)
	v_fma_f64 v[22:23], v[26:27], v[24:25], v[22:23]
	ds_bpermute_b32 v24, v7, v14 offset:48
	ds_bpermute_b32 v25, v7, v15 offset:48
	s_waitcnt lgkmcnt(2)
	v_add_f64 v[28:29], v[84:85], -v[28:29]
	ds_bpermute_b32 v26, v7, v12 offset:60
	ds_bpermute_b32 v27, v7, v13 offset:60
	s_waitcnt lgkmcnt(2)
	v_fma_f64 v[22:23], v[32:33], v[24:25], v[22:23]
	ds_bpermute_b32 v24, v7, v14 offset:52
	ds_bpermute_b32 v25, v7, v15 offset:52
	s_waitcnt lgkmcnt(2)
	v_add_f64 v[26:27], v[90:91], -v[26:27]
	v_mul_f64 v[28:29], v[64:65], v[28:29]
	ds_bpermute_b32 v32, v7, v12 offset:64
	ds_bpermute_b32 v33, v7, v13 offset:64
	s_waitcnt lgkmcnt(2)
	v_fma_f64 v[22:23], v[30:31], v[24:25], v[22:23]
	ds_bpermute_b32 v24, v7, v14 offset:56
	ds_bpermute_b32 v25, v7, v15 offset:56
	v_mul_f64 v[26:27], v[78:79], v[26:27]
	s_waitcnt lgkmcnt(2)
	v_add_f64 v[32:33], v[92:93], -v[32:33]
	ds_bpermute_b32 v30, v7, v12 offset:68
	ds_bpermute_b32 v31, v7, v13 offset:68
	s_waitcnt lgkmcnt(2)
	v_fma_f64 v[22:23], v[28:29], v[24:25], v[22:23]
	ds_bpermute_b32 v24, v7, v14 offset:60
	ds_bpermute_b32 v25, v7, v15 offset:60
	ds_bpermute_b32 v28, v7, v12 offset:72
	s_waitcnt lgkmcnt(3)
	v_add_f64 v[30:31], v[98:99], -v[30:31]
	v_mul_f64 v[32:33], v[72:73], v[32:33]
	ds_bpermute_b32 v29, v7, v13 offset:72
	s_waitcnt lgkmcnt(2)
	v_fma_f64 v[22:23], v[26:27], v[24:25], v[22:23]
	ds_bpermute_b32 v24, v7, v14 offset:64
	ds_bpermute_b32 v25, v7, v15 offset:64
	ds_bpermute_b32 v26, v7, v12 offset:76
	s_waitcnt lgkmcnt(3)
	v_add_f64 v[28:29], v[100:101], -v[28:29]
	v_mul_f64 v[30:31], v[86:87], v[30:31]
	;; [unrolled: 9-line block ×13, first 2 shown]
	ds_bpermute_b32 v29, v7, v13 offset:120
	ds_bpermute_b32 v12, v7, v12 offset:124
	;; [unrolled: 1-line block ×3, first 2 shown]
	s_waitcnt lgkmcnt(4)
	v_fma_f64 v[22:23], v[26:27], v[24:25], v[22:23]
	ds_bpermute_b32 v24, v7, v14 offset:112
	ds_bpermute_b32 v25, v7, v15 offset:112
	s_waitcnt lgkmcnt(4)
	v_add_f64 v[26:27], v[138:139], -v[28:29]
	v_mul_f64 v[28:29], v[0:1], v[30:31]
	ds_bpermute_b32 v0, v7, v14 offset:124
	s_waitcnt lgkmcnt(1)
	v_fma_f64 v[2:3], v[2:3], v[24:25], v[22:23]
	ds_bpermute_b32 v22, v7, v14 offset:116
	ds_bpermute_b32 v23, v7, v15 offset:116
	v_mul_f64 v[24:25], v[134:135], v[26:27]
	s_waitcnt lgkmcnt(0)
	v_fma_f64 v[1:2], v[28:29], v[22:23], v[2:3]
	ds_bpermute_b32 v22, v7, v14 offset:120
	ds_bpermute_b32 v23, v7, v15 offset:120
	s_waitcnt lgkmcnt(0)
	v_fma_f64 v[2:3], v[24:25], v[22:23], v[1:2]
	ds_bpermute_b32 v1, v7, v15 offset:124
.LBB28_73:                              ;   in Loop: Header=BB28_5 Depth=1
	s_and_b32 vcc_lo, exec_lo, s30
	s_cbranch_vccz .LBB28_4
; %bb.74:                               ;   in Loop: Header=BB28_5 Depth=1
	s_load_dword s30, s[22:23], 0x0
	v_mov_b32_e32 v14, 0
	v_mov_b32_e32 v12, 0
	;; [unrolled: 1-line block ×4, first 2 shown]
	s_waitcnt lgkmcnt(0)
	s_cmp_lt_u32 s6, s30
	s_cselect_b32 s30, 12, 18
	s_add_u32 s30, s22, s30
	s_addc_u32 s31, s23, 0
	global_load_ushort v0, v7, s[30:31]
	s_clause 0x2
	buffer_load_dword v1, off, s[36:39], 0 offset:492
	buffer_load_dword v2, off, s[36:39], 0 offset:496
	;; [unrolled: 1-line block ×3, first 2 shown]
	s_mov_b32 s30, exec_lo
	s_waitcnt vmcnt(0)
	v_mad_u32_u24 v0, v1, v0, v2
	v_and_b32_e32 v0, 31, v0
	v_add_co_u32 v0, vcc_lo, v10, v0
	v_add_co_ci_u32_e64 v1, null, 0, v11, vcc_lo
	v_mov_b32_e32 v10, 0
	v_mov_b32_e32 v11, 0
	v_cmpx_gt_i64_e64 s[8:9], v[0:1]
	s_cbranch_execz .LBB28_76
; %bb.75:                               ;   in Loop: Header=BB28_5 Depth=1
	v_lshlrev_b64 v[0:1], 3, v[0:1]
	v_add_co_u32 v2, vcc_lo, s16, v0
	v_add_co_ci_u32_e64 v3, null, s17, v1, vcc_lo
	v_add_co_u32 v0, vcc_lo, s18, v0
	v_add_co_ci_u32_e64 v1, null, s19, v1, vcc_lo
	global_load_dwordx2 v[10:11], v[2:3], off
	global_load_dwordx2 v[12:13], v[0:1], off
.LBB28_76:                              ;   in Loop: Header=BB28_5 Depth=1
	s_or_b32 exec_lo, exec_lo, s30
	v_mov_b32_e32 v56, 0
	v_mov_b32_e32 v57, 0
	s_and_saveexec_b32 s30, s1
	s_cbranch_execz .LBB28_78
; %bb.77:                               ;   in Loop: Header=BB28_5 Depth=1
	s_clause 0x3
	buffer_load_dword v0, off, s[36:39], 0 offset:16
	buffer_load_dword v1, off, s[36:39], 0 offset:20
	buffer_load_dword v2, off, s[36:39], 0 offset:24
	buffer_load_dword v3, off, s[36:39], 0 offset:28
	s_waitcnt vmcnt(3)
	v_add_co_u32 v0, vcc_lo, v0, v8
	s_waitcnt vmcnt(2)
	v_add_co_ci_u32_e64 v1, null, v1, v9, vcc_lo
	s_waitcnt vmcnt(1)
	v_add_co_u32 v2, vcc_lo, v2, v8
	s_waitcnt vmcnt(0)
	v_add_co_ci_u32_e64 v3, null, v3, v9, vcc_lo
	global_load_dwordx2 v[14:15], v[0:1], off
	global_load_dwordx2 v[56:57], v[2:3], off
.LBB28_78:                              ;   in Loop: Header=BB28_5 Depth=1
	s_or_b32 exec_lo, exec_lo, s30
	v_mov_b32_e32 v20, 0
	v_mov_b32_e32 v22, 0
	;; [unrolled: 1-line block ×6, first 2 shown]
	buffer_store_dword v0, off, s[36:39], 0 offset:52 ; 4-byte Folded Spill
	buffer_store_dword v1, off, s[36:39], 0 offset:56 ; 4-byte Folded Spill
	s_and_saveexec_b32 s30, s1
	s_cbranch_execz .LBB28_80
; %bb.79:                               ;   in Loop: Header=BB28_5 Depth=1
	v_add_co_u32 v0, vcc_lo, v143, v8
	v_add_co_ci_u32_e64 v1, null, v144, v9, vcc_lo
	v_add_co_u32 v2, vcc_lo, v145, v8
	v_add_co_ci_u32_e64 v3, null, v54, v9, vcc_lo
	global_load_dwordx2 v[22:23], v[0:1], off
	global_load_dwordx2 v[0:1], v[2:3], off
	s_waitcnt vmcnt(0)
	buffer_store_dword v0, off, s[36:39], 0 offset:52 ; 4-byte Folded Spill
	buffer_store_dword v1, off, s[36:39], 0 offset:56 ; 4-byte Folded Spill
.LBB28_80:                              ;   in Loop: Header=BB28_5 Depth=1
	s_or_b32 exec_lo, exec_lo, s30
	v_mov_b32_e32 v0, 0
	v_mov_b32_e32 v1, 0
	buffer_store_dword v0, off, s[36:39], 0 offset:60 ; 4-byte Folded Spill
	buffer_store_dword v1, off, s[36:39], 0 offset:64 ; 4-byte Folded Spill
	s_and_saveexec_b32 s30, s1
	s_cbranch_execz .LBB28_82
; %bb.81:                               ;   in Loop: Header=BB28_5 Depth=1
	v_add_co_u32 v0, vcc_lo, v41, v8
	v_add_co_ci_u32_e64 v1, null, v46, v9, vcc_lo
	v_add_co_u32 v2, vcc_lo, v47, v8
	v_add_co_ci_u32_e64 v3, null, v142, v9, vcc_lo
	global_load_dwordx2 v[20:21], v[0:1], off
	global_load_dwordx2 v[0:1], v[2:3], off
	s_waitcnt vmcnt(0)
	buffer_store_dword v0, off, s[36:39], 0 offset:60 ; 4-byte Folded Spill
	buffer_store_dword v1, off, s[36:39], 0 offset:64 ; 4-byte Folded Spill
.LBB28_82:                              ;   in Loop: Header=BB28_5 Depth=1
	s_or_b32 exec_lo, exec_lo, s30
	v_mov_b32_e32 v24, 0
	v_mov_b32_e32 v28, 0
	;; [unrolled: 1-line block ×6, first 2 shown]
	s_and_saveexec_b32 s30, s1
	s_cbranch_execz .LBB28_84
; %bb.83:                               ;   in Loop: Header=BB28_5 Depth=1
	v_add_co_u32 v0, vcc_lo, v255, v8
	v_add_co_ci_u32_e64 v1, null, v34, v9, vcc_lo
	v_add_co_u32 v2, vcc_lo, v35, v8
	v_add_co_ci_u32_e64 v3, null, v40, v9, vcc_lo
	global_load_dwordx2 v[28:29], v[0:1], off
	global_load_dwordx2 v[146:147], v[2:3], off
.LBB28_84:                              ;   in Loop: Header=BB28_5 Depth=1
	s_or_b32 exec_lo, exec_lo, s30
	v_mov_b32_e32 v148, 0
	v_mov_b32_e32 v149, 0
	s_and_saveexec_b32 s30, s1
	s_cbranch_execz .LBB28_86
; %bb.85:                               ;   in Loop: Header=BB28_5 Depth=1
	v_add_co_u32 v0, vcc_lo, v251, v8
	v_add_co_ci_u32_e64 v1, null, v252, v9, vcc_lo
	v_add_co_u32 v2, vcc_lo, v253, v8
	v_add_co_ci_u32_e64 v3, null, v254, v9, vcc_lo
	global_load_dwordx2 v[24:25], v[0:1], off
	global_load_dwordx2 v[148:149], v[2:3], off
.LBB28_86:                              ;   in Loop: Header=BB28_5 Depth=1
	s_or_b32 exec_lo, exec_lo, s30
	v_mov_b32_e32 v26, 0
	v_mov_b32_e32 v32, 0
	;; [unrolled: 1-line block ×6, first 2 shown]
	buffer_store_dword v0, off, s[36:39], 0 offset:68 ; 4-byte Folded Spill
	buffer_store_dword v1, off, s[36:39], 0 offset:72 ; 4-byte Folded Spill
	s_and_saveexec_b32 s30, s1
	s_cbranch_execz .LBB28_88
; %bb.87:                               ;   in Loop: Header=BB28_5 Depth=1
	v_add_co_u32 v0, vcc_lo, v247, v8
	v_add_co_ci_u32_e64 v1, null, v248, v9, vcc_lo
	v_add_co_u32 v2, vcc_lo, v249, v8
	v_add_co_ci_u32_e64 v3, null, v250, v9, vcc_lo
	global_load_dwordx2 v[32:33], v[0:1], off
	global_load_dwordx2 v[0:1], v[2:3], off
	s_waitcnt vmcnt(0)
	buffer_store_dword v0, off, s[36:39], 0 offset:68 ; 4-byte Folded Spill
	buffer_store_dword v1, off, s[36:39], 0 offset:72 ; 4-byte Folded Spill
.LBB28_88:                              ;   in Loop: Header=BB28_5 Depth=1
	s_or_b32 exec_lo, exec_lo, s30
	v_mov_b32_e32 v58, 0
	v_mov_b32_e32 v59, 0
	s_and_saveexec_b32 s30, s1
	s_cbranch_execz .LBB28_90
; %bb.89:                               ;   in Loop: Header=BB28_5 Depth=1
	v_add_co_u32 v0, vcc_lo, v243, v8
	v_add_co_ci_u32_e64 v1, null, v244, v9, vcc_lo
	v_add_co_u32 v2, vcc_lo, v245, v8
	v_add_co_ci_u32_e64 v3, null, v246, v9, vcc_lo
	global_load_dwordx2 v[26:27], v[0:1], off
	global_load_dwordx2 v[58:59], v[2:3], off
.LBB28_90:                              ;   in Loop: Header=BB28_5 Depth=1
	s_or_b32 exec_lo, exec_lo, s30
	v_mov_b32_e32 v30, 0
	v_mov_b32_e32 v38, 0
	;; [unrolled: 1-line block ×6, first 2 shown]
	s_and_saveexec_b32 s30, s1
	s_cbranch_execz .LBB28_92
; %bb.91:                               ;   in Loop: Header=BB28_5 Depth=1
	v_add_co_u32 v0, vcc_lo, v239, v8
	v_add_co_ci_u32_e64 v1, null, v240, v9, vcc_lo
	v_add_co_u32 v2, vcc_lo, v241, v8
	v_add_co_ci_u32_e64 v3, null, v242, v9, vcc_lo
	global_load_dwordx2 v[38:39], v[0:1], off
	global_load_dwordx2 v[62:63], v[2:3], off
.LBB28_92:                              ;   in Loop: Header=BB28_5 Depth=1
	s_or_b32 exec_lo, exec_lo, s30
	v_mov_b32_e32 v66, 0
	v_mov_b32_e32 v67, 0
	s_and_saveexec_b32 s30, s1
	s_cbranch_execz .LBB28_94
; %bb.93:                               ;   in Loop: Header=BB28_5 Depth=1
	v_add_co_u32 v0, vcc_lo, v235, v8
	v_add_co_ci_u32_e64 v1, null, v236, v9, vcc_lo
	v_add_co_u32 v2, vcc_lo, v237, v8
	v_add_co_ci_u32_e64 v3, null, v238, v9, vcc_lo
	global_load_dwordx2 v[30:31], v[0:1], off
	global_load_dwordx2 v[66:67], v[2:3], off
.LBB28_94:                              ;   in Loop: Header=BB28_5 Depth=1
	s_or_b32 exec_lo, exec_lo, s30
	v_mov_b32_e32 v36, 0
	v_mov_b32_e32 v44, 0
	;; [unrolled: 1-line block ×6, first 2 shown]
	s_and_saveexec_b32 s30, s1
	s_cbranch_execz .LBB28_96
; %bb.95:                               ;   in Loop: Header=BB28_5 Depth=1
	v_add_co_u32 v0, vcc_lo, v231, v8
	v_add_co_ci_u32_e64 v1, null, v232, v9, vcc_lo
	v_add_co_u32 v2, vcc_lo, v233, v8
	v_add_co_ci_u32_e64 v3, null, v234, v9, vcc_lo
	global_load_dwordx2 v[44:45], v[0:1], off
	global_load_dwordx2 v[70:71], v[2:3], off
.LBB28_96:                              ;   in Loop: Header=BB28_5 Depth=1
	s_or_b32 exec_lo, exec_lo, s30
	v_mov_b32_e32 v74, 0
	v_mov_b32_e32 v75, 0
	s_and_saveexec_b32 s30, s1
	s_cbranch_execz .LBB28_98
; %bb.97:                               ;   in Loop: Header=BB28_5 Depth=1
	v_add_co_u32 v0, vcc_lo, v227, v8
	v_add_co_ci_u32_e64 v1, null, v228, v9, vcc_lo
	v_add_co_u32 v2, vcc_lo, v229, v8
	v_add_co_ci_u32_e64 v3, null, v230, v9, vcc_lo
	global_load_dwordx2 v[36:37], v[0:1], off
	global_load_dwordx2 v[74:75], v[2:3], off
.LBB28_98:                              ;   in Loop: Header=BB28_5 Depth=1
	s_or_b32 exec_lo, exec_lo, s30
	v_mov_b32_e32 v42, 0
	v_mov_b32_e32 v52, 0
	v_mov_b32_e32 v78, 0
	v_mov_b32_e32 v43, 0
	v_mov_b32_e32 v53, 0
	v_mov_b32_e32 v79, 0
	s_and_saveexec_b32 s30, s1
	s_cbranch_execz .LBB28_100
; %bb.99:                               ;   in Loop: Header=BB28_5 Depth=1
	v_add_co_u32 v0, vcc_lo, v223, v8
	v_add_co_ci_u32_e64 v1, null, v224, v9, vcc_lo
	v_add_co_u32 v2, vcc_lo, v225, v8
	v_add_co_ci_u32_e64 v3, null, v226, v9, vcc_lo
	global_load_dwordx2 v[52:53], v[0:1], off
	global_load_dwordx2 v[78:79], v[2:3], off
.LBB28_100:                             ;   in Loop: Header=BB28_5 Depth=1
	s_or_b32 exec_lo, exec_lo, s30
	v_mov_b32_e32 v82, 0
	v_mov_b32_e32 v83, 0
	s_and_saveexec_b32 s30, s1
	s_cbranch_execz .LBB28_102
; %bb.101:                              ;   in Loop: Header=BB28_5 Depth=1
	v_add_co_u32 v0, vcc_lo, v219, v8
	v_add_co_ci_u32_e64 v1, null, v220, v9, vcc_lo
	v_add_co_u32 v2, vcc_lo, v221, v8
	v_add_co_ci_u32_e64 v3, null, v222, v9, vcc_lo
	global_load_dwordx2 v[42:43], v[0:1], off
	global_load_dwordx2 v[82:83], v[2:3], off
.LBB28_102:                             ;   in Loop: Header=BB28_5 Depth=1
	s_or_b32 exec_lo, exec_lo, s30
	v_mov_b32_e32 v48, 0
	v_mov_b32_e32 v64, 0
	v_mov_b32_e32 v86, 0
	v_mov_b32_e32 v49, 0
	v_mov_b32_e32 v65, 0
	v_mov_b32_e32 v87, 0
	s_and_saveexec_b32 s30, s1
	s_cbranch_execz .LBB28_104
; %bb.103:                              ;   in Loop: Header=BB28_5 Depth=1
	v_add_co_u32 v0, vcc_lo, v215, v8
	v_add_co_ci_u32_e64 v1, null, v216, v9, vcc_lo
	v_add_co_u32 v2, vcc_lo, v217, v8
	v_add_co_ci_u32_e64 v3, null, v218, v9, vcc_lo
	global_load_dwordx2 v[64:65], v[0:1], off
	global_load_dwordx2 v[86:87], v[2:3], off
.LBB28_104:                             ;   in Loop: Header=BB28_5 Depth=1
	s_or_b32 exec_lo, exec_lo, s30
	v_mov_b32_e32 v90, 0
	v_mov_b32_e32 v91, 0
	s_and_saveexec_b32 s30, s1
	s_cbranch_execz .LBB28_106
; %bb.105:                              ;   in Loop: Header=BB28_5 Depth=1
	v_add_co_u32 v0, vcc_lo, v211, v8
	v_add_co_ci_u32_e64 v1, null, v212, v9, vcc_lo
	v_add_co_u32 v2, vcc_lo, v213, v8
	v_add_co_ci_u32_e64 v3, null, v214, v9, vcc_lo
	global_load_dwordx2 v[48:49], v[0:1], off
	global_load_dwordx2 v[90:91], v[2:3], off
.LBB28_106:                             ;   in Loop: Header=BB28_5 Depth=1
	s_or_b32 exec_lo, exec_lo, s30
	v_mov_b32_e32 v60, 0
	v_mov_b32_e32 v72, 0
	v_mov_b32_e32 v94, 0
	v_mov_b32_e32 v61, 0
	v_mov_b32_e32 v73, 0
	v_mov_b32_e32 v95, 0
	s_and_saveexec_b32 s30, s1
	s_cbranch_execz .LBB28_108
; %bb.107:                              ;   in Loop: Header=BB28_5 Depth=1
	v_add_co_u32 v0, vcc_lo, v207, v8
	v_add_co_ci_u32_e64 v1, null, v208, v9, vcc_lo
	v_add_co_u32 v2, vcc_lo, v209, v8
	v_add_co_ci_u32_e64 v3, null, v210, v9, vcc_lo
	global_load_dwordx2 v[72:73], v[0:1], off
	global_load_dwordx2 v[94:95], v[2:3], off
.LBB28_108:                             ;   in Loop: Header=BB28_5 Depth=1
	;; [unrolled: 30-line block ×9, first 2 shown]
	s_or_b32 exec_lo, exec_lo, s30
	v_mov_b32_e32 v136, 0
	v_mov_b32_e32 v137, 0
	s_and_saveexec_b32 s30, s1
	s_cbranch_execz .LBB28_138
; %bb.137:                              ;   in Loop: Header=BB28_5 Depth=1
	v_add_co_u32 v16, vcc_lo, v150, v8
	v_add_co_ci_u32_e64 v17, null, v151, v9, vcc_lo
	v_add_co_u32 v18, vcc_lo, v152, v8
	v_add_co_ci_u32_e64 v19, null, v153, v9, vcc_lo
	global_load_dwordx2 v[124:125], v[16:17], off
	global_load_dwordx2 v[136:137], v[18:19], off
.LBB28_138:                             ;   in Loop: Header=BB28_5 Depth=1
	s_or_b32 exec_lo, exec_lo, s30
	v_mov_b32_e32 v16, 0
	v_mov_b32_e32 v18, 0
	;; [unrolled: 1-line block ×4, first 2 shown]
	s_and_saveexec_b32 s30, s1
	s_cbranch_execz .LBB28_3
; %bb.139:                              ;   in Loop: Header=BB28_5 Depth=1
	s_clause 0x3
	buffer_load_dword v16, off, s[36:39], 0 offset:32
	buffer_load_dword v17, off, s[36:39], 0 offset:36
	;; [unrolled: 1-line block ×4, first 2 shown]
	s_waitcnt vmcnt(3)
	v_add_co_u32 v16, vcc_lo, v16, v8
	s_waitcnt vmcnt(2)
	v_add_co_ci_u32_e64 v17, null, v17, v9, vcc_lo
	s_waitcnt vmcnt(1)
	v_add_co_u32 v18, vcc_lo, v18, v8
	s_waitcnt vmcnt(0)
	v_add_co_ci_u32_e64 v19, null, v19, v9, vcc_lo
	global_load_dwordx2 v[16:17], v[16:17], off
	global_load_dwordx2 v[18:19], v[18:19], off
	s_branch .LBB28_3
.LBB28_140:
                                        ; implicit-def: $vgpr0_vgpr1
                                        ; kill: killed $vgpr0_vgpr1
                                        ; implicit-def: $vgpr0_vgpr1
                                        ; kill: killed $vgpr0_vgpr1
	s_branch .LBB28_142
.LBB28_141:
	s_cbranch_execnz .LBB28_217
.LBB28_142:
	v_mov_b32_e32 v0, 0
	v_mov_b32_e32 v1, 0
	s_andn2_b32 vcc_lo, exec_lo, s28
	buffer_store_dword v0, off, s[36:39], 0 ; 4-byte Folded Spill
	buffer_store_dword v1, off, s[36:39], 0 offset:4 ; 4-byte Folded Spill
	v_mov_b32_e32 v0, 0
	v_mov_b32_e32 v1, 0
	buffer_store_dword v0, off, s[36:39], 0 offset:8 ; 4-byte Folded Spill
	buffer_store_dword v1, off, s[36:39], 0 offset:12 ; 4-byte Folded Spill
	s_cbranch_vccnz .LBB28_217
; %bb.143:
	s_clause 0x1
	buffer_load_dword v0, off, s[36:39], 0 offset:492
	buffer_load_dword v1, off, s[36:39], 0 offset:496
	s_add_u32 s2, s4, 64
	s_addc_u32 s3, s5, 0
	s_lshl_b64 s[22:23], s[20:21], 3
	s_waitcnt vmcnt(1)
	v_lshlrev_b32_e32 v191, 5, v0
	v_lshlrev_b32_e32 v0, 8, v0
	v_add_co_u32 v4, s1, v191, s20
	v_add_co_ci_u32_e64 v133, null, 0, 0, s1
	v_add_co_u32 v0, s1, v0, s22
	s_waitcnt vmcnt(0)
	v_add_co_ci_u32_e64 v1, null, 0, s23, s1
	v_mul_lo_u32 v5, s11, v4
	v_add_co_u32 v25, vcc_lo, v0, 8
	v_mul_lo_u32 v6, s10, v133
	v_add_co_ci_u32_e64 v9, null, 0, v1, vcc_lo
	v_mad_u64_u32 v[2:3], null, s10, v4, 0
	v_add_co_u32 v27, vcc_lo, v0, 16
	v_add_co_ci_u32_e64 v11, null, 0, v1, vcc_lo
	v_add_co_u32 v31, vcc_lo, v0, 24
	v_add_co_ci_u32_e64 v13, null, 0, v1, vcc_lo
	;; [unrolled: 2-line block ×4, first 2 shown]
	v_add3_u32 v3, v3, v6, v5
	v_add_co_u32 v5, vcc_lo, v0, 48
	v_add_co_ci_u32_e64 v6, null, 0, v1, vcc_lo
	v_add_co_u32 v43, vcc_lo, v0, 56
	v_add_co_ci_u32_e64 v21, null, 0, v1, vcc_lo
	;; [unrolled: 2-line block ×4, first 2 shown]
	v_mad_u64_u32 v[7:8], null, s10, v25, s[12:13]
	v_mul_lo_u32 v29, s10, v9
	v_mul_lo_u32 v30, s11, v25
	v_mad_u64_u32 v[9:10], null, s10, v27, s[12:13]
	v_mul_lo_u32 v32, s10, v11
	v_mul_lo_u32 v33, s11, v27
	;; [unrolled: 1-line block ×3, first 2 shown]
	v_mad_u64_u32 v[25:26], null, s10, v25, s[14:15]
	v_mad_u64_u32 v[27:28], null, s10, v27, s[14:15]
	;; [unrolled: 1-line block ×3, first 2 shown]
	v_mul_lo_u32 v37, s10, v13
	v_mul_lo_u32 v38, s11, v31
	v_mad_u64_u32 v[13:14], null, s10, v34, s[12:13]
	v_mul_lo_u32 v39, s10, v15
	v_mul_lo_u32 v40, s11, v34
	v_add3_u32 v8, v30, v8, v29
	v_add3_u32 v10, v33, v10, v32
	;; [unrolled: 1-line block ×4, first 2 shown]
	v_mad_u64_u32 v[29:30], null, s10, v31, s[14:15]
	v_mad_u64_u32 v[31:32], null, s10, v34, s[14:15]
	;; [unrolled: 1-line block ×3, first 2 shown]
	v_mul_lo_u32 v41, s10, v17
	v_mul_lo_u32 v42, s11, v35
	v_mad_u64_u32 v[33:34], null, s10, v35, s[14:15]
	v_add3_u32 v12, v38, v12, v37
	v_add3_u32 v14, v40, v14, v39
	v_mad_u64_u32 v[17:18], null, s10, v5, s[12:13]
	v_mul_lo_u32 v6, s10, v6
	v_mul_lo_u32 v44, s11, v5
	v_mad_u64_u32 v[19:20], null, s10, v43, s[12:13]
	v_mul_lo_u32 v45, s10, v21
	v_mul_lo_u32 v47, s11, v43
	v_add3_u32 v30, v38, v30, v37
	v_add3_u32 v32, v40, v32, v39
	v_mad_u64_u32 v[37:38], null, s10, v5, s[14:15]
	v_mad_u64_u32 v[39:40], null, s10, v43, s[14:15]
	v_add_co_u32 v53, vcc_lo, 0x50, v0
	v_add_co_ci_u32_e64 v54, null, 0, v1, vcc_lo
	v_add3_u32 v16, v42, v16, v41
	v_mad_u64_u32 v[21:22], null, s10, v46, s[12:13]
	v_mul_lo_u32 v49, s10, v23
	v_mul_lo_u32 v50, s11, v46
	v_add3_u32 v34, v42, v34, v41
	v_mad_u64_u32 v[41:42], null, s10, v46, s[14:15]
	v_add_co_u32 v5, vcc_lo, 0x58, v0
	v_add_co_ci_u32_e64 v56, null, 0, v1, vcc_lo
	v_mad_u64_u32 v[23:24], null, s10, v48, s[12:13]
	v_mul_lo_u32 v52, s11, v48
	v_add3_u32 v18, v44, v18, v6
	v_add3_u32 v20, v47, v20, v45
	v_mad_u64_u32 v[35:36], null, s10, v53, s[12:13]
	v_mul_lo_u32 v54, s10, v54
	v_mul_lo_u32 v55, s11, v53
	v_add3_u32 v38, v44, v38, v6
	v_mad_u64_u32 v[43:44], null, s10, v48, s[14:15]
	v_add3_u32 v40, v47, v40, v45
	v_mad_u64_u32 v[47:48], null, s10, v53, s[14:15]
	;; [unrolled: 2-line block ×3, first 2 shown]
	v_mul_lo_u32 v6, s10, v56
	v_mul_lo_u32 v56, s11, v5
	v_add3_u32 v42, v50, v42, v49
	v_mad_u64_u32 v[49:50], null, s10, v5, s[14:15]
	v_add_co_u32 v5, vcc_lo, 0x60, v0
	v_add_co_ci_u32_e64 v53, null, 0, v1, vcc_lo
	v_add_co_u32 v57, vcc_lo, 0x68, v0
	v_add3_u32 v36, v55, v36, v54
	v_add3_u32 v48, v55, v48, v54
	v_add_co_ci_u32_e64 v55, null, 0, v1, vcc_lo
	v_add_co_u32 v61, vcc_lo, 0x70, v0
	v_add3_u32 v24, v52, v24, v51
	v_add3_u32 v44, v52, v44, v51
	;; [unrolled: 1-line block ×3, first 2 shown]
	v_mad_u64_u32 v[51:52], null, s10, v5, s[12:13]
	v_mul_lo_u32 v59, s10, v53
	v_add3_u32 v50, v56, v50, v6
	v_mul_lo_u32 v6, s11, v5
	v_mad_u64_u32 v[53:54], null, s10, v5, s[14:15]
	v_mul_lo_u32 v5, s10, v55
	v_mul_lo_u32 v60, s11, v57
	v_mad_u64_u32 v[55:56], null, s10, v57, s[12:13]
	v_mad_u64_u32 v[57:58], null, s10, v57, s[14:15]
	v_add_co_ci_u32_e64 v62, null, 0, v1, vcc_lo
	v_add_co_u32 v65, vcc_lo, 0x78, v0
	v_add_co_ci_u32_e64 v63, null, 0, v1, vcc_lo
	v_add_co_u32 v69, vcc_lo, 0x80, v0
	v_add3_u32 v52, v6, v52, v59
	v_add3_u32 v54, v6, v54, v59
	v_add3_u32 v56, v60, v56, v5
	v_add3_u32 v58, v60, v58, v5
	v_mul_lo_u32 v5, s10, v62
	v_mul_lo_u32 v6, s11, v61
	v_mad_u64_u32 v[59:60], null, s10, v61, s[12:13]
	v_mad_u64_u32 v[61:62], null, s10, v61, s[14:15]
	v_mul_lo_u32 v67, s10, v63
	v_mul_lo_u32 v68, s11, v65
	v_mad_u64_u32 v[63:64], null, s10, v65, s[12:13]
	v_mad_u64_u32 v[65:66], null, s10, v65, s[14:15]
	v_add_co_ci_u32_e64 v70, null, 0, v1, vcc_lo
	v_add_co_u32 v73, vcc_lo, 0x88, v0
	v_add_co_ci_u32_e64 v71, null, 0, v1, vcc_lo
	v_add_co_u32 v77, vcc_lo, 0x90, v0
	v_add3_u32 v60, v6, v60, v5
	v_add3_u32 v62, v6, v62, v5
	v_add3_u32 v64, v68, v64, v67
	v_add3_u32 v66, v68, v66, v67
	v_mul_lo_u32 v5, s10, v70
	v_mul_lo_u32 v6, s11, v69
	v_mad_u64_u32 v[67:68], null, s10, v69, s[12:13]
	;; [unrolled: 16-line block ×6, first 2 shown]
	v_mad_u64_u32 v[101:102], null, s10, v101, s[14:15]
	v_mul_lo_u32 v107, s10, v103
	v_mul_lo_u32 v108, s11, v105
	v_mad_u64_u32 v[103:104], null, s10, v105, s[12:13]
	v_mad_u64_u32 v[105:106], null, s10, v105, s[14:15]
	v_add_co_ci_u32_e64 v110, null, 0, v1, vcc_lo
	v_add_co_u32 v113, vcc_lo, 0xd8, v0
	v_add_co_ci_u32_e64 v111, null, 0, v1, vcc_lo
	v_add3_u32 v100, v6, v100, v5
	v_add3_u32 v102, v6, v102, v5
	;; [unrolled: 1-line block ×4, first 2 shown]
	v_mul_lo_u32 v5, s10, v110
	v_mul_lo_u32 v6, s11, v109
	v_mad_u64_u32 v[107:108], null, s10, v109, s[12:13]
	v_mad_u64_u32 v[109:110], null, s10, v109, s[14:15]
	v_mul_lo_u32 v115, s10, v111
	v_mul_lo_u32 v116, s11, v113
	v_mad_u64_u32 v[111:112], null, s10, v113, s[12:13]
	v_mad_u64_u32 v[113:114], null, s10, v113, s[14:15]
	v_add_co_u32 v117, vcc_lo, 0xe0, v0
	v_add_co_ci_u32_e64 v118, null, 0, v1, vcc_lo
	v_add3_u32 v108, v6, v108, v5
	v_add3_u32 v110, v6, v110, v5
	;; [unrolled: 1-line block ×4, first 2 shown]
	v_mul_lo_u32 v5, s10, v118
	v_mul_lo_u32 v6, s11, v117
	v_mad_u64_u32 v[115:116], null, s10, v117, s[12:13]
	v_mad_u64_u32 v[117:118], null, s10, v117, s[14:15]
	s_load_dword s1, s[4:5], 0x44
	s_mov_b64 s[22:23], s[20:21]
	v_add3_u32 v116, v6, v116, v5
	v_add3_u32 v118, v6, v118, v5
	v_add_co_u32 v5, vcc_lo, 0xe8, v0
	v_add_co_ci_u32_e64 v6, null, 0, v1, vcc_lo
	v_mul_lo_u32 v123, s11, v5
	v_mad_u64_u32 v[119:120], null, s10, v5, s[12:13]
	v_mul_lo_u32 v6, s10, v6
	v_mad_u64_u32 v[121:122], null, s10, v5, s[14:15]
	v_add_co_u32 v5, vcc_lo, 0xf0, v0
	s_waitcnt lgkmcnt(0)
	s_lshl_b32 s1, s1, 5
	v_add3_u32 v120, v123, v120, v6
	v_add3_u32 v122, v123, v122, v6
	v_add_co_ci_u32_e64 v6, null, 0, v1, vcc_lo
	v_mul_lo_u32 v127, s11, v5
	v_mad_u64_u32 v[123:124], null, s10, v5, s[12:13]
	v_mul_lo_u32 v6, s10, v6
	v_mad_u64_u32 v[125:126], null, s10, v5, s[14:15]
	v_add_co_u32 v0, vcc_lo, 0xf8, v0
	v_add_co_ci_u32_e64 v1, null, 0, v1, vcc_lo
	v_add3_u32 v124, v127, v124, v6
	v_add3_u32 v126, v127, v126, v6
	v_mul_lo_u32 v1, s10, v1
	v_mul_lo_u32 v5, s11, v0
	v_mad_u64_u32 v[127:128], null, s10, v0, s[12:13]
	v_mad_u64_u32 v[129:130], null, s10, v0, s[14:15]
	v_add_co_u32 v0, vcc_lo, v4, 31
	v_add3_u32 v128, v5, v128, v1
	v_mul_lo_u32 v6, s11, v0
	v_add3_u32 v130, v5, v130, v1
	v_add_co_ci_u32_e64 v1, null, 0, v133, vcc_lo
	v_mul_lo_u32 v5, s10, v1
	v_mad_u64_u32 v[0:1], null, s10, v0, 0
	v_add3_u32 v1, v1, v5, v6
	v_add_co_u32 v5, vcc_lo, v4, 30
	v_add_co_ci_u32_e64 v6, null, 0, v133, vcc_lo
	v_lshlrev_b64 v[0:1], 3, v[0:1]
	v_mul_lo_u32 v132, s11, v5
	v_mul_lo_u32 v131, s10, v6
	v_mad_u64_u32 v[5:6], null, s10, v5, 0
	v_add3_u32 v6, v6, v131, v132
	v_add_co_u32 v131, vcc_lo, v4, 29
	v_add_co_ci_u32_e64 v132, null, 0, v133, vcc_lo
	v_mul_lo_u32 v135, s11, v131
	v_mul_lo_u32 v134, s10, v132
	v_mad_u64_u32 v[131:132], null, s10, v131, 0
	v_add3_u32 v132, v132, v134, v135
	v_add_co_u32 v134, vcc_lo, v4, 28
	v_add_co_ci_u32_e64 v135, null, 0, v133, vcc_lo
	;; [unrolled: 6-line block ×20, first 2 shown]
	v_mul_lo_u32 v172, s11, v170
	v_mad_u64_u32 v[173:174], null, s10, v170, 0
	v_mul_lo_u32 v171, s10, v171
	v_add_co_u32 v170, vcc_lo, v4, 9
	v_mad_u64_u32 v[176:177], null, s10, v170, 0
	v_add3_u32 v174, v174, v171, v172
	v_add_co_ci_u32_e64 v171, null, 0, v133, vcc_lo
	v_mul_lo_u32 v172, s11, v170
	v_add_co_u32 v170, vcc_lo, v4, 8
	v_mul_lo_u32 v171, s10, v171
	v_mad_u64_u32 v[178:179], null, s10, v170, 0
	v_add3_u32 v177, v177, v171, v172
	v_add_co_ci_u32_e64 v171, null, 0, v133, vcc_lo
	v_mul_lo_u32 v172, s11, v170
	v_add_co_u32 v170, vcc_lo, v4, 7
	v_mul_lo_u32 v171, s10, v171
	;; [unrolled: 6-line block ×6, first 2 shown]
	v_mad_u64_u32 v[189:190], null, s10, v170, 0
	v_add3_u32 v187, v187, v171, v172
	v_add_co_ci_u32_e64 v171, null, 0, v133, vcc_lo
	v_add_co_u32 v4, vcc_lo, v4, 2
	v_add_co_ci_u32_e64 v133, null, 0, v133, vcc_lo
	v_add_co_u32 v197, vcc_lo, v2, s10
	v_mul_lo_u32 v171, s10, v171
	v_mul_lo_u32 v172, s11, v170
	v_add_co_ci_u32_e64 v198, null, s11, v3, vcc_lo
	v_lshlrev_b64 v[2:3], 3, v[2:3]
	v_mul_lo_u32 v170, s11, v4
	v_mad_u64_u32 v[193:194], null, s10, v4, 0
	v_mul_lo_u32 v133, s10, v133
	v_add3_u32 v190, v190, v171, v172
	v_add_co_u32 v4, vcc_lo, s12, v2
	v_add_co_ci_u32_e64 v171, null, s13, v3, vcc_lo
	v_add_co_u32 v172, vcc_lo, s14, v2
	v_add_co_ci_u32_e64 v175, null, s15, v3, vcc_lo
	v_add_co_u32 v2, vcc_lo, s12, v0
	v_add3_u32 v194, v194, v133, v170
	buffer_store_dword v2, off, s[36:39], 0 offset:16 ; 4-byte Folded Spill
	v_add_co_ci_u32_e64 v2, null, s13, v1, vcc_lo
	v_add_co_u32 v0, vcc_lo, s14, v0
	buffer_store_dword v2, off, s[36:39], 0 offset:20 ; 4-byte Folded Spill
	buffer_store_dword v0, off, s[36:39], 0 offset:24 ; 4-byte Folded Spill
	v_add_co_ci_u32_e64 v0, null, s15, v1, vcc_lo
	buffer_store_dword v0, off, s[36:39], 0 offset:28 ; 4-byte Folded Spill
	v_lshlrev_b64 v[0:1], 3, v[5:6]
	v_add_co_u32 v2, vcc_lo, s12, v0
	buffer_store_dword v2, off, s[36:39], 0 offset:32 ; 4-byte Folded Spill
	v_add_co_ci_u32_e64 v2, null, s13, v1, vcc_lo
	v_add_co_u32 v0, vcc_lo, s14, v0
	buffer_store_dword v2, off, s[36:39], 0 offset:36 ; 4-byte Folded Spill
	buffer_store_dword v0, off, s[36:39], 0 offset:40 ; 4-byte Folded Spill
	v_add_co_ci_u32_e64 v0, null, s15, v1, vcc_lo
	buffer_store_dword v0, off, s[36:39], 0 offset:44 ; 4-byte Folded Spill
	v_lshlrev_b64 v[0:1], 3, v[131:132]
	v_mov_b32_e32 v132, 0
	v_add_co_u32 v2, vcc_lo, s12, v0
	buffer_store_dword v2, off, s[36:39], 0 offset:52 ; 4-byte Folded Spill
	v_add_co_ci_u32_e64 v2, null, s13, v1, vcc_lo
	v_add_co_u32 v0, vcc_lo, s14, v0
	buffer_store_dword v2, off, s[36:39], 0 offset:60 ; 4-byte Folded Spill
	buffer_store_dword v0, off, s[36:39], 0 offset:68 ; 4-byte Folded Spill
	v_add_co_ci_u32_e64 v0, null, s15, v1, vcc_lo
	buffer_store_dword v0, off, s[36:39], 0 offset:76 ; 4-byte Folded Spill
	v_lshlrev_b64 v[0:1], 3, v[134:135]
	v_add_co_u32 v2, vcc_lo, s12, v0
	buffer_store_dword v2, off, s[36:39], 0 offset:84 ; 4-byte Folded Spill
	v_add_co_ci_u32_e64 v2, null, s13, v1, vcc_lo
	v_add_co_u32 v0, vcc_lo, s14, v0
	buffer_store_dword v2, off, s[36:39], 0 offset:92 ; 4-byte Folded Spill
	buffer_store_dword v0, off, s[36:39], 0 offset:100 ; 4-byte Folded Spill
	v_add_co_ci_u32_e64 v0, null, s15, v1, vcc_lo
	buffer_store_dword v0, off, s[36:39], 0 offset:108 ; 4-byte Folded Spill
	v_lshlrev_b64 v[0:1], 3, v[136:137]
	;; [unrolled: 9-line block ×25, first 2 shown]
	v_mov_b32_e32 v187, v132
	v_add_co_u32 v2, vcc_lo, s12, v0
	buffer_store_dword v2, off, s[36:39], 0 offset:484 ; 4-byte Folded Spill
	v_add_co_ci_u32_e64 v2, null, s13, v1, vcc_lo
	v_add_co_u32 v188, vcc_lo, s14, v0
	v_add_co_ci_u32_e64 v0, null, s15, v1, vcc_lo
	buffer_store_dword v2, off, s[36:39], 0 offset:480 ; 4-byte Folded Spill
	buffer_store_dword v0, off, s[36:39], 0 offset:488 ; 4-byte Folded Spill
	v_lshlrev_b64 v[0:1], 3, v[189:190]
	v_add_co_u32 v215, vcc_lo, s12, v0
	v_add_co_ci_u32_e64 v216, null, s13, v1, vcc_lo
	v_add_co_u32 v176, vcc_lo, s14, v0
	v_add_co_ci_u32_e64 v255, null, s15, v1, vcc_lo
	v_lshlrev_b64 v[0:1], 3, v[193:194]
	v_add_co_u32 v179, vcc_lo, s12, v0
	v_add_co_ci_u32_e64 v180, null, s13, v1, vcc_lo
	v_add_co_u32 v183, vcc_lo, s14, v0
	v_add_co_ci_u32_e64 v219, null, s15, v1, vcc_lo
	v_lshlrev_b64 v[0:1], 3, v[197:198]
	v_add_co_u32 v220, vcc_lo, s12, v0
	v_add_co_ci_u32_e64 v223, null, s13, v1, vcc_lo
	v_add_co_u32 v224, vcc_lo, s14, v0
	buffer_load_dword v0, off, s[36:39], 0 offset:48 ; 4-byte Folded Reload
	v_add_co_ci_u32_e64 v184, null, s15, v1, vcc_lo
	s_mul_i32 s12, s11, s1
	s_mul_hi_u32 s13, s10, s1
	s_mov_b64 s[14:15], 31
	s_add_i32 s13, s13, s12
	s_mul_i32 s12, s10, s1
	s_lshl_b64 s[12:13], s[12:13], 3
	s_waitcnt vmcnt(0)
	v_add_nc_u32_e32 v131, s7, v0
	v_mov_b32_e32 v0, 0
	v_mov_b32_e32 v1, 0
	buffer_store_dword v0, off, s[36:39], 0 offset:8 ; 4-byte Folded Spill
	buffer_store_dword v1, off, s[36:39], 0 offset:12 ; 4-byte Folded Spill
	v_lshlrev_b64 v[133:134], 3, v[131:132]
	v_mov_b32_e32 v0, 0
	v_mov_b32_e32 v131, v191
	;; [unrolled: 1-line block ×3, first 2 shown]
	buffer_store_dword v0, off, s[36:39], 0 ; 4-byte Folded Spill
	buffer_store_dword v1, off, s[36:39], 0 offset:4 ; 4-byte Folded Spill
	s_branch .LBB28_146
.LBB28_144:                             ;   in Loop: Header=BB28_146 Depth=1
	s_or_b32 exec_lo, exec_lo, s7
	v_add_co_u32 v0, vcc_lo, v172, v133
	v_add_co_ci_u32_e64 v1, null, v175, v134, vcc_lo
	s_waitcnt vmcnt(1)
	ds_bpermute_b32 v2, v132, v135
	ds_bpermute_b32 v3, v132, v136
	s_waitcnt vmcnt(0)
	ds_bpermute_b32 v141, v132, v137 offset:4
	global_load_dwordx2 v[0:1], v[0:1], off
	ds_bpermute_b32 v142, v132, v138 offset:4
	ds_bpermute_b32 v143, v132, v137 offset:8
	;; [unrolled: 1-line block ×59, first 2 shown]
	s_waitcnt vmcnt(0) lgkmcnt(60)
	v_add_f64 v[0:1], v[0:1], -v[2:3]
	v_add_co_u32 v2, vcc_lo, v4, v133
	v_add_co_ci_u32_e64 v3, null, v171, v134, vcc_lo
	global_load_dwordx2 v[139:140], v[2:3], off
	s_clause 0x1
	buffer_load_dword v5, off, s[36:39], 0 offset:8
	buffer_load_dword v6, off, s[36:39], 0 offset:12
	ds_bpermute_b32 v2, v132, v137
	ds_bpermute_b32 v3, v132, v138
	s_waitcnt vmcnt(2)
	v_mul_f64 v[0:1], v[139:140], v[0:1]
	s_waitcnt vmcnt(0) lgkmcnt(0)
	v_fma_f64 v[0:1], v[0:1], v[2:3], v[5:6]
	v_add_co_u32 v2, vcc_lo, v25, v133
	v_add_co_ci_u32_e64 v3, null, v26, v134, vcc_lo
	ds_bpermute_b32 v5, v132, v135 offset:4
	ds_bpermute_b32 v6, v132, v136 offset:4
	global_load_dwordx2 v[2:3], v[2:3], off
	s_waitcnt vmcnt(0) lgkmcnt(0)
	v_add_f64 v[2:3], v[2:3], -v[5:6]
	v_add_co_u32 v5, vcc_lo, v7, v133
	v_add_co_ci_u32_e64 v6, null, v8, v134, vcc_lo
	global_load_dwordx2 v[5:6], v[5:6], off
	s_waitcnt vmcnt(0)
	v_mul_f64 v[2:3], v[5:6], v[2:3]
	v_fma_f64 v[0:1], v[2:3], v[141:142], v[0:1]
	v_add_co_u32 v2, vcc_lo, v27, v133
	v_add_co_ci_u32_e64 v3, null, v28, v134, vcc_lo
	ds_bpermute_b32 v141, v132, v135 offset:8
	ds_bpermute_b32 v142, v132, v136 offset:8
	global_load_dwordx2 v[2:3], v[2:3], off
	s_waitcnt vmcnt(0) lgkmcnt(0)
	v_add_f64 v[2:3], v[2:3], -v[141:142]
	v_add_co_u32 v141, vcc_lo, v9, v133
	v_add_co_ci_u32_e64 v142, null, v10, v134, vcc_lo
	global_load_dwordx2 v[141:142], v[141:142], off
	s_waitcnt vmcnt(0)
	v_mul_f64 v[2:3], v[141:142], v[2:3]
	;; [unrolled: 13-line block ×30, first 2 shown]
	v_fma_f64 v[159:160], v[161:162], v[227:228], v[159:160]
	s_clause 0x1
	buffer_load_dword v161, off, s[36:39], 0
	buffer_load_dword v162, off, s[36:39], 0 offset:4
	s_waitcnt vmcnt(0)
	v_add_f64 v[139:140], v[161:162], v[139:140]
	v_add_f64 v[5:6], v[139:140], v[5:6]
	ds_bpermute_b32 v139, v132, v137 offset:124
	ds_bpermute_b32 v140, v132, v138 offset:124
	;; [unrolled: 1-line block ×4, first 2 shown]
	v_add_f64 v[5:6], v[5:6], v[141:142]
	v_add_f64 v[5:6], v[5:6], v[143:144]
	;; [unrolled: 1-line block ×29, first 2 shown]
	v_add_co_u32 v0, vcc_lo, v127, v133
	v_add_co_ci_u32_e64 v1, null, v128, v134, vcc_lo
	v_add_co_u32 v5, vcc_lo, v129, v133
	v_add_co_ci_u32_e64 v6, null, v130, v134, vcc_lo
	global_load_dwordx2 v[253:254], v[0:1], off
	global_load_dwordx2 v[0:1], v[5:6], off
.LBB28_145:                             ;   in Loop: Header=BB28_146 Depth=1
	s_waitcnt vmcnt(0) lgkmcnt(0)
	v_add_f64 v[0:1], v[0:1], -v[137:138]
	v_add_co_u32 v4, vcc_lo, v4, s12
	v_add_co_ci_u32_e64 v171, null, s13, v171, vcc_lo
	v_add_co_u32 v172, vcc_lo, v172, s12
	v_add_co_ci_u32_e64 v175, null, s13, v175, vcc_lo
	;; [unrolled: 2-line block ×5, first 2 shown]
	v_add_co_u32 v13, vcc_lo, v13, s12
	v_mul_f64 v[0:1], v[253:254], v[0:1]
	v_add_co_ci_u32_e64 v14, null, s13, v14, vcc_lo
	v_add_co_u32 v15, vcc_lo, v15, s12
	v_add_co_ci_u32_e64 v16, null, s13, v16, vcc_lo
	v_add_co_u32 v17, vcc_lo, v17, s12
	;; [unrolled: 2-line block ×5, first 2 shown]
	v_add_co_ci_u32_e64 v24, null, s13, v24, vcc_lo
	v_fma_f64 v[0:1], v[0:1], v[139:140], v[159:160]
	v_add_co_u32 v35, vcc_lo, v35, s12
	v_add_co_ci_u32_e64 v36, null, s13, v36, vcc_lo
	v_add_co_u32 v45, vcc_lo, v45, s12
	v_add_co_ci_u32_e64 v46, null, s13, v46, vcc_lo
	;; [unrolled: 2-line block ×5, first 2 shown]
	buffer_store_dword v0, off, s[36:39], 0 offset:8 ; 4-byte Folded Spill
	buffer_store_dword v1, off, s[36:39], 0 offset:12 ; 4-byte Folded Spill
	v_add_f64 v[0:1], v[2:3], v[253:254]
	v_add_co_u32 v63, vcc_lo, v63, s12
	v_add_co_ci_u32_e64 v64, null, s13, v64, vcc_lo
	v_add_co_u32 v67, vcc_lo, v67, s12
	v_add_co_ci_u32_e64 v68, null, s13, v68, vcc_lo
	;; [unrolled: 2-line block ×5, first 2 shown]
	buffer_store_dword v0, off, s[36:39], 0 ; 4-byte Folded Spill
	buffer_store_dword v1, off, s[36:39], 0 offset:4 ; 4-byte Folded Spill
	buffer_load_dword v0, off, s[36:39], 0 offset:16 ; 4-byte Folded Reload
	v_add_co_u32 v83, vcc_lo, v83, s12
	v_add_co_ci_u32_e64 v84, null, s13, v84, vcc_lo
	v_add_co_u32 v87, vcc_lo, v87, s12
	v_add_co_ci_u32_e64 v88, null, s13, v88, vcc_lo
	;; [unrolled: 2-line block ×44, first 2 shown]
	s_add_u32 s22, s22, s1
	s_addc_u32 s23, s23, 0
	s_add_u32 s14, s14, s1
	v_cmp_ge_i64_e64 s7, s[22:23], s[8:9]
	s_addc_u32 s15, 0, s15
	s_waitcnt vmcnt(0)
	v_add_co_u32 v0, vcc_lo, v0, s12
	buffer_store_dword v0, off, s[36:39], 0 offset:16 ; 4-byte Folded Spill
	buffer_load_dword v0, off, s[36:39], 0 offset:20 ; 4-byte Folded Reload
	s_waitcnt vmcnt(0)
	v_add_co_ci_u32_e64 v0, null, s13, v0, vcc_lo
	buffer_store_dword v0, off, s[36:39], 0 offset:20 ; 4-byte Folded Spill
	buffer_load_dword v0, off, s[36:39], 0 offset:24 ; 4-byte Folded Reload
	s_waitcnt vmcnt(0)
	v_add_co_u32 v0, vcc_lo, v0, s12
	buffer_store_dword v0, off, s[36:39], 0 offset:24 ; 4-byte Folded Spill
	buffer_load_dword v0, off, s[36:39], 0 offset:28 ; 4-byte Folded Reload
	s_waitcnt vmcnt(0)
	v_add_co_ci_u32_e64 v0, null, s13, v0, vcc_lo
	buffer_store_dword v0, off, s[36:39], 0 offset:28 ; 4-byte Folded Spill
	buffer_load_dword v0, off, s[36:39], 0 offset:32 ; 4-byte Folded Reload
	;; [unrolled: 8-line block ×54, first 2 shown]
	s_waitcnt vmcnt(0)
	v_add_co_u32 v0, vcc_lo, v0, s12
	buffer_store_dword v0, off, s[36:39], 0 offset:484 ; 4-byte Folded Spill
	buffer_load_dword v0, off, s[36:39], 0 offset:480 ; 4-byte Folded Reload
	s_waitcnt vmcnt(0)
	v_add_co_ci_u32_e64 v0, null, s13, v0, vcc_lo
	v_add_co_u32 v188, vcc_lo, v188, s12
	buffer_store_dword v0, off, s[36:39], 0 offset:480 ; 4-byte Folded Spill
	buffer_load_dword v0, off, s[36:39], 0 offset:488 ; 4-byte Folded Reload
	s_waitcnt vmcnt(0)
	v_add_co_ci_u32_e64 v0, null, s13, v0, vcc_lo
	v_add_co_u32 v215, vcc_lo, v215, s12
	v_add_co_ci_u32_e64 v216, null, s13, v216, vcc_lo
	v_add_co_u32 v176, vcc_lo, v176, s12
	;; [unrolled: 2-line block ×6, first 2 shown]
	v_add_co_ci_u32_e64 v184, null, s13, v184, vcc_lo
	s_and_b32 vcc_lo, exec_lo, s7
	buffer_store_dword v0, off, s[36:39], 0 offset:488 ; 4-byte Folded Spill
	s_cbranch_vccnz .LBB28_217
.LBB28_146:                             ; =>This Inner Loop Header: Depth=1
	s_add_u32 s24, s20, s14
	s_addc_u32 s25, 0, s15
	v_add_co_u32 v135, vcc_lo, s20, v131
	v_cmp_ge_i64_e64 s7, s[24:25], s[8:9]
	v_add_co_ci_u32_e64 v136, null, 0, v187, vcc_lo
                                        ; implicit-def: $vgpr139_vgpr140
                                        ; implicit-def: $vgpr253_vgpr254
                                        ; implicit-def: $vgpr0_vgpr1
                                        ; implicit-def: $vgpr137
                                        ; implicit-def: $vgpr2_vgpr3
                                        ; implicit-def: $vgpr159_vgpr160
	s_and_b32 vcc_lo, exec_lo, s7
	s_mov_b32 s7, -1
	s_cbranch_vccz .LBB28_214
; %bb.147:                              ;   in Loop: Header=BB28_146 Depth=1
	s_load_dword s7, s[2:3], 0xc
	s_clause 0x2
	buffer_load_dword v0, off, s[36:39], 0 offset:492
	buffer_load_dword v1, off, s[36:39], 0 offset:496
	buffer_load_dword v1, off, s[36:39], 0 offset:48
	v_mov_b32_e32 v191, 0
	v_mov_b32_e32 v139, 0
	;; [unrolled: 1-line block ×6, first 2 shown]
	s_waitcnt lgkmcnt(0)
	s_and_b32 s7, s7, 0xffff
	s_waitcnt vmcnt(0)
	v_mad_u32_u24 v0, v0, s7, v1
	s_mov_b32 s7, exec_lo
	v_and_b32_e32 v0, 31, v0
	v_add_co_u32 v0, vcc_lo, v135, v0
	v_add_co_ci_u32_e64 v1, null, 0, v136, vcc_lo
	v_cmpx_gt_i64_e64 s[8:9], v[0:1]
	s_cbranch_execz .LBB28_149
; %bb.148:                              ;   in Loop: Header=BB28_146 Depth=1
	v_lshlrev_b64 v[0:1], 3, v[0:1]
	v_add_co_u32 v2, vcc_lo, s16, v0
	v_add_co_ci_u32_e64 v3, null, s17, v1, vcc_lo
	v_add_co_u32 v0, vcc_lo, s18, v0
	v_add_co_ci_u32_e64 v1, null, s19, v1, vcc_lo
	global_load_dwordx2 v[137:138], v[2:3], off
	global_load_dwordx2 v[139:140], v[0:1], off
.LBB28_149:                             ;   in Loop: Header=BB28_146 Depth=1
	s_or_b32 exec_lo, exec_lo, s7
	v_mov_b32_e32 v195, 0
	v_mov_b32_e32 v196, 0
	s_mov_b32 s7, exec_lo
	v_cmpx_gt_i64_e64 s[8:9], v[135:136]
	s_cbranch_execz .LBB28_151
; %bb.150:                              ;   in Loop: Header=BB28_146 Depth=1
	v_add_co_u32 v0, vcc_lo, v4, v133
	v_add_co_ci_u32_e64 v1, null, v171, v134, vcc_lo
	v_add_co_u32 v2, vcc_lo, v172, v133
	v_add_co_ci_u32_e64 v3, null, v175, v134, vcc_lo
	global_load_dwordx2 v[191:192], v[0:1], off
	global_load_dwordx2 v[195:196], v[2:3], off
.LBB28_151:                             ;   in Loop: Header=BB28_146 Depth=1
	s_or_b32 exec_lo, exec_lo, s7
	v_add_co_u32 v0, vcc_lo, v135, 1
	v_mov_b32_e32 v143, 0
	v_mov_b32_e32 v145, 0
	;; [unrolled: 1-line block ×3, first 2 shown]
	v_add_co_ci_u32_e64 v1, null, 0, v136, vcc_lo
	v_mov_b32_e32 v144, 0
	v_mov_b32_e32 v146, 0
	;; [unrolled: 1-line block ×3, first 2 shown]
	s_mov_b32 s7, exec_lo
	v_cmpx_gt_i64_e64 s[8:9], v[0:1]
	s_cbranch_execz .LBB28_153
; %bb.152:                              ;   in Loop: Header=BB28_146 Depth=1
	v_add_co_u32 v0, vcc_lo, v220, v133
	v_add_co_ci_u32_e64 v1, null, v223, v134, vcc_lo
	v_add_co_u32 v2, vcc_lo, v224, v133
	v_add_co_ci_u32_e64 v3, null, v184, v134, vcc_lo
	global_load_dwordx2 v[145:146], v[0:1], off
	global_load_dwordx2 v[207:208], v[2:3], off
.LBB28_153:                             ;   in Loop: Header=BB28_146 Depth=1
	s_or_b32 exec_lo, exec_lo, s7
	v_add_co_u32 v0, vcc_lo, v135, 2
	v_mov_b32_e32 v199, 0
	v_add_co_ci_u32_e64 v1, null, 0, v136, vcc_lo
	v_mov_b32_e32 v200, 0
	s_mov_b32 s7, exec_lo
	v_cmpx_gt_i64_e64 s[8:9], v[0:1]
	s_cbranch_execz .LBB28_155
; %bb.154:                              ;   in Loop: Header=BB28_146 Depth=1
	v_add_co_u32 v0, vcc_lo, v179, v133
	v_add_co_ci_u32_e64 v1, null, v180, v134, vcc_lo
	v_add_co_u32 v2, vcc_lo, v183, v133
	v_add_co_ci_u32_e64 v3, null, v219, v134, vcc_lo
	global_load_dwordx2 v[143:144], v[0:1], off
	global_load_dwordx2 v[199:200], v[2:3], off
.LBB28_155:                             ;   in Loop: Header=BB28_146 Depth=1
	s_or_b32 exec_lo, exec_lo, s7
	v_add_co_u32 v0, vcc_lo, v135, 3
	v_add_co_ci_u32_e64 v1, null, 0, v136, vcc_lo
	v_mov_b32_e32 v147, 0
	v_mov_b32_e32 v149, 0
	;; [unrolled: 1-line block ×3, first 2 shown]
	v_cmp_gt_i64_e32 vcc_lo, s[8:9], v[0:1]
	v_mov_b32_e32 v0, 0
	v_mov_b32_e32 v150, 0
	;; [unrolled: 1-line block ×3, first 2 shown]
	buffer_store_dword v0, off, s[36:39], 0 offset:500 ; 4-byte Folded Spill
	buffer_store_dword v1, off, s[36:39], 0 offset:504 ; 4-byte Folded Spill
	s_and_saveexec_b32 s7, vcc_lo
	s_cbranch_execz .LBB28_157
; %bb.156:                              ;   in Loop: Header=BB28_146 Depth=1
	v_add_co_u32 v0, vcc_lo, v215, v133
	v_add_co_ci_u32_e64 v1, null, v216, v134, vcc_lo
	v_add_co_u32 v2, vcc_lo, v176, v133
	v_add_co_ci_u32_e64 v3, null, v255, v134, vcc_lo
	global_load_dwordx2 v[149:150], v[0:1], off
	global_load_dwordx2 v[0:1], v[2:3], off
	s_waitcnt vmcnt(0)
	buffer_store_dword v0, off, s[36:39], 0 offset:500 ; 4-byte Folded Spill
	buffer_store_dword v1, off, s[36:39], 0 offset:504 ; 4-byte Folded Spill
.LBB28_157:                             ;   in Loop: Header=BB28_146 Depth=1
	s_or_b32 exec_lo, exec_lo, s7
	v_add_co_u32 v0, vcc_lo, v135, 4
	v_mov_b32_e32 v141, 0
	v_add_co_ci_u32_e64 v1, null, 0, v136, vcc_lo
	v_mov_b32_e32 v142, 0
	s_mov_b32 s7, exec_lo
	v_cmpx_gt_i64_e64 s[8:9], v[0:1]
	s_cbranch_execz .LBB28_159
; %bb.158:                              ;   in Loop: Header=BB28_146 Depth=1
	s_clause 0x2
	buffer_load_dword v0, off, s[36:39], 0 offset:484
	buffer_load_dword v3, off, s[36:39], 0 offset:488
	;; [unrolled: 1-line block ×3, first 2 shown]
	s_waitcnt vmcnt(2)
	v_add_co_u32 v0, vcc_lo, v0, v133
	s_waitcnt vmcnt(0)
	v_add_co_ci_u32_e64 v1, null, v1, v134, vcc_lo
	v_add_co_u32 v2, vcc_lo, v188, v133
	v_add_co_ci_u32_e64 v3, null, v3, v134, vcc_lo
	global_load_dwordx2 v[147:148], v[0:1], off
	global_load_dwordx2 v[141:142], v[2:3], off
.LBB28_159:                             ;   in Loop: Header=BB28_146 Depth=1
	s_or_b32 exec_lo, exec_lo, s7
	v_add_co_u32 v0, vcc_lo, v135, 5
	v_mov_b32_e32 v151, 0
	v_mov_b32_e32 v153, 0
	;; [unrolled: 1-line block ×3, first 2 shown]
	v_add_co_ci_u32_e64 v1, null, 0, v136, vcc_lo
	v_mov_b32_e32 v152, 0
	v_mov_b32_e32 v154, 0
	;; [unrolled: 1-line block ×3, first 2 shown]
	s_mov_b32 s7, exec_lo
	v_cmpx_gt_i64_e64 s[8:9], v[0:1]
	s_cbranch_execz .LBB28_161
; %bb.160:                              ;   in Loop: Header=BB28_146 Depth=1
	s_clause 0x3
	buffer_load_dword v0, off, s[36:39], 0 offset:468
	buffer_load_dword v2, off, s[36:39], 0 offset:476
	;; [unrolled: 1-line block ×4, first 2 shown]
	s_waitcnt vmcnt(3)
	v_add_co_u32 v0, vcc_lo, v0, v133
	s_waitcnt vmcnt(0)
	v_add_co_ci_u32_e64 v1, null, v1, v134, vcc_lo
	v_add_co_u32 v2, vcc_lo, v2, v133
	v_add_co_ci_u32_e64 v3, null, v3, v134, vcc_lo
	global_load_dwordx2 v[153:154], v[0:1], off
	global_load_dwordx2 v[211:212], v[2:3], off
.LBB28_161:                             ;   in Loop: Header=BB28_146 Depth=1
	s_or_b32 exec_lo, exec_lo, s7
	v_add_co_u32 v0, vcc_lo, v135, 6
	v_add_co_ci_u32_e64 v1, null, 0, v136, vcc_lo
	v_cmp_gt_i64_e32 vcc_lo, s[8:9], v[0:1]
	v_mov_b32_e32 v0, 0
	v_mov_b32_e32 v1, 0
	buffer_store_dword v0, off, s[36:39], 0 offset:508 ; 4-byte Folded Spill
	buffer_store_dword v1, off, s[36:39], 0 offset:512 ; 4-byte Folded Spill
	s_and_saveexec_b32 s7, vcc_lo
	s_cbranch_execz .LBB28_163
; %bb.162:                              ;   in Loop: Header=BB28_146 Depth=1
	s_clause 0x3
	buffer_load_dword v0, off, s[36:39], 0 offset:448
	buffer_load_dword v1, off, s[36:39], 0 offset:452
	buffer_load_dword v2, off, s[36:39], 0 offset:460
	buffer_load_dword v3, off, s[36:39], 0 offset:456
	s_waitcnt vmcnt(3)
	v_add_co_u32 v0, vcc_lo, v0, v133
	s_waitcnt vmcnt(2)
	v_add_co_ci_u32_e64 v1, null, v1, v134, vcc_lo
	s_waitcnt vmcnt(1)
	v_add_co_u32 v2, vcc_lo, v2, v133
	s_waitcnt vmcnt(0)
	v_add_co_ci_u32_e64 v3, null, v3, v134, vcc_lo
	global_load_dwordx2 v[151:152], v[0:1], off
	global_load_dwordx2 v[0:1], v[2:3], off
	s_waitcnt vmcnt(0)
	buffer_store_dword v0, off, s[36:39], 0 offset:508 ; 4-byte Folded Spill
	buffer_store_dword v1, off, s[36:39], 0 offset:512 ; 4-byte Folded Spill
.LBB28_163:                             ;   in Loop: Header=BB28_146 Depth=1
	s_or_b32 exec_lo, exec_lo, s7
	v_add_co_u32 v0, vcc_lo, v135, 7
	v_add_co_ci_u32_e64 v1, null, 0, v136, vcc_lo
	v_mov_b32_e32 v157, 0
	v_mov_b32_e32 v161, 0
	v_mov_b32_e32 v158, 0
	v_cmp_gt_i64_e32 vcc_lo, s[8:9], v[0:1]
	v_mov_b32_e32 v0, 0
	v_mov_b32_e32 v162, 0
	v_mov_b32_e32 v1, 0
	buffer_store_dword v0, off, s[36:39], 0 offset:516 ; 4-byte Folded Spill
	buffer_store_dword v1, off, s[36:39], 0 offset:520 ; 4-byte Folded Spill
	s_and_saveexec_b32 s7, vcc_lo
	s_cbranch_execz .LBB28_165
; %bb.164:                              ;   in Loop: Header=BB28_146 Depth=1
	s_clause 0x3
	buffer_load_dword v0, off, s[36:39], 0 offset:432
	buffer_load_dword v1, off, s[36:39], 0 offset:436
	buffer_load_dword v2, off, s[36:39], 0 offset:440
	buffer_load_dword v3, off, s[36:39], 0 offset:444
	s_waitcnt vmcnt(3)
	v_add_co_u32 v0, vcc_lo, v0, v133
	s_waitcnt vmcnt(2)
	v_add_co_ci_u32_e64 v1, null, v1, v134, vcc_lo
	s_waitcnt vmcnt(1)
	v_add_co_u32 v2, vcc_lo, v2, v133
	s_waitcnt vmcnt(0)
	v_add_co_ci_u32_e64 v3, null, v3, v134, vcc_lo
	global_load_dwordx2 v[161:162], v[0:1], off
	global_load_dwordx2 v[0:1], v[2:3], off
	s_waitcnt vmcnt(0)
	buffer_store_dword v0, off, s[36:39], 0 offset:516 ; 4-byte Folded Spill
	buffer_store_dword v1, off, s[36:39], 0 offset:520 ; 4-byte Folded Spill
.LBB28_165:                             ;   in Loop: Header=BB28_146 Depth=1
	s_or_b32 exec_lo, exec_lo, s7
	v_add_co_u32 v0, vcc_lo, v135, 8
	v_add_co_ci_u32_e64 v1, null, 0, v136, vcc_lo
	v_cmp_gt_i64_e32 vcc_lo, s[8:9], v[0:1]
	v_mov_b32_e32 v0, 0
	v_mov_b32_e32 v1, 0
	buffer_store_dword v0, off, s[36:39], 0 offset:524 ; 4-byte Folded Spill
	buffer_store_dword v1, off, s[36:39], 0 offset:528 ; 4-byte Folded Spill
	s_and_saveexec_b32 s7, vcc_lo
	s_cbranch_execz .LBB28_167
; %bb.166:                              ;   in Loop: Header=BB28_146 Depth=1
	s_clause 0x3
	buffer_load_dword v0, off, s[36:39], 0 offset:416
	buffer_load_dword v1, off, s[36:39], 0 offset:420
	buffer_load_dword v2, off, s[36:39], 0 offset:424
	buffer_load_dword v3, off, s[36:39], 0 offset:428
	s_waitcnt vmcnt(3)
	v_add_co_u32 v0, vcc_lo, v0, v133
	s_waitcnt vmcnt(2)
	v_add_co_ci_u32_e64 v1, null, v1, v134, vcc_lo
	s_waitcnt vmcnt(1)
	v_add_co_u32 v2, vcc_lo, v2, v133
	s_waitcnt vmcnt(0)
	v_add_co_ci_u32_e64 v3, null, v3, v134, vcc_lo
	global_load_dwordx2 v[157:158], v[0:1], off
	global_load_dwordx2 v[0:1], v[2:3], off
	s_waitcnt vmcnt(0)
	buffer_store_dword v0, off, s[36:39], 0 offset:524 ; 4-byte Folded Spill
	buffer_store_dword v1, off, s[36:39], 0 offset:528 ; 4-byte Folded Spill
.LBB28_167:                             ;   in Loop: Header=BB28_146 Depth=1
	s_or_b32 exec_lo, exec_lo, s7
	v_add_co_u32 v0, vcc_lo, v135, 9
	v_add_co_ci_u32_e64 v1, null, 0, v136, vcc_lo
	v_mov_b32_e32 v167, 0
	v_mov_b32_e32 v173, 0
	v_mov_b32_e32 v168, 0
	v_cmp_gt_i64_e32 vcc_lo, s[8:9], v[0:1]
	v_mov_b32_e32 v0, 0
	v_mov_b32_e32 v174, 0
	v_mov_b32_e32 v1, 0
	buffer_store_dword v0, off, s[36:39], 0 offset:532 ; 4-byte Folded Spill
	buffer_store_dword v1, off, s[36:39], 0 offset:536 ; 4-byte Folded Spill
	s_and_saveexec_b32 s7, vcc_lo
	s_cbranch_execz .LBB28_169
; %bb.168:                              ;   in Loop: Header=BB28_146 Depth=1
	s_clause 0x3
	buffer_load_dword v0, off, s[36:39], 0 offset:400
	buffer_load_dword v1, off, s[36:39], 0 offset:404
	buffer_load_dword v2, off, s[36:39], 0 offset:408
	buffer_load_dword v3, off, s[36:39], 0 offset:412
	s_waitcnt vmcnt(3)
	v_add_co_u32 v0, vcc_lo, v0, v133
	s_waitcnt vmcnt(2)
	v_add_co_ci_u32_e64 v1, null, v1, v134, vcc_lo
	s_waitcnt vmcnt(1)
	v_add_co_u32 v2, vcc_lo, v2, v133
	s_waitcnt vmcnt(0)
	v_add_co_ci_u32_e64 v3, null, v3, v134, vcc_lo
	global_load_dwordx2 v[173:174], v[0:1], off
	global_load_dwordx2 v[0:1], v[2:3], off
	s_waitcnt vmcnt(0)
	buffer_store_dword v0, off, s[36:39], 0 offset:532 ; 4-byte Folded Spill
	buffer_store_dword v1, off, s[36:39], 0 offset:536 ; 4-byte Folded Spill
.LBB28_169:                             ;   in Loop: Header=BB28_146 Depth=1
	;; [unrolled: 64-line block ×6, first 2 shown]
	s_or_b32 exec_lo, exec_lo, s7
	v_add_co_u32 v0, vcc_lo, v135, 18
	v_add_co_ci_u32_e64 v1, null, 0, v136, vcc_lo
	v_cmp_gt_i64_e32 vcc_lo, s[8:9], v[0:1]
	v_mov_b32_e32 v0, 0
	v_mov_b32_e32 v1, 0
	buffer_store_dword v0, off, s[36:39], 0 offset:604 ; 4-byte Folded Spill
	buffer_store_dword v1, off, s[36:39], 0 offset:608 ; 4-byte Folded Spill
	s_and_saveexec_b32 s7, vcc_lo
	s_cbranch_execz .LBB28_187
; %bb.186:                              ;   in Loop: Header=BB28_146 Depth=1
	s_clause 0x3
	buffer_load_dword v0, off, s[36:39], 0 offset:256
	buffer_load_dword v1, off, s[36:39], 0 offset:260
	;; [unrolled: 1-line block ×4, first 2 shown]
	s_waitcnt vmcnt(3)
	v_add_co_u32 v0, vcc_lo, v0, v133
	s_waitcnt vmcnt(2)
	v_add_co_ci_u32_e64 v1, null, v1, v134, vcc_lo
	s_waitcnt vmcnt(1)
	v_add_co_u32 v2, vcc_lo, v2, v133
	s_waitcnt vmcnt(0)
	v_add_co_ci_u32_e64 v3, null, v3, v134, vcc_lo
	global_load_dwordx2 v[201:202], v[0:1], off
	global_load_dwordx2 v[0:1], v[2:3], off
	s_waitcnt vmcnt(0)
	buffer_store_dword v0, off, s[36:39], 0 offset:604 ; 4-byte Folded Spill
	buffer_store_dword v1, off, s[36:39], 0 offset:608 ; 4-byte Folded Spill
.LBB28_187:                             ;   in Loop: Header=BB28_146 Depth=1
	s_or_b32 exec_lo, exec_lo, s7
	v_add_co_u32 v0, vcc_lo, v135, 19
	v_mov_b32_e32 v209, 0
	v_mov_b32_e32 v213, 0
	v_mov_b32_e32 v227, 0
	v_add_co_ci_u32_e64 v1, null, 0, v136, vcc_lo
	v_mov_b32_e32 v210, 0
	v_mov_b32_e32 v214, 0
	v_mov_b32_e32 v228, 0
	s_mov_b32 s7, exec_lo
	v_cmpx_gt_i64_e64 s[8:9], v[0:1]
	s_cbranch_execz .LBB28_189
; %bb.188:                              ;   in Loop: Header=BB28_146 Depth=1
	s_clause 0x3
	buffer_load_dword v0, off, s[36:39], 0 offset:240
	buffer_load_dword v1, off, s[36:39], 0 offset:244
	buffer_load_dword v2, off, s[36:39], 0 offset:248
	buffer_load_dword v3, off, s[36:39], 0 offset:252
	s_waitcnt vmcnt(3)
	v_add_co_u32 v0, vcc_lo, v0, v133
	s_waitcnt vmcnt(2)
	v_add_co_ci_u32_e64 v1, null, v1, v134, vcc_lo
	s_waitcnt vmcnt(1)
	v_add_co_u32 v2, vcc_lo, v2, v133
	s_waitcnt vmcnt(0)
	v_add_co_ci_u32_e64 v3, null, v3, v134, vcc_lo
	global_load_dwordx2 v[213:214], v[0:1], off
	global_load_dwordx2 v[227:228], v[2:3], off
.LBB28_189:                             ;   in Loop: Header=BB28_146 Depth=1
	s_or_b32 exec_lo, exec_lo, s7
	v_add_co_u32 v0, vcc_lo, v135, 20
	v_mov_b32_e32 v231, 0
	v_add_co_ci_u32_e64 v1, null, 0, v136, vcc_lo
	v_mov_b32_e32 v232, 0
	s_mov_b32 s7, exec_lo
	v_cmpx_gt_i64_e64 s[8:9], v[0:1]
	s_cbranch_execz .LBB28_191
; %bb.190:                              ;   in Loop: Header=BB28_146 Depth=1
	s_clause 0x3
	buffer_load_dword v0, off, s[36:39], 0 offset:224
	buffer_load_dword v1, off, s[36:39], 0 offset:228
	buffer_load_dword v2, off, s[36:39], 0 offset:232
	buffer_load_dword v3, off, s[36:39], 0 offset:236
	s_waitcnt vmcnt(3)
	v_add_co_u32 v0, vcc_lo, v0, v133
	s_waitcnt vmcnt(2)
	v_add_co_ci_u32_e64 v1, null, v1, v134, vcc_lo
	s_waitcnt vmcnt(1)
	v_add_co_u32 v2, vcc_lo, v2, v133
	s_waitcnt vmcnt(0)
	v_add_co_ci_u32_e64 v3, null, v3, v134, vcc_lo
	global_load_dwordx2 v[209:210], v[0:1], off
	global_load_dwordx2 v[231:232], v[2:3], off
.LBB28_191:                             ;   in Loop: Header=BB28_146 Depth=1
	s_or_b32 exec_lo, exec_lo, s7
	v_add_co_u32 v0, vcc_lo, v135, 21
	v_mov_b32_e32 v217, 0
	v_mov_b32_e32 v221, 0
	v_mov_b32_e32 v235, 0
	v_add_co_ci_u32_e64 v1, null, 0, v136, vcc_lo
	v_mov_b32_e32 v218, 0
	v_mov_b32_e32 v222, 0
	v_mov_b32_e32 v236, 0
	s_mov_b32 s7, exec_lo
	v_cmpx_gt_i64_e64 s[8:9], v[0:1]
	s_cbranch_execz .LBB28_193
; %bb.192:                              ;   in Loop: Header=BB28_146 Depth=1
	s_clause 0x3
	buffer_load_dword v0, off, s[36:39], 0 offset:208
	buffer_load_dword v1, off, s[36:39], 0 offset:212
	buffer_load_dword v2, off, s[36:39], 0 offset:216
	buffer_load_dword v3, off, s[36:39], 0 offset:220
	s_waitcnt vmcnt(3)
	v_add_co_u32 v0, vcc_lo, v0, v133
	s_waitcnt vmcnt(2)
	v_add_co_ci_u32_e64 v1, null, v1, v134, vcc_lo
	s_waitcnt vmcnt(1)
	v_add_co_u32 v2, vcc_lo, v2, v133
	s_waitcnt vmcnt(0)
	v_add_co_ci_u32_e64 v3, null, v3, v134, vcc_lo
	global_load_dwordx2 v[221:222], v[0:1], off
	global_load_dwordx2 v[235:236], v[2:3], off
.LBB28_193:                             ;   in Loop: Header=BB28_146 Depth=1
	s_or_b32 exec_lo, exec_lo, s7
	v_add_co_u32 v0, vcc_lo, v135, 22
	v_mov_b32_e32 v239, 0
	v_add_co_ci_u32_e64 v1, null, 0, v136, vcc_lo
	v_mov_b32_e32 v240, 0
	s_mov_b32 s7, exec_lo
	v_cmpx_gt_i64_e64 s[8:9], v[0:1]
	s_cbranch_execz .LBB28_195
; %bb.194:                              ;   in Loop: Header=BB28_146 Depth=1
	s_clause 0x3
	buffer_load_dword v0, off, s[36:39], 0 offset:192
	buffer_load_dword v1, off, s[36:39], 0 offset:196
	buffer_load_dword v2, off, s[36:39], 0 offset:200
	buffer_load_dword v3, off, s[36:39], 0 offset:204
	s_waitcnt vmcnt(3)
	v_add_co_u32 v0, vcc_lo, v0, v133
	s_waitcnt vmcnt(2)
	v_add_co_ci_u32_e64 v1, null, v1, v134, vcc_lo
	s_waitcnt vmcnt(1)
	v_add_co_u32 v2, vcc_lo, v2, v133
	s_waitcnt vmcnt(0)
	v_add_co_ci_u32_e64 v3, null, v3, v134, vcc_lo
	global_load_dwordx2 v[217:218], v[0:1], off
	global_load_dwordx2 v[239:240], v[2:3], off
.LBB28_195:                             ;   in Loop: Header=BB28_146 Depth=1
	s_or_b32 exec_lo, exec_lo, s7
	v_add_co_u32 v0, vcc_lo, v135, 23
	v_mov_b32_e32 v225, 0
	v_mov_b32_e32 v229, 0
	v_mov_b32_e32 v241, 0
	v_add_co_ci_u32_e64 v1, null, 0, v136, vcc_lo
	v_mov_b32_e32 v226, 0
	v_mov_b32_e32 v230, 0
	v_mov_b32_e32 v242, 0
	s_mov_b32 s7, exec_lo
	v_cmpx_gt_i64_e64 s[8:9], v[0:1]
	s_cbranch_execz .LBB28_197
; %bb.196:                              ;   in Loop: Header=BB28_146 Depth=1
	s_clause 0x3
	buffer_load_dword v0, off, s[36:39], 0 offset:176
	buffer_load_dword v1, off, s[36:39], 0 offset:180
	buffer_load_dword v2, off, s[36:39], 0 offset:184
	buffer_load_dword v3, off, s[36:39], 0 offset:188
	s_waitcnt vmcnt(3)
	v_add_co_u32 v0, vcc_lo, v0, v133
	s_waitcnt vmcnt(2)
	v_add_co_ci_u32_e64 v1, null, v1, v134, vcc_lo
	s_waitcnt vmcnt(1)
	v_add_co_u32 v2, vcc_lo, v2, v133
	s_waitcnt vmcnt(0)
	v_add_co_ci_u32_e64 v3, null, v3, v134, vcc_lo
	global_load_dwordx2 v[229:230], v[0:1], off
	global_load_dwordx2 v[241:242], v[2:3], off
.LBB28_197:                             ;   in Loop: Header=BB28_146 Depth=1
	s_or_b32 exec_lo, exec_lo, s7
	v_add_co_u32 v0, vcc_lo, v135, 24
	v_mov_b32_e32 v247, 0
	v_add_co_ci_u32_e64 v1, null, 0, v136, vcc_lo
	v_mov_b32_e32 v248, 0
	s_mov_b32 s7, exec_lo
	v_cmpx_gt_i64_e64 s[8:9], v[0:1]
	s_cbranch_execz .LBB28_199
; %bb.198:                              ;   in Loop: Header=BB28_146 Depth=1
	s_clause 0x3
	buffer_load_dword v0, off, s[36:39], 0 offset:160
	buffer_load_dword v1, off, s[36:39], 0 offset:164
	buffer_load_dword v2, off, s[36:39], 0 offset:168
	buffer_load_dword v3, off, s[36:39], 0 offset:172
	s_waitcnt vmcnt(3)
	v_add_co_u32 v0, vcc_lo, v0, v133
	s_waitcnt vmcnt(2)
	v_add_co_ci_u32_e64 v1, null, v1, v134, vcc_lo
	s_waitcnt vmcnt(1)
	v_add_co_u32 v2, vcc_lo, v2, v133
	s_waitcnt vmcnt(0)
	v_add_co_ci_u32_e64 v3, null, v3, v134, vcc_lo
	global_load_dwordx2 v[225:226], v[0:1], off
	global_load_dwordx2 v[247:248], v[2:3], off
.LBB28_199:                             ;   in Loop: Header=BB28_146 Depth=1
	s_or_b32 exec_lo, exec_lo, s7
	v_add_co_u32 v0, vcc_lo, v135, 25
	v_mov_b32_e32 v233, 0
	v_mov_b32_e32 v237, 0
	v_mov_b32_e32 v249, 0
	v_add_co_ci_u32_e64 v1, null, 0, v136, vcc_lo
	v_mov_b32_e32 v234, 0
	v_mov_b32_e32 v238, 0
	v_mov_b32_e32 v250, 0
	s_mov_b32 s7, exec_lo
	v_cmpx_gt_i64_e64 s[8:9], v[0:1]
	s_cbranch_execz .LBB28_201
; %bb.200:                              ;   in Loop: Header=BB28_146 Depth=1
	s_clause 0x3
	buffer_load_dword v0, off, s[36:39], 0 offset:144
	buffer_load_dword v1, off, s[36:39], 0 offset:148
	buffer_load_dword v2, off, s[36:39], 0 offset:152
	buffer_load_dword v3, off, s[36:39], 0 offset:156
	s_waitcnt vmcnt(3)
	v_add_co_u32 v0, vcc_lo, v0, v133
	s_waitcnt vmcnt(2)
	v_add_co_ci_u32_e64 v1, null, v1, v134, vcc_lo
	s_waitcnt vmcnt(1)
	v_add_co_u32 v2, vcc_lo, v2, v133
	s_waitcnt vmcnt(0)
	v_add_co_ci_u32_e64 v3, null, v3, v134, vcc_lo
	global_load_dwordx2 v[237:238], v[0:1], off
	global_load_dwordx2 v[249:250], v[2:3], off
.LBB28_201:                             ;   in Loop: Header=BB28_146 Depth=1
	s_or_b32 exec_lo, exec_lo, s7
	v_add_co_u32 v0, vcc_lo, v135, 26
	v_mov_b32_e32 v251, 0
	v_add_co_ci_u32_e64 v1, null, 0, v136, vcc_lo
	v_mov_b32_e32 v252, 0
	s_mov_b32 s7, exec_lo
	v_cmpx_gt_i64_e64 s[8:9], v[0:1]
	s_cbranch_execz .LBB28_203
; %bb.202:                              ;   in Loop: Header=BB28_146 Depth=1
	s_clause 0x3
	buffer_load_dword v0, off, s[36:39], 0 offset:128
	buffer_load_dword v1, off, s[36:39], 0 offset:132
	buffer_load_dword v2, off, s[36:39], 0 offset:136
	buffer_load_dword v3, off, s[36:39], 0 offset:140
	s_waitcnt vmcnt(3)
	v_add_co_u32 v0, vcc_lo, v0, v133
	s_waitcnt vmcnt(2)
	v_add_co_ci_u32_e64 v1, null, v1, v134, vcc_lo
	s_waitcnt vmcnt(1)
	v_add_co_u32 v2, vcc_lo, v2, v133
	s_waitcnt vmcnt(0)
	v_add_co_ci_u32_e64 v3, null, v3, v134, vcc_lo
	global_load_dwordx2 v[233:234], v[0:1], off
	global_load_dwordx2 v[251:252], v[2:3], off
.LBB28_203:                             ;   in Loop: Header=BB28_146 Depth=1
	s_or_b32 exec_lo, exec_lo, s7
	v_add_co_u32 v0, vcc_lo, v135, 27
	v_mov_b32_e32 v243, 0
	v_mov_b32_e32 v245, 0
	v_mov_b32_e32 v155, 0
	v_add_co_ci_u32_e64 v1, null, 0, v136, vcc_lo
	v_mov_b32_e32 v244, 0
	v_mov_b32_e32 v246, 0
	v_mov_b32_e32 v156, 0
	s_mov_b32 s7, exec_lo
	v_cmpx_gt_i64_e64 s[8:9], v[0:1]
	s_cbranch_execz .LBB28_205
; %bb.204:                              ;   in Loop: Header=BB28_146 Depth=1
	s_clause 0x3
	buffer_load_dword v0, off, s[36:39], 0 offset:112
	buffer_load_dword v1, off, s[36:39], 0 offset:116
	buffer_load_dword v2, off, s[36:39], 0 offset:120
	buffer_load_dword v3, off, s[36:39], 0 offset:124
	s_waitcnt vmcnt(3)
	v_add_co_u32 v0, vcc_lo, v0, v133
	s_waitcnt vmcnt(2)
	v_add_co_ci_u32_e64 v1, null, v1, v134, vcc_lo
	s_waitcnt vmcnt(1)
	v_add_co_u32 v2, vcc_lo, v2, v133
	s_waitcnt vmcnt(0)
	v_add_co_ci_u32_e64 v3, null, v3, v134, vcc_lo
	global_load_dwordx2 v[245:246], v[0:1], off
	global_load_dwordx2 v[155:156], v[2:3], off
.LBB28_205:                             ;   in Loop: Header=BB28_146 Depth=1
	s_or_b32 exec_lo, exec_lo, s7
	v_add_co_u32 v0, vcc_lo, v135, 28
	v_mov_b32_e32 v163, 0
	v_add_co_ci_u32_e64 v1, null, 0, v136, vcc_lo
	v_mov_b32_e32 v164, 0
	s_mov_b32 s7, exec_lo
	v_cmpx_gt_i64_e64 s[8:9], v[0:1]
	s_cbranch_execz .LBB28_207
; %bb.206:                              ;   in Loop: Header=BB28_146 Depth=1
	s_clause 0x3
	buffer_load_dword v0, off, s[36:39], 0 offset:84
	buffer_load_dword v1, off, s[36:39], 0 offset:92
	buffer_load_dword v2, off, s[36:39], 0 offset:100
	buffer_load_dword v3, off, s[36:39], 0 offset:108
	s_waitcnt vmcnt(3)
	v_add_co_u32 v0, vcc_lo, v0, v133
	s_waitcnt vmcnt(2)
	v_add_co_ci_u32_e64 v1, null, v1, v134, vcc_lo
	s_waitcnt vmcnt(1)
	v_add_co_u32 v2, vcc_lo, v2, v133
	s_waitcnt vmcnt(0)
	v_add_co_ci_u32_e64 v3, null, v3, v134, vcc_lo
	global_load_dwordx2 v[243:244], v[0:1], off
	global_load_dwordx2 v[163:164], v[2:3], off
.LBB28_207:                             ;   in Loop: Header=BB28_146 Depth=1
	s_or_b32 exec_lo, exec_lo, s7
	v_add_co_u32 v0, vcc_lo, v135, 29
	v_mov_b32_e32 v2, 0
	v_mov_b32_e32 v159, 0
	;; [unrolled: 1-line block ×3, first 2 shown]
	v_add_co_ci_u32_e64 v1, null, 0, v136, vcc_lo
	v_mov_b32_e32 v3, 0
	v_mov_b32_e32 v160, 0
	;; [unrolled: 1-line block ×3, first 2 shown]
	s_mov_b32 s7, exec_lo
	v_cmpx_gt_i64_e64 s[8:9], v[0:1]
	s_cbranch_execz .LBB28_209
; %bb.208:                              ;   in Loop: Header=BB28_146 Depth=1
	s_clause 0x2
	buffer_load_dword v0, off, s[36:39], 0 offset:52
	buffer_load_dword v1, off, s[36:39], 0 offset:60
	;; [unrolled: 1-line block ×3, first 2 shown]
	s_waitcnt vmcnt(2)
	v_add_co_u32 v0, vcc_lo, v0, v133
	s_waitcnt vmcnt(1)
	v_add_co_ci_u32_e64 v1, null, v1, v134, vcc_lo
	s_waitcnt vmcnt(0)
	v_add_co_u32 v165, vcc_lo, v5, v133
	buffer_load_dword v5, off, s[36:39], 0 offset:76 ; 4-byte Folded Reload
	s_waitcnt vmcnt(0)
	v_add_co_ci_u32_e64 v166, null, v5, v134, vcc_lo
	global_load_dwordx2 v[159:160], v[0:1], off
	global_load_dwordx2 v[165:166], v[165:166], off
.LBB28_209:                             ;   in Loop: Header=BB28_146 Depth=1
	s_or_b32 exec_lo, exec_lo, s7
	v_add_co_u32 v0, vcc_lo, v135, 30
	v_mov_b32_e32 v169, 0
	v_add_co_ci_u32_e64 v1, null, 0, v136, vcc_lo
	v_mov_b32_e32 v170, 0
	s_mov_b32 s7, exec_lo
	v_cmpx_gt_i64_e64 s[8:9], v[0:1]
	s_cbranch_execz .LBB28_211
; %bb.210:                              ;   in Loop: Header=BB28_146 Depth=1
	s_clause 0x2
	buffer_load_dword v0, off, s[36:39], 0 offset:32
	buffer_load_dword v1, off, s[36:39], 0 offset:36
	;; [unrolled: 1-line block ×3, first 2 shown]
	s_waitcnt vmcnt(2)
	v_add_co_u32 v0, vcc_lo, v0, v133
	s_waitcnt vmcnt(1)
	v_add_co_ci_u32_e64 v1, null, v1, v134, vcc_lo
	s_waitcnt vmcnt(0)
	v_add_co_u32 v169, vcc_lo, v2, v133
	buffer_load_dword v2, off, s[36:39], 0 offset:44 ; 4-byte Folded Reload
	s_waitcnt vmcnt(0)
	v_add_co_ci_u32_e64 v170, null, v2, v134, vcc_lo
	global_load_dwordx2 v[2:3], v[0:1], off
	global_load_dwordx2 v[169:170], v[169:170], off
.LBB28_211:                             ;   in Loop: Header=BB28_146 Depth=1
	s_or_b32 exec_lo, exec_lo, s7
	v_add_co_u32 v0, vcc_lo, v135, 31
	v_add_co_ci_u32_e64 v1, null, 0, v136, vcc_lo
	s_waitcnt vmcnt(0)
	v_mov_b32_e32 v204, v142
	v_mov_b32_e32 v253, 0
	;; [unrolled: 1-line block ×3, first 2 shown]
	v_cmp_gt_i64_e32 vcc_lo, s[8:9], v[0:1]
	v_mov_b32_e32 v0, 0
	v_mov_b32_e32 v254, 0
	;; [unrolled: 1-line block ×3, first 2 shown]
	s_and_saveexec_b32 s7, vcc_lo
	s_cbranch_execz .LBB28_213
; %bb.212:                              ;   in Loop: Header=BB28_146 Depth=1
	s_clause 0x3
	buffer_load_dword v0, off, s[36:39], 0 offset:16
	buffer_load_dword v1, off, s[36:39], 0 offset:20
	buffer_load_dword v5, off, s[36:39], 0 offset:24
	buffer_load_dword v6, off, s[36:39], 0 offset:28
	s_waitcnt vmcnt(3)
	v_add_co_u32 v0, vcc_lo, v0, v133
	s_waitcnt vmcnt(2)
	v_add_co_ci_u32_e64 v1, null, v1, v134, vcc_lo
	s_waitcnt vmcnt(1)
	v_add_co_u32 v5, vcc_lo, v5, v133
	s_waitcnt vmcnt(0)
	v_add_co_ci_u32_e64 v6, null, v6, v134, vcc_lo
	global_load_dwordx2 v[253:254], v[0:1], off
	global_load_dwordx2 v[0:1], v[5:6], off
.LBB28_213:                             ;   in Loop: Header=BB28_146 Depth=1
	s_or_b32 exec_lo, exec_lo, s7
	ds_bpermute_b32 v5, v132, v137
	ds_bpermute_b32 v6, v132, v138
	ds_bpermute_b32 v141, v132, v137 offset:4
	ds_bpermute_b32 v142, v132, v138 offset:4
	s_mov_b32 s7, 0
	s_waitcnt lgkmcnt(2)
	v_add_f64 v[5:6], v[195:196], -v[5:6]
	s_clause 0x1
	buffer_load_dword v195, off, s[36:39], 0 offset:8
	buffer_load_dword v196, off, s[36:39], 0 offset:12
	s_waitcnt lgkmcnt(0)
	v_add_f64 v[141:142], v[207:208], -v[141:142]
	v_mov_b32_e32 v208, v192
	v_mov_b32_e32 v207, v191
	v_mul_f64 v[5:6], v[191:192], v[5:6]
	ds_bpermute_b32 v191, v132, v139
	ds_bpermute_b32 v192, v132, v140
	v_mul_f64 v[141:142], v[145:146], v[141:142]
	s_waitcnt vmcnt(0) lgkmcnt(0)
	v_fma_f64 v[5:6], v[5:6], v[191:192], v[195:196]
	ds_bpermute_b32 v191, v132, v139 offset:4
	ds_bpermute_b32 v192, v132, v140 offset:4
	s_waitcnt lgkmcnt(0)
	v_fma_f64 v[5:6], v[141:142], v[191:192], v[5:6]
	ds_bpermute_b32 v141, v132, v137 offset:8
	ds_bpermute_b32 v142, v132, v138 offset:8
	ds_bpermute_b32 v191, v132, v139 offset:8
	ds_bpermute_b32 v192, v132, v140 offset:8
	s_waitcnt lgkmcnt(2)
	v_add_f64 v[141:142], v[199:200], -v[141:142]
	v_mul_f64 v[141:142], v[143:144], v[141:142]
	s_waitcnt lgkmcnt(0)
	v_fma_f64 v[5:6], v[141:142], v[191:192], v[5:6]
	s_clause 0x1
	buffer_load_dword v191, off, s[36:39], 0 offset:500
	buffer_load_dword v192, off, s[36:39], 0 offset:504
	ds_bpermute_b32 v141, v132, v137 offset:12
	ds_bpermute_b32 v142, v132, v138 offset:12
	s_waitcnt vmcnt(0) lgkmcnt(0)
	v_add_f64 v[141:142], v[191:192], -v[141:142]
	ds_bpermute_b32 v191, v132, v139 offset:12
	ds_bpermute_b32 v192, v132, v140 offset:12
	v_mul_f64 v[141:142], v[149:150], v[141:142]
	s_waitcnt lgkmcnt(0)
	v_fma_f64 v[5:6], v[141:142], v[191:192], v[5:6]
	s_clause 0x5
	buffer_load_dword v141, off, s[36:39], 0
	buffer_load_dword v142, off, s[36:39], 0 offset:4
	buffer_load_dword v191, off, s[36:39], 0 offset:508
	;; [unrolled: 1-line block ×5, first 2 shown]
	s_waitcnt vmcnt(4)
	v_add_f64 v[141:142], v[141:142], v[207:208]
	v_add_f64 v[141:142], v[141:142], v[145:146]
	ds_bpermute_b32 v145, v132, v137 offset:16
	ds_bpermute_b32 v146, v132, v138 offset:16
	s_waitcnt lgkmcnt(0)
	v_add_f64 v[145:146], v[203:204], -v[145:146]
	v_add_f64 v[141:142], v[141:142], v[143:144]
	ds_bpermute_b32 v143, v132, v137 offset:20
	ds_bpermute_b32 v144, v132, v138 offset:20
	v_mul_f64 v[145:146], v[147:148], v[145:146]
	v_add_f64 v[141:142], v[141:142], v[149:150]
	s_waitcnt lgkmcnt(0)
	v_add_f64 v[143:144], v[211:212], -v[143:144]
	ds_bpermute_b32 v149, v132, v137 offset:24
	ds_bpermute_b32 v150, v132, v138 offset:24
	v_add_f64 v[141:142], v[141:142], v[147:148]
	s_waitcnt vmcnt(2) lgkmcnt(0)
	v_add_f64 v[149:150], v[191:192], -v[149:150]
	v_mul_f64 v[143:144], v[153:154], v[143:144]
	ds_bpermute_b32 v191, v132, v139 offset:16
	ds_bpermute_b32 v192, v132, v140 offset:16
	;; [unrolled: 1-line block ×4, first 2 shown]
	v_add_f64 v[141:142], v[141:142], v[153:154]
	s_clause 0x1
	buffer_load_dword v153, off, s[36:39], 0 offset:524
	buffer_load_dword v154, off, s[36:39], 0 offset:528
	v_mul_f64 v[149:150], v[151:152], v[149:150]
	s_waitcnt lgkmcnt(2)
	v_fma_f64 v[5:6], v[145:146], v[191:192], v[5:6]
	ds_bpermute_b32 v191, v132, v137 offset:32
	ds_bpermute_b32 v192, v132, v138 offset:32
	;; [unrolled: 1-line block ×4, first 2 shown]
	s_waitcnt vmcnt(2) lgkmcnt(4)
	v_add_f64 v[147:148], v[195:196], -v[147:148]
	v_add_f64 v[141:142], v[141:142], v[151:152]
	s_clause 0x1
	buffer_load_dword v151, off, s[36:39], 0 offset:532
	buffer_load_dword v152, off, s[36:39], 0 offset:536
	s_waitcnt lgkmcnt(0)
	v_fma_f64 v[5:6], v[143:144], v[145:146], v[5:6]
	ds_bpermute_b32 v145, v132, v137 offset:36
	ds_bpermute_b32 v146, v132, v138 offset:36
	;; [unrolled: 1-line block ×4, first 2 shown]
	v_mul_f64 v[147:148], v[161:162], v[147:148]
	v_add_f64 v[141:142], v[141:142], v[161:162]
	s_waitcnt lgkmcnt(0)
	v_fma_f64 v[5:6], v[149:150], v[143:144], v[5:6]
	ds_bpermute_b32 v149, v132, v137 offset:40
	ds_bpermute_b32 v150, v132, v138 offset:40
	;; [unrolled: 1-line block ×4, first 2 shown]
	v_add_f64 v[141:142], v[141:142], v[157:158]
	s_waitcnt lgkmcnt(0)
	v_fma_f64 v[5:6], v[147:148], v[143:144], v[5:6]
	ds_bpermute_b32 v147, v132, v137 offset:44
	ds_bpermute_b32 v148, v132, v138 offset:44
	;; [unrolled: 1-line block ×4, first 2 shown]
	v_add_f64 v[141:142], v[141:142], v[173:174]
	v_add_f64 v[141:142], v[141:142], v[167:168]
	;; [unrolled: 1-line block ×11, first 2 shown]
	s_waitcnt vmcnt(2)
	v_add_f64 v[153:154], v[153:154], -v[191:192]
	v_add_f64 v[141:142], v[141:142], v[209:210]
	s_waitcnt vmcnt(0)
	v_add_f64 v[145:146], v[151:152], -v[145:146]
	v_mul_f64 v[151:152], v[157:158], v[153:154]
	s_clause 0x1
	buffer_load_dword v153, off, s[36:39], 0 offset:540
	buffer_load_dword v154, off, s[36:39], 0 offset:544
	v_add_f64 v[141:142], v[141:142], v[221:222]
	v_mul_f64 v[145:146], v[173:174], v[145:146]
	s_waitcnt lgkmcnt(0)
	v_fma_f64 v[5:6], v[151:152], v[143:144], v[5:6]
	ds_bpermute_b32 v151, v132, v137 offset:48
	ds_bpermute_b32 v152, v132, v138 offset:48
	;; [unrolled: 1-line block ×4, first 2 shown]
	v_add_f64 v[141:142], v[141:142], v[217:218]
	s_waitcnt lgkmcnt(0)
	v_fma_f64 v[5:6], v[145:146], v[143:144], v[5:6]
	ds_bpermute_b32 v145, v132, v137 offset:52
	ds_bpermute_b32 v146, v132, v138 offset:52
	;; [unrolled: 1-line block ×4, first 2 shown]
	v_add_f64 v[141:142], v[141:142], v[229:230]
	v_add_f64 v[141:142], v[141:142], v[225:226]
	v_add_f64 v[141:142], v[141:142], v[237:238]
	v_add_f64 v[141:142], v[141:142], v[233:234]
	v_add_f64 v[141:142], v[141:142], v[245:246]
	v_add_f64 v[141:142], v[141:142], v[243:244]
	v_add_f64 v[141:142], v[141:142], v[159:160]
	s_waitcnt vmcnt(0)
	v_add_f64 v[149:150], v[153:154], -v[149:150]
	s_clause 0x1
	buffer_load_dword v153, off, s[36:39], 0 offset:548
	buffer_load_dword v154, off, s[36:39], 0 offset:552
	v_mul_f64 v[149:150], v[167:168], v[149:150]
	s_waitcnt lgkmcnt(0)
	v_fma_f64 v[5:6], v[149:150], v[143:144], v[5:6]
	ds_bpermute_b32 v149, v132, v137 offset:56
	ds_bpermute_b32 v150, v132, v138 offset:56
	ds_bpermute_b32 v143, v132, v139 offset:44
	ds_bpermute_b32 v144, v132, v140 offset:44
	s_waitcnt vmcnt(0)
	v_add_f64 v[147:148], v[153:154], -v[147:148]
	s_clause 0x1
	buffer_load_dword v153, off, s[36:39], 0 offset:556
	buffer_load_dword v154, off, s[36:39], 0 offset:560
	v_mul_f64 v[147:148], v[181:182], v[147:148]
	s_waitcnt lgkmcnt(0)
	v_fma_f64 v[5:6], v[147:148], v[143:144], v[5:6]
	ds_bpermute_b32 v147, v132, v137 offset:60
	ds_bpermute_b32 v148, v132, v138 offset:60
	ds_bpermute_b32 v143, v132, v139 offset:48
	ds_bpermute_b32 v144, v132, v140 offset:48
	;; [unrolled: 12-line block ×6, first 2 shown]
	s_waitcnt lgkmcnt(0)
	v_add_f64 v[147:148], v[227:228], -v[147:148]
	v_mul_f64 v[147:148], v[213:214], v[147:148]
	s_waitcnt vmcnt(0)
	v_add_f64 v[151:152], v[153:154], -v[151:152]
	s_clause 0x1
	buffer_load_dword v153, off, s[36:39], 0 offset:596
	buffer_load_dword v154, off, s[36:39], 0 offset:600
	v_mul_f64 v[151:152], v[193:194], v[151:152]
	v_fma_f64 v[5:6], v[151:152], v[143:144], v[5:6]
	ds_bpermute_b32 v143, v132, v139 offset:68
	ds_bpermute_b32 v144, v132, v140 offset:68
	;; [unrolled: 1-line block ×4, first 2 shown]
	s_waitcnt lgkmcnt(0)
	v_add_f64 v[151:152], v[231:232], -v[151:152]
	v_mul_f64 v[151:152], v[209:210], v[151:152]
	s_waitcnt vmcnt(0)
	v_add_f64 v[145:146], v[153:154], -v[145:146]
	s_clause 0x1
	buffer_load_dword v153, off, s[36:39], 0 offset:604
	buffer_load_dword v154, off, s[36:39], 0 offset:608
	v_mul_f64 v[145:146], v[205:206], v[145:146]
	v_fma_f64 v[5:6], v[145:146], v[143:144], v[5:6]
	ds_bpermute_b32 v143, v132, v139 offset:72
	ds_bpermute_b32 v144, v132, v140 offset:72
	;; [unrolled: 1-line block ×4, first 2 shown]
	s_waitcnt lgkmcnt(0)
	v_add_f64 v[145:146], v[235:236], -v[145:146]
	v_mul_f64 v[145:146], v[221:222], v[145:146]
	s_waitcnt vmcnt(0)
	v_add_f64 v[149:150], v[153:154], -v[149:150]
	v_mul_f64 v[149:150], v[201:202], v[149:150]
	v_fma_f64 v[5:6], v[149:150], v[143:144], v[5:6]
	ds_bpermute_b32 v143, v132, v139 offset:76
	ds_bpermute_b32 v144, v132, v140 offset:76
	ds_bpermute_b32 v149, v132, v137 offset:88
	ds_bpermute_b32 v150, v132, v138 offset:88
	s_waitcnt lgkmcnt(2)
	v_fma_f64 v[5:6], v[147:148], v[143:144], v[5:6]
	ds_bpermute_b32 v143, v132, v139 offset:80
	ds_bpermute_b32 v144, v132, v140 offset:80
	s_waitcnt lgkmcnt(2)
	v_add_f64 v[149:150], v[239:240], -v[149:150]
	ds_bpermute_b32 v147, v132, v137 offset:92
	ds_bpermute_b32 v148, v132, v138 offset:92
	s_waitcnt lgkmcnt(2)
	v_fma_f64 v[5:6], v[151:152], v[143:144], v[5:6]
	ds_bpermute_b32 v143, v132, v139 offset:84
	ds_bpermute_b32 v144, v132, v140 offset:84
	s_waitcnt lgkmcnt(2)
	v_add_f64 v[147:148], v[241:242], -v[147:148]
	v_mul_f64 v[149:150], v[217:218], v[149:150]
	ds_bpermute_b32 v151, v132, v137 offset:96
	ds_bpermute_b32 v152, v132, v138 offset:96
	s_waitcnt lgkmcnt(2)
	v_fma_f64 v[5:6], v[145:146], v[143:144], v[5:6]
	ds_bpermute_b32 v143, v132, v139 offset:88
	ds_bpermute_b32 v144, v132, v140 offset:88
	v_mul_f64 v[147:148], v[229:230], v[147:148]
	s_waitcnt lgkmcnt(2)
	v_add_f64 v[151:152], v[247:248], -v[151:152]
	ds_bpermute_b32 v145, v132, v137 offset:100
	ds_bpermute_b32 v146, v132, v138 offset:100
	s_waitcnt lgkmcnt(2)
	v_fma_f64 v[5:6], v[149:150], v[143:144], v[5:6]
	ds_bpermute_b32 v143, v132, v139 offset:92
	ds_bpermute_b32 v144, v132, v140 offset:92
	ds_bpermute_b32 v149, v132, v137 offset:104
	s_waitcnt lgkmcnt(3)
	v_add_f64 v[145:146], v[249:250], -v[145:146]
	v_mul_f64 v[151:152], v[225:226], v[151:152]
	ds_bpermute_b32 v150, v132, v138 offset:104
	s_waitcnt lgkmcnt(2)
	v_fma_f64 v[5:6], v[147:148], v[143:144], v[5:6]
	ds_bpermute_b32 v143, v132, v139 offset:96
	ds_bpermute_b32 v144, v132, v140 offset:96
	ds_bpermute_b32 v147, v132, v137 offset:108
	s_waitcnt lgkmcnt(3)
	v_add_f64 v[149:150], v[251:252], -v[149:150]
	v_mul_f64 v[145:146], v[237:238], v[145:146]
	;; [unrolled: 9-line block ×5, first 2 shown]
	ds_bpermute_b32 v150, v132, v138 offset:120
	ds_bpermute_b32 v137, v132, v137 offset:124
	;; [unrolled: 1-line block ×3, first 2 shown]
	s_waitcnt lgkmcnt(4)
	v_fma_f64 v[5:6], v[147:148], v[143:144], v[5:6]
	ds_bpermute_b32 v143, v132, v139 offset:112
	ds_bpermute_b32 v144, v132, v140 offset:112
	s_waitcnt lgkmcnt(4)
	v_add_f64 v[147:148], v[169:170], -v[149:150]
	v_mul_f64 v[145:146], v[159:160], v[145:146]
	s_waitcnt lgkmcnt(0)
	v_fma_f64 v[5:6], v[151:152], v[143:144], v[5:6]
	ds_bpermute_b32 v143, v132, v139 offset:116
	ds_bpermute_b32 v144, v132, v140 offset:116
	v_mul_f64 v[147:148], v[2:3], v[147:148]
	v_add_f64 v[2:3], v[141:142], v[2:3]
	s_waitcnt lgkmcnt(0)
	v_fma_f64 v[5:6], v[145:146], v[143:144], v[5:6]
	ds_bpermute_b32 v143, v132, v139 offset:120
	ds_bpermute_b32 v144, v132, v140 offset:120
	;; [unrolled: 1-line block ×4, first 2 shown]
	s_waitcnt lgkmcnt(2)
	v_fma_f64 v[159:160], v[147:148], v[143:144], v[5:6]
.LBB28_214:                             ;   in Loop: Header=BB28_146 Depth=1
	s_and_b32 vcc_lo, exec_lo, s7
	s_cbranch_vccz .LBB28_145
; %bb.215:                              ;   in Loop: Header=BB28_146 Depth=1
	s_load_dword s7, s[2:3], 0x0
	v_mov_b32_e32 v137, 0
	v_mov_b32_e32 v138, 0
	s_waitcnt lgkmcnt(0)
	s_cmp_lt_u32 s6, s7
	s_cselect_b32 s7, 12, 18
	s_add_u32 s24, s2, s7
	s_addc_u32 s25, s3, 0
	s_mov_b32 s7, exec_lo
	global_load_ushort v0, v132, s[24:25]
	s_clause 0x2
	buffer_load_dword v1, off, s[36:39], 0 offset:492
	buffer_load_dword v2, off, s[36:39], 0 offset:496
	;; [unrolled: 1-line block ×3, first 2 shown]
	s_waitcnt vmcnt(0)
	v_mad_u32_u24 v0, v1, v0, v2
	v_and_b32_e32 v0, 31, v0
	v_add_co_u32 v0, vcc_lo, v135, v0
	v_add_co_ci_u32_e64 v1, null, 0, v136, vcc_lo
	v_mov_b32_e32 v135, 0
	v_mov_b32_e32 v136, 0
	v_cmpx_gt_i64_e64 s[8:9], v[0:1]
	s_cbranch_execz .LBB28_144
; %bb.216:                              ;   in Loop: Header=BB28_146 Depth=1
	v_lshlrev_b64 v[0:1], 3, v[0:1]
	v_add_co_u32 v2, vcc_lo, s16, v0
	v_add_co_ci_u32_e64 v3, null, s17, v1, vcc_lo
	v_add_co_u32 v0, vcc_lo, s18, v0
	v_add_co_ci_u32_e64 v1, null, s19, v1, vcc_lo
	global_load_dwordx2 v[135:136], v[2:3], off
	global_load_dwordx2 v[137:138], v[0:1], off
	s_branch .LBB28_144
.LBB28_217:
	buffer_load_dword v0, off, s[36:39], 0 offset:48 ; 4-byte Folded Reload
	s_mov_b32 s7, 0
	s_mov_b32 s1, exec_lo
	s_lshl_b64 s[2:3], s[6:7], 6
	v_mov_b32_e32 v1, s3
	s_waitcnt vmcnt(0)
	v_or_b32_e32 v0, s2, v0
	v_cmpx_gt_i64_e64 s[10:11], v[0:1]
	s_cbranch_execz .LBB28_222
; %bb.218:
	s_clause 0x1
	s_load_dword s1, s[4:5], 0x4c
	s_load_dwordx4 s[4:7], s[4:5], 0x30
	s_clause 0x1
	buffer_load_dword v2, off, s[36:39], 0 offset:492
	buffer_load_dword v3, off, s[36:39], 0 offset:496
	s_waitcnt vmcnt(0)
	v_mov_b32_e32 v3, 0
	v_lshlrev_b64 v[0:1], 3, v[0:1]
	s_waitcnt lgkmcnt(0)
	s_lshr_b32 s1, s1, 16
	s_cmp_eq_u64 s[4:5], 0
	v_mad_u64_u32 v[2:3], null, s1, s0, v[2:3]
	v_mul_lo_u32 v3, v3, s10
	v_mul_lo_u32 v4, v2, s11
	s_cbranch_scc1 .LBB28_220
; %bb.219:
	s_clause 0x1
	buffer_load_dword v7, off, s[36:39], 0 offset:8
	buffer_load_dword v8, off, s[36:39], 0 offset:12
	v_mad_u64_u32 v[5:6], null, v2, s10, 0
	v_add3_u32 v6, v6, v4, v3
	v_lshlrev_b64 v[5:6], 3, v[5:6]
	v_add_co_u32 v5, vcc_lo, s4, v5
	v_add_co_ci_u32_e64 v6, null, s5, v6, vcc_lo
	v_add_co_u32 v5, vcc_lo, v5, v0
	v_add_co_ci_u32_e64 v6, null, v6, v1, vcc_lo
	s_waitcnt vmcnt(0)
	global_store_dwordx2 v[5:6], v[7:8], off
.LBB28_220:
	s_cmp_eq_u64 s[6:7], 0
	s_cbranch_scc1 .LBB28_222
; %bb.221:
	v_mad_u64_u32 v[5:6], null, v2, s10, 0
	v_add3_u32 v6, v6, v4, v3
	v_lshlrev_b64 v[2:3], 3, v[5:6]
	v_add_co_u32 v2, vcc_lo, s6, v2
	v_add_co_ci_u32_e64 v3, null, s7, v3, vcc_lo
	v_add_co_u32 v0, vcc_lo, v2, v0
	v_add_co_ci_u32_e64 v1, null, v3, v1, vcc_lo
	s_clause 0x1
	buffer_load_dword v2, off, s[36:39], 0
	buffer_load_dword v3, off, s[36:39], 0 offset:4
	s_waitcnt vmcnt(0)
	global_store_dwordx2 v[0:1], v[2:3], off
.LBB28_222:
	s_endpgm
	.section	.rodata,"a",@progbits
	.p2align	6, 0x0
	.amdhsa_kernel _ZN2at6native12_GLOBAL__N_135GammaBetaBackwardCUDAKernelTemplateIddLj64ELj1ELj32ELb1ELb0ELb0EEEvllPKT_S5_PKT0_S8_PS3_S9_
		.amdhsa_group_segment_fixed_size 0
		.amdhsa_private_segment_fixed_size 616
		.amdhsa_kernarg_size 320
		.amdhsa_user_sgpr_count 6
		.amdhsa_user_sgpr_private_segment_buffer 1
		.amdhsa_user_sgpr_dispatch_ptr 0
		.amdhsa_user_sgpr_queue_ptr 0
		.amdhsa_user_sgpr_kernarg_segment_ptr 1
		.amdhsa_user_sgpr_dispatch_id 0
		.amdhsa_user_sgpr_flat_scratch_init 0
		.amdhsa_user_sgpr_private_segment_size 0
		.amdhsa_wavefront_size32 1
		.amdhsa_uses_dynamic_stack 0
		.amdhsa_system_sgpr_private_segment_wavefront_offset 1
		.amdhsa_system_sgpr_workgroup_id_x 1
		.amdhsa_system_sgpr_workgroup_id_y 1
		.amdhsa_system_sgpr_workgroup_id_z 0
		.amdhsa_system_sgpr_workgroup_info 0
		.amdhsa_system_vgpr_workitem_id 1
		.amdhsa_next_free_vgpr 256
		.amdhsa_next_free_sgpr 40
		.amdhsa_reserve_vcc 1
		.amdhsa_reserve_flat_scratch 0
		.amdhsa_float_round_mode_32 0
		.amdhsa_float_round_mode_16_64 0
		.amdhsa_float_denorm_mode_32 3
		.amdhsa_float_denorm_mode_16_64 3
		.amdhsa_dx10_clamp 1
		.amdhsa_ieee_mode 1
		.amdhsa_fp16_overflow 0
		.amdhsa_workgroup_processor_mode 1
		.amdhsa_memory_ordered 1
		.amdhsa_forward_progress 1
		.amdhsa_shared_vgpr_count 0
		.amdhsa_exception_fp_ieee_invalid_op 0
		.amdhsa_exception_fp_denorm_src 0
		.amdhsa_exception_fp_ieee_div_zero 0
		.amdhsa_exception_fp_ieee_overflow 0
		.amdhsa_exception_fp_ieee_underflow 0
		.amdhsa_exception_fp_ieee_inexact 0
		.amdhsa_exception_int_div_zero 0
	.end_amdhsa_kernel
	.section	.text._ZN2at6native12_GLOBAL__N_135GammaBetaBackwardCUDAKernelTemplateIddLj64ELj1ELj32ELb1ELb0ELb0EEEvllPKT_S5_PKT0_S8_PS3_S9_,"axG",@progbits,_ZN2at6native12_GLOBAL__N_135GammaBetaBackwardCUDAKernelTemplateIddLj64ELj1ELj32ELb1ELb0ELb0EEEvllPKT_S5_PKT0_S8_PS3_S9_,comdat
.Lfunc_end28:
	.size	_ZN2at6native12_GLOBAL__N_135GammaBetaBackwardCUDAKernelTemplateIddLj64ELj1ELj32ELb1ELb0ELb0EEEvllPKT_S5_PKT0_S8_PS3_S9_, .Lfunc_end28-_ZN2at6native12_GLOBAL__N_135GammaBetaBackwardCUDAKernelTemplateIddLj64ELj1ELj32ELb1ELb0ELb0EEEvllPKT_S5_PKT0_S8_PS3_S9_
                                        ; -- End function
	.set _ZN2at6native12_GLOBAL__N_135GammaBetaBackwardCUDAKernelTemplateIddLj64ELj1ELj32ELb1ELb0ELb0EEEvllPKT_S5_PKT0_S8_PS3_S9_.num_vgpr, 256
	.set _ZN2at6native12_GLOBAL__N_135GammaBetaBackwardCUDAKernelTemplateIddLj64ELj1ELj32ELb1ELb0ELb0EEEvllPKT_S5_PKT0_S8_PS3_S9_.num_agpr, 0
	.set _ZN2at6native12_GLOBAL__N_135GammaBetaBackwardCUDAKernelTemplateIddLj64ELj1ELj32ELb1ELb0ELb0EEEvllPKT_S5_PKT0_S8_PS3_S9_.numbered_sgpr, 40
	.set _ZN2at6native12_GLOBAL__N_135GammaBetaBackwardCUDAKernelTemplateIddLj64ELj1ELj32ELb1ELb0ELb0EEEvllPKT_S5_PKT0_S8_PS3_S9_.num_named_barrier, 0
	.set _ZN2at6native12_GLOBAL__N_135GammaBetaBackwardCUDAKernelTemplateIddLj64ELj1ELj32ELb1ELb0ELb0EEEvllPKT_S5_PKT0_S8_PS3_S9_.private_seg_size, 616
	.set _ZN2at6native12_GLOBAL__N_135GammaBetaBackwardCUDAKernelTemplateIddLj64ELj1ELj32ELb1ELb0ELb0EEEvllPKT_S5_PKT0_S8_PS3_S9_.uses_vcc, 1
	.set _ZN2at6native12_GLOBAL__N_135GammaBetaBackwardCUDAKernelTemplateIddLj64ELj1ELj32ELb1ELb0ELb0EEEvllPKT_S5_PKT0_S8_PS3_S9_.uses_flat_scratch, 0
	.set _ZN2at6native12_GLOBAL__N_135GammaBetaBackwardCUDAKernelTemplateIddLj64ELj1ELj32ELb1ELb0ELb0EEEvllPKT_S5_PKT0_S8_PS3_S9_.has_dyn_sized_stack, 0
	.set _ZN2at6native12_GLOBAL__N_135GammaBetaBackwardCUDAKernelTemplateIddLj64ELj1ELj32ELb1ELb0ELb0EEEvllPKT_S5_PKT0_S8_PS3_S9_.has_recursion, 0
	.set _ZN2at6native12_GLOBAL__N_135GammaBetaBackwardCUDAKernelTemplateIddLj64ELj1ELj32ELb1ELb0ELb0EEEvllPKT_S5_PKT0_S8_PS3_S9_.has_indirect_call, 0
	.section	.AMDGPU.csdata,"",@progbits
; Kernel info:
; codeLenInByte = 38516
; TotalNumSgprs: 42
; NumVgprs: 256
; ScratchSize: 616
; MemoryBound: 0
; FloatMode: 240
; IeeeMode: 1
; LDSByteSize: 0 bytes/workgroup (compile time only)
; SGPRBlocks: 0
; VGPRBlocks: 31
; NumSGPRsForWavesPerEU: 42
; NumVGPRsForWavesPerEU: 256
; Occupancy: 4
; WaveLimiterHint : 0
; COMPUTE_PGM_RSRC2:SCRATCH_EN: 1
; COMPUTE_PGM_RSRC2:USER_SGPR: 6
; COMPUTE_PGM_RSRC2:TRAP_HANDLER: 0
; COMPUTE_PGM_RSRC2:TGID_X_EN: 1
; COMPUTE_PGM_RSRC2:TGID_Y_EN: 1
; COMPUTE_PGM_RSRC2:TGID_Z_EN: 0
; COMPUTE_PGM_RSRC2:TIDIG_COMP_CNT: 1
	.section	.text._ZN2at6native12_GLOBAL__N_135GammaBetaBackwardCUDAKernelTemplateIddLj64ELj1ELj8ELb1ELb1ELb0EEEvllPKT_S5_PKT0_S8_PS3_S9_,"axG",@progbits,_ZN2at6native12_GLOBAL__N_135GammaBetaBackwardCUDAKernelTemplateIddLj64ELj1ELj8ELb1ELb1ELb0EEEvllPKT_S5_PKT0_S8_PS3_S9_,comdat
	.globl	_ZN2at6native12_GLOBAL__N_135GammaBetaBackwardCUDAKernelTemplateIddLj64ELj1ELj8ELb1ELb1ELb0EEEvllPKT_S5_PKT0_S8_PS3_S9_ ; -- Begin function _ZN2at6native12_GLOBAL__N_135GammaBetaBackwardCUDAKernelTemplateIddLj64ELj1ELj8ELb1ELb1ELb0EEEvllPKT_S5_PKT0_S8_PS3_S9_
	.p2align	8
	.type	_ZN2at6native12_GLOBAL__N_135GammaBetaBackwardCUDAKernelTemplateIddLj64ELj1ELj8ELb1ELb1ELb0EEEvllPKT_S5_PKT0_S8_PS3_S9_,@function
_ZN2at6native12_GLOBAL__N_135GammaBetaBackwardCUDAKernelTemplateIddLj64ELj1ELj8ELb1ELb1ELb0EEEvllPKT_S5_PKT0_S8_PS3_S9_: ; @_ZN2at6native12_GLOBAL__N_135GammaBetaBackwardCUDAKernelTemplateIddLj64ELj1ELj8ELb1ELb1ELb0EEEvllPKT_S5_PKT0_S8_PS3_S9_
; %bb.0:
	s_load_dwordx4 s[16:19], s[4:5], 0x0
	s_lshl_b32 s2, s7, 3
	s_mov_b32 s3, 0
	s_waitcnt lgkmcnt(0)
	v_cmp_gt_i64_e64 s0, s[16:17], s[2:3]
	s_and_b32 vcc_lo, exec_lo, s0
	s_cbranch_vccnz .LBB29_2
; %bb.1:
	s_add_u32 s24, s4, 64
	s_addc_u32 s25, s5, 0
	s_mov_b32 s0, s3
	s_branch .LBB29_3
.LBB29_2:
	s_mov_b32 s0, -1
                                        ; implicit-def: $sgpr24_sgpr25
.LBB29_3:
	s_load_dwordx4 s[20:23], s[4:5], 0x30
	v_mov_b32_e32 v8, 0
	v_mov_b32_e32 v10, 0
	;; [unrolled: 1-line block ×4, first 2 shown]
	s_andn2_b32 vcc_lo, exec_lo, s0
	s_cbranch_vccnz .LBB29_10
; %bb.4:
	s_clause 0x2
	s_load_dword s0, s[4:5], 0x4c
	s_load_dword s1, s[4:5], 0x44
	s_load_dwordx8 s[8:15], s[4:5], 0x10
	v_lshlrev_b32_e32 v2, 3, v1
	s_add_u32 s24, s4, 64
	s_addc_u32 s25, s5, 0
	v_mov_b32_e32 v3, 0
	v_mov_b32_e32 v16, 8
	v_add_co_u32 v4, s4, v2, s2
	v_add_co_ci_u32_e64 v5, null, 0, 0, s4
	v_lshl_or_b32 v2, s6, 6, v0
	v_mul_lo_u32 v10, s19, v4
	v_mad_u64_u32 v[6:7], null, s18, v4, 0
	v_mul_lo_u32 v11, s18, v5
	v_mov_b32_e32 v17, 4
	v_mov_b32_e32 v18, 12
	;; [unrolled: 1-line block ×3, first 2 shown]
	s_waitcnt lgkmcnt(0)
	s_and_b32 s0, s0, 0xffff
	s_lshl_b32 s26, s1, 3
	v_mad_u32_u24 v8, v1, s0, v0
	s_mul_i32 s1, s19, s26
	v_add3_u32 v7, v7, v11, v10
	s_mul_hi_u32 s4, s18, s26
	v_mov_b32_e32 v20, 20
	v_and_b32_e32 v12, 31, v8
	v_lshlrev_b64 v[8:9], 3, v[2:3]
	v_lshlrev_b64 v[10:11], 3, v[6:7]
	v_mov_b32_e32 v21, 24
	v_mov_b32_e32 v22, 28
	v_add_co_u32 v4, vcc_lo, v4, v12
	v_add_co_ci_u32_e64 v5, null, 0, v5, vcc_lo
	v_add_co_u32 v2, vcc_lo, v10, v8
	v_add_co_ci_u32_e64 v23, null, v11, v9, vcc_lo
	v_lshlrev_b64 v[6:7], 3, v[4:5]
	v_mov_b32_e32 v10, 0
	v_mov_b32_e32 v8, 0
	v_cmp_gt_u32_e64 s0, 8, v12
	v_mov_b32_e32 v11, 0
	v_mov_b32_e32 v9, 0
	s_mov_b32 s27, 0
	s_add_i32 s29, s4, s1
	s_mul_i32 s28, s18, s26
	s_lshl_b64 s[4:5], s[26:27], 3
	s_lshl_b64 s[28:29], s[28:29], 3
	;; [unrolled: 1-line block ×3, first 2 shown]
	s_branch .LBB29_7
.LBB29_5:                               ;   in Loop: Header=BB29_7 Depth=1
	s_or_b32 exec_lo, exec_lo, s27
.LBB29_6:                               ;   in Loop: Header=BB29_7 Depth=1
	s_or_b32 exec_lo, exec_lo, s1
	v_add_co_u32 v24, vcc_lo, s10, v2
	v_add_co_ci_u32_e64 v25, null, s11, v23, vcc_lo
	v_add_co_u32 v28, vcc_lo, s8, v2
	v_add_co_ci_u32_e64 v29, null, s9, v23, vcc_lo
	global_load_dwordx2 v[26:27], v[24:25], off
	v_add_co_u32 v24, vcc_lo, v24, s30
	v_add_co_ci_u32_e64 v25, null, s31, v25, vcc_lo
	global_load_dwordx2 v[30:31], v[28:29], off
	global_load_dwordx2 v[32:33], v[24:25], off
	v_add_co_u32 v24, vcc_lo, v24, s30
	v_add_co_ci_u32_e64 v25, null, s31, v25, vcc_lo
	v_add_co_u32 v28, vcc_lo, v28, s30
	v_add_co_ci_u32_e64 v29, null, s31, v29, vcc_lo
	global_load_dwordx2 v[34:35], v[24:25], off
	global_load_dwordx2 v[36:37], v[28:29], off
	v_add_co_u32 v24, vcc_lo, v24, s30
	v_add_co_ci_u32_e64 v25, null, s31, v25, vcc_lo
	;; [unrolled: 6-line block ×7, first 2 shown]
	s_waitcnt vmcnt(16)
	ds_bpermute_b32 v56, v3, v14
	ds_bpermute_b32 v57, v3, v15
	s_waitcnt vmcnt(15)
	ds_bpermute_b32 v58, v3, v12
	global_load_dwordx2 v[28:29], v[28:29], off
	ds_bpermute_b32 v59, v3, v13
	s_add_u32 s2, s2, s26
	v_add_co_u32 v6, vcc_lo, v6, s4
	s_addc_u32 s3, s3, 0
	v_add_co_ci_u32_e64 v7, null, s5, v7, vcc_lo
	v_add_co_u32 v4, vcc_lo, v4, s26
	v_cmp_lt_i64_e64 s1, s[2:3], s[16:17]
	v_add_co_ci_u32_e64 v5, null, 0, v5, vcc_lo
	v_add_co_u32 v2, vcc_lo, v2, s28
	v_add_co_ci_u32_e64 v23, null, s29, v23, vcc_lo
	s_and_b32 vcc_lo, exec_lo, s1
	s_waitcnt vmcnt(15) lgkmcnt(2)
	v_add_f64 v[26:27], v[26:27], -v[56:57]
	ds_bpermute_b32 v56, v17, v14
	ds_bpermute_b32 v57, v17, v15
	s_waitcnt vmcnt(14)
	v_add_f64 v[8:9], v[8:9], v[30:31]
	s_waitcnt vmcnt(13) lgkmcnt(0)
	v_add_f64 v[32:33], v[32:33], -v[56:57]
	v_mul_f64 v[26:27], v[30:31], v[26:27]
	ds_bpermute_b32 v56, v16, v14
	ds_bpermute_b32 v57, v16, v15
	;; [unrolled: 1-line block ×4, first 2 shown]
	s_waitcnt vmcnt(11)
	v_add_f64 v[8:9], v[8:9], v[36:37]
	v_mul_f64 v[32:33], v[36:37], v[32:33]
	v_fma_f64 v[10:11], v[26:27], v[58:59], v[10:11]
	s_waitcnt lgkmcnt(2)
	v_add_f64 v[34:35], v[34:35], -v[56:57]
	ds_bpermute_b32 v26, v17, v12
	ds_bpermute_b32 v58, v18, v14
	;; [unrolled: 1-line block ×6, first 2 shown]
	s_waitcnt vmcnt(9)
	v_add_f64 v[8:9], v[8:9], v[40:41]
	v_mul_f64 v[34:35], v[40:41], v[34:35]
	s_waitcnt lgkmcnt(3)
	v_add_f64 v[38:39], v[38:39], -v[58:59]
	s_waitcnt lgkmcnt(2)
	v_fma_f64 v[10:11], v[32:33], v[26:27], v[10:11]
	ds_bpermute_b32 v26, v18, v12
	s_waitcnt vmcnt(8) lgkmcnt(1)
	v_add_f64 v[36:37], v[42:43], -v[56:57]
	ds_bpermute_b32 v32, v20, v14
	ds_bpermute_b32 v33, v20, v15
	;; [unrolled: 1-line block ×3, first 2 shown]
	s_waitcnt vmcnt(7)
	v_add_f64 v[8:9], v[8:9], v[44:45]
	v_mul_f64 v[38:39], v[44:45], v[38:39]
	v_fma_f64 v[10:11], v[34:35], v[30:31], v[10:11]
	ds_bpermute_b32 v30, v19, v12
	s_waitcnt vmcnt(6) lgkmcnt(2)
	v_add_f64 v[32:33], v[46:47], -v[32:33]
	s_waitcnt vmcnt(5)
	v_mul_f64 v[36:37], v[48:49], v[36:37]
	ds_bpermute_b32 v34, v21, v14
	ds_bpermute_b32 v35, v21, v15
	ds_bpermute_b32 v31, v19, v13
	v_add_f64 v[8:9], v[8:9], v[48:49]
	ds_bpermute_b32 v14, v22, v14
	ds_bpermute_b32 v15, v22, v15
	s_waitcnt lgkmcnt(6)
	v_fma_f64 v[10:11], v[38:39], v[26:27], v[10:11]
	ds_bpermute_b32 v26, v20, v12
	s_waitcnt vmcnt(3)
	v_mul_f64 v[32:33], v[52:53], v[32:33]
	s_waitcnt lgkmcnt(4)
	v_add_f64 v[34:35], v[50:51], -v[34:35]
	ds_bpermute_b32 v27, v20, v13
	s_waitcnt vmcnt(2) lgkmcnt(2)
	v_add_f64 v[14:15], v[24:25], -v[14:15]
	v_add_f64 v[8:9], v[8:9], v[52:53]
	v_fma_f64 v[10:11], v[36:37], v[30:31], v[10:11]
	ds_bpermute_b32 v30, v21, v12
	ds_bpermute_b32 v31, v21, v13
	s_waitcnt vmcnt(1)
	v_mul_f64 v[24:25], v[54:55], v[34:35]
	ds_bpermute_b32 v12, v22, v12
	ds_bpermute_b32 v13, v22, v13
	s_waitcnt vmcnt(0)
	v_mul_f64 v[14:15], v[28:29], v[14:15]
	v_add_f64 v[8:9], v[8:9], v[54:55]
	s_waitcnt lgkmcnt(4)
	v_fma_f64 v[10:11], v[32:33], v[26:27], v[10:11]
	v_add_f64 v[8:9], v[8:9], v[28:29]
	s_waitcnt lgkmcnt(2)
	v_fma_f64 v[10:11], v[24:25], v[30:31], v[10:11]
	s_waitcnt lgkmcnt(0)
	v_fma_f64 v[10:11], v[14:15], v[12:13], v[10:11]
	s_cbranch_vccz .LBB29_10
.LBB29_7:                               ; =>This Inner Loop Header: Depth=1
	v_mov_b32_e32 v12, 0
	v_mov_b32_e32 v14, 0
	;; [unrolled: 1-line block ×4, first 2 shown]
	s_and_saveexec_b32 s1, s0
	s_cbranch_execz .LBB29_6
; %bb.8:                                ;   in Loop: Header=BB29_7 Depth=1
	v_mov_b32_e32 v14, 0
	v_mov_b32_e32 v12, 0
	;; [unrolled: 1-line block ×4, first 2 shown]
	s_mov_b32 s27, exec_lo
	v_cmpx_gt_i64_e64 s[16:17], v[4:5]
	s_cbranch_execz .LBB29_5
; %bb.9:                                ;   in Loop: Header=BB29_7 Depth=1
	v_add_co_u32 v12, vcc_lo, s12, v6
	v_add_co_ci_u32_e64 v13, null, s13, v7, vcc_lo
	v_add_co_u32 v24, vcc_lo, s14, v6
	v_add_co_ci_u32_e64 v25, null, s15, v7, vcc_lo
	global_load_dwordx2 v[14:15], v[12:13], off
	global_load_dwordx2 v[12:13], v[24:25], off
	s_branch .LBB29_5
.LBB29_10:
	s_load_dword s0, s[24:25], 0xc
	v_mov_b32_e32 v2, 0
	s_waitcnt lgkmcnt(0)
	s_lshr_b32 s0, s0, 16
	v_mad_u64_u32 v[1:2], null, s0, s7, v[1:2]
	s_mov_b32 s7, 0
	s_lshl_b64 s[0:1], s[6:7], 6
	s_cmp_eq_u64 s[20:21], 0
	v_or_b32_e32 v5, s0, v0
	v_mov_b32_e32 v6, s1
	v_mul_lo_u32 v0, v2, s18
	v_mul_lo_u32 v4, v1, s19
	v_lshlrev_b64 v[2:3], 3, v[5:6]
	s_cbranch_scc1 .LBB29_12
; %bb.11:
	v_mad_u64_u32 v[5:6], null, v1, s18, 0
	v_add3_u32 v6, v6, v4, v0
	v_lshlrev_b64 v[5:6], 3, v[5:6]
	v_add_co_u32 v5, vcc_lo, s20, v5
	v_add_co_ci_u32_e64 v6, null, s21, v6, vcc_lo
	v_add_co_u32 v5, vcc_lo, v5, v2
	v_add_co_ci_u32_e64 v6, null, v6, v3, vcc_lo
	global_store_dwordx2 v[5:6], v[10:11], off
.LBB29_12:
	s_cmp_eq_u64 s[22:23], 0
	s_cbranch_scc1 .LBB29_14
; %bb.13:
	v_mad_u64_u32 v[5:6], null, v1, s18, 0
	v_add3_u32 v6, v6, v4, v0
	v_lshlrev_b64 v[0:1], 3, v[5:6]
	v_add_co_u32 v0, vcc_lo, s22, v0
	v_add_co_ci_u32_e64 v1, null, s23, v1, vcc_lo
	v_add_co_u32 v0, vcc_lo, v0, v2
	v_add_co_ci_u32_e64 v1, null, v1, v3, vcc_lo
	global_store_dwordx2 v[0:1], v[8:9], off
.LBB29_14:
	s_endpgm
	.section	.rodata,"a",@progbits
	.p2align	6, 0x0
	.amdhsa_kernel _ZN2at6native12_GLOBAL__N_135GammaBetaBackwardCUDAKernelTemplateIddLj64ELj1ELj8ELb1ELb1ELb0EEEvllPKT_S5_PKT0_S8_PS3_S9_
		.amdhsa_group_segment_fixed_size 0
		.amdhsa_private_segment_fixed_size 0
		.amdhsa_kernarg_size 320
		.amdhsa_user_sgpr_count 6
		.amdhsa_user_sgpr_private_segment_buffer 1
		.amdhsa_user_sgpr_dispatch_ptr 0
		.amdhsa_user_sgpr_queue_ptr 0
		.amdhsa_user_sgpr_kernarg_segment_ptr 1
		.amdhsa_user_sgpr_dispatch_id 0
		.amdhsa_user_sgpr_flat_scratch_init 0
		.amdhsa_user_sgpr_private_segment_size 0
		.amdhsa_wavefront_size32 1
		.amdhsa_uses_dynamic_stack 0
		.amdhsa_system_sgpr_private_segment_wavefront_offset 0
		.amdhsa_system_sgpr_workgroup_id_x 1
		.amdhsa_system_sgpr_workgroup_id_y 1
		.amdhsa_system_sgpr_workgroup_id_z 0
		.amdhsa_system_sgpr_workgroup_info 0
		.amdhsa_system_vgpr_workitem_id 1
		.amdhsa_next_free_vgpr 60
		.amdhsa_next_free_sgpr 32
		.amdhsa_reserve_vcc 1
		.amdhsa_reserve_flat_scratch 0
		.amdhsa_float_round_mode_32 0
		.amdhsa_float_round_mode_16_64 0
		.amdhsa_float_denorm_mode_32 3
		.amdhsa_float_denorm_mode_16_64 3
		.amdhsa_dx10_clamp 1
		.amdhsa_ieee_mode 1
		.amdhsa_fp16_overflow 0
		.amdhsa_workgroup_processor_mode 1
		.amdhsa_memory_ordered 1
		.amdhsa_forward_progress 1
		.amdhsa_shared_vgpr_count 0
		.amdhsa_exception_fp_ieee_invalid_op 0
		.amdhsa_exception_fp_denorm_src 0
		.amdhsa_exception_fp_ieee_div_zero 0
		.amdhsa_exception_fp_ieee_overflow 0
		.amdhsa_exception_fp_ieee_underflow 0
		.amdhsa_exception_fp_ieee_inexact 0
		.amdhsa_exception_int_div_zero 0
	.end_amdhsa_kernel
	.section	.text._ZN2at6native12_GLOBAL__N_135GammaBetaBackwardCUDAKernelTemplateIddLj64ELj1ELj8ELb1ELb1ELb0EEEvllPKT_S5_PKT0_S8_PS3_S9_,"axG",@progbits,_ZN2at6native12_GLOBAL__N_135GammaBetaBackwardCUDAKernelTemplateIddLj64ELj1ELj8ELb1ELb1ELb0EEEvllPKT_S5_PKT0_S8_PS3_S9_,comdat
.Lfunc_end29:
	.size	_ZN2at6native12_GLOBAL__N_135GammaBetaBackwardCUDAKernelTemplateIddLj64ELj1ELj8ELb1ELb1ELb0EEEvllPKT_S5_PKT0_S8_PS3_S9_, .Lfunc_end29-_ZN2at6native12_GLOBAL__N_135GammaBetaBackwardCUDAKernelTemplateIddLj64ELj1ELj8ELb1ELb1ELb0EEEvllPKT_S5_PKT0_S8_PS3_S9_
                                        ; -- End function
	.set _ZN2at6native12_GLOBAL__N_135GammaBetaBackwardCUDAKernelTemplateIddLj64ELj1ELj8ELb1ELb1ELb0EEEvllPKT_S5_PKT0_S8_PS3_S9_.num_vgpr, 60
	.set _ZN2at6native12_GLOBAL__N_135GammaBetaBackwardCUDAKernelTemplateIddLj64ELj1ELj8ELb1ELb1ELb0EEEvllPKT_S5_PKT0_S8_PS3_S9_.num_agpr, 0
	.set _ZN2at6native12_GLOBAL__N_135GammaBetaBackwardCUDAKernelTemplateIddLj64ELj1ELj8ELb1ELb1ELb0EEEvllPKT_S5_PKT0_S8_PS3_S9_.numbered_sgpr, 32
	.set _ZN2at6native12_GLOBAL__N_135GammaBetaBackwardCUDAKernelTemplateIddLj64ELj1ELj8ELb1ELb1ELb0EEEvllPKT_S5_PKT0_S8_PS3_S9_.num_named_barrier, 0
	.set _ZN2at6native12_GLOBAL__N_135GammaBetaBackwardCUDAKernelTemplateIddLj64ELj1ELj8ELb1ELb1ELb0EEEvllPKT_S5_PKT0_S8_PS3_S9_.private_seg_size, 0
	.set _ZN2at6native12_GLOBAL__N_135GammaBetaBackwardCUDAKernelTemplateIddLj64ELj1ELj8ELb1ELb1ELb0EEEvllPKT_S5_PKT0_S8_PS3_S9_.uses_vcc, 1
	.set _ZN2at6native12_GLOBAL__N_135GammaBetaBackwardCUDAKernelTemplateIddLj64ELj1ELj8ELb1ELb1ELb0EEEvllPKT_S5_PKT0_S8_PS3_S9_.uses_flat_scratch, 0
	.set _ZN2at6native12_GLOBAL__N_135GammaBetaBackwardCUDAKernelTemplateIddLj64ELj1ELj8ELb1ELb1ELb0EEEvllPKT_S5_PKT0_S8_PS3_S9_.has_dyn_sized_stack, 0
	.set _ZN2at6native12_GLOBAL__N_135GammaBetaBackwardCUDAKernelTemplateIddLj64ELj1ELj8ELb1ELb1ELb0EEEvllPKT_S5_PKT0_S8_PS3_S9_.has_recursion, 0
	.set _ZN2at6native12_GLOBAL__N_135GammaBetaBackwardCUDAKernelTemplateIddLj64ELj1ELj8ELb1ELb1ELb0EEEvllPKT_S5_PKT0_S8_PS3_S9_.has_indirect_call, 0
	.section	.AMDGPU.csdata,"",@progbits
; Kernel info:
; codeLenInByte = 1752
; TotalNumSgprs: 34
; NumVgprs: 60
; ScratchSize: 0
; MemoryBound: 0
; FloatMode: 240
; IeeeMode: 1
; LDSByteSize: 0 bytes/workgroup (compile time only)
; SGPRBlocks: 0
; VGPRBlocks: 7
; NumSGPRsForWavesPerEU: 34
; NumVGPRsForWavesPerEU: 60
; Occupancy: 16
; WaveLimiterHint : 0
; COMPUTE_PGM_RSRC2:SCRATCH_EN: 0
; COMPUTE_PGM_RSRC2:USER_SGPR: 6
; COMPUTE_PGM_RSRC2:TRAP_HANDLER: 0
; COMPUTE_PGM_RSRC2:TGID_X_EN: 1
; COMPUTE_PGM_RSRC2:TGID_Y_EN: 1
; COMPUTE_PGM_RSRC2:TGID_Z_EN: 0
; COMPUTE_PGM_RSRC2:TIDIG_COMP_CNT: 1
	.section	.text._ZN2at6native12_GLOBAL__N_135GammaBetaBackwardCUDAKernelTemplateIddLj64ELj1ELj8ELb1ELb0ELb0EEEvllPKT_S5_PKT0_S8_PS3_S9_,"axG",@progbits,_ZN2at6native12_GLOBAL__N_135GammaBetaBackwardCUDAKernelTemplateIddLj64ELj1ELj8ELb1ELb0ELb0EEEvllPKT_S5_PKT0_S8_PS3_S9_,comdat
	.globl	_ZN2at6native12_GLOBAL__N_135GammaBetaBackwardCUDAKernelTemplateIddLj64ELj1ELj8ELb1ELb0ELb0EEEvllPKT_S5_PKT0_S8_PS3_S9_ ; -- Begin function _ZN2at6native12_GLOBAL__N_135GammaBetaBackwardCUDAKernelTemplateIddLj64ELj1ELj8ELb1ELb0ELb0EEEvllPKT_S5_PKT0_S8_PS3_S9_
	.p2align	8
	.type	_ZN2at6native12_GLOBAL__N_135GammaBetaBackwardCUDAKernelTemplateIddLj64ELj1ELj8ELb1ELb0ELb0EEEvllPKT_S5_PKT0_S8_PS3_S9_,@function
_ZN2at6native12_GLOBAL__N_135GammaBetaBackwardCUDAKernelTemplateIddLj64ELj1ELj8ELb1ELb0ELb0EEEvllPKT_S5_PKT0_S8_PS3_S9_: ; @_ZN2at6native12_GLOBAL__N_135GammaBetaBackwardCUDAKernelTemplateIddLj64ELj1ELj8ELb1ELb0ELb0EEEvllPKT_S5_PKT0_S8_PS3_S9_
; %bb.0:
	s_clause 0x1
	s_load_dwordx8 s[8:15], s[4:5], 0x0
	s_load_dwordx4 s[16:19], s[4:5], 0x20
	s_mov_b32 s0, s7
	s_lshl_b32 s7, s6, 6
	s_mov_b32 s21, 0
	s_or_b32 s20, s7, 63
	s_waitcnt lgkmcnt(0)
	v_cmp_le_i64_e64 s1, s[10:11], s[20:21]
	s_lshl_b32 s20, s0, 3
	v_cmp_gt_i64_e64 s28, s[8:9], s[20:21]
	s_and_b32 vcc_lo, exec_lo, s1
	v_cndmask_b32_e64 v2, 0, 1, s28
	v_cmp_ne_u32_e64 s1, 1, v2
	s_cbranch_vccz .LBB30_48
; %bb.1:
	v_mov_b32_e32 v35, 0
	v_mov_b32_e32 v37, 0
	;; [unrolled: 1-line block ×4, first 2 shown]
	s_and_b32 vcc_lo, exec_lo, s1
	s_cbranch_vccnz .LBB30_49
; %bb.2:
	v_lshlrev_b32_e32 v47, 3, v1
	v_mov_b32_e32 v2, 0
	v_add_nc_u32_e32 v3, s7, v0
	s_load_dword s2, s[4:5], 0x44
	s_add_u32 s22, s4, 64
	v_add_co_u32 v11, s1, v47, s20
	v_add_co_ci_u32_e64 v12, null, 0, 0, s1
	v_mov_b32_e32 v4, v2
	v_mul_lo_u32 v7, s11, v11
	v_mad_u64_u32 v[5:6], null, s10, v11, 0
	v_mul_lo_u32 v8, s10, v12
	v_cmp_gt_i64_e64 s1, s[10:11], v[3:4]
	v_lshlrev_b64 v[39:40], 3, v[3:4]
	s_addc_u32 s23, s5, 0
	v_mov_b32_e32 v37, 0
	v_mov_b32_e32 v35, 0
	;; [unrolled: 1-line block ×4, first 2 shown]
	v_add3_u32 v6, v6, v8, v7
	v_add_co_u32 v7, vcc_lo, v11, 7
	v_add_co_ci_u32_e64 v8, null, 0, v12, vcc_lo
	v_add_co_u32 v9, vcc_lo, v11, 6
	v_add_co_ci_u32_e64 v10, null, 0, v12, vcc_lo
	v_lshlrev_b64 v[3:4], 3, v[5:6]
	v_mul_lo_u32 v13, s11, v7
	v_mul_lo_u32 v14, s10, v8
	v_mad_u64_u32 v[7:8], null, s10, v7, 0
	v_mul_lo_u32 v15, s11, v9
	v_mul_lo_u32 v16, s10, v10
	v_mad_u64_u32 v[9:10], null, s10, v9, 0
	v_add_co_u32 v49, vcc_lo, s12, v3
	v_add_co_ci_u32_e64 v50, null, s13, v4, vcc_lo
	v_add_co_u32 v51, vcc_lo, s14, v3
	v_add3_u32 v8, v8, v14, v13
	v_add_co_ci_u32_e64 v52, null, s15, v4, vcc_lo
	v_add_co_u32 v13, vcc_lo, v11, 5
	v_add3_u32 v10, v10, v16, v15
	v_add_co_ci_u32_e64 v14, null, 0, v12, vcc_lo
	v_lshlrev_b64 v[3:4], 3, v[7:8]
	v_mul_lo_u32 v15, s11, v13
	v_lshlrev_b64 v[7:8], 3, v[9:10]
	v_mul_lo_u32 v14, s10, v14
	v_mad_u64_u32 v[9:10], null, s10, v13, 0
	v_add_co_u32 v53, vcc_lo, s12, v3
	v_add_co_ci_u32_e64 v54, null, s13, v4, vcc_lo
	v_add_co_u32 v55, vcc_lo, s14, v3
	s_waitcnt lgkmcnt(0)
	s_lshl_b32 s29, s2, 3
	v_add_co_ci_u32_e64 v56, null, s15, v4, vcc_lo
	v_add_co_u32 v57, vcc_lo, s12, v7
	v_add3_u32 v10, v10, v14, v15
	s_mul_i32 s2, s11, s29
	s_mul_hi_u32 s3, s10, s29
	v_add_co_ci_u32_e64 v58, null, s13, v8, vcc_lo
	v_add_co_u32 v13, vcc_lo, v11, 4
	s_add_i32 s25, s3, s2
	v_add_co_u32 v59, s2, s14, v7
	v_add_co_ci_u32_e64 v7, null, 0, v12, vcc_lo
	v_lshlrev_b64 v[3:4], 3, v[9:10]
	v_add_co_u32 v9, vcc_lo, v11, 3
	v_add_co_ci_u32_e64 v10, null, 0, v12, vcc_lo
	v_add_co_ci_u32_e64 v60, null, s15, v8, s2
	v_mul_lo_u32 v14, s11, v13
	v_mul_lo_u32 v15, s10, v7
	v_mad_u64_u32 v[7:8], null, s10, v13, 0
	v_mul_lo_u32 v13, s11, v9
	v_mul_lo_u32 v16, s10, v10
	v_mad_u64_u32 v[9:10], null, s10, v9, 0
	v_add_co_u32 v61, vcc_lo, s12, v3
	v_add_co_ci_u32_e64 v62, null, s13, v4, vcc_lo
	v_add3_u32 v8, v8, v15, v14
	v_add_co_u32 v63, vcc_lo, s14, v3
	v_add_co_ci_u32_e64 v64, null, s15, v4, vcc_lo
	v_add_co_u32 v11, vcc_lo, v11, 2
	v_add3_u32 v10, v10, v16, v13
	v_add_co_ci_u32_e64 v12, null, 0, v12, vcc_lo
	v_lshlrev_b64 v[3:4], 3, v[7:8]
	v_mul_lo_u32 v13, s11, v11
	v_lshlrev_b64 v[7:8], 3, v[9:10]
	v_mul_lo_u32 v12, s10, v12
	v_mad_u64_u32 v[9:10], null, s10, v11, 0
	v_add_co_u32 v65, vcc_lo, s12, v3
	v_add_co_ci_u32_e64 v66, null, s13, v4, vcc_lo
	v_add_co_u32 v67, vcc_lo, s14, v3
	v_add_co_ci_u32_e64 v68, null, s15, v4, vcc_lo
	;; [unrolled: 2-line block ×3, first 2 shown]
	v_add3_u32 v10, v10, v12, v13
	v_add_co_u32 v71, vcc_lo, s14, v7
	v_add_co_ci_u32_e64 v72, null, s15, v8, vcc_lo
	v_add_co_u32 v5, vcc_lo, v5, s10
	v_add_co_ci_u32_e64 v6, null, s11, v6, vcc_lo
	v_lshlrev_b64 v[3:4], 3, v[9:10]
	v_mov_b32_e32 v36, 0
	s_mul_i32 s24, s10, s29
	v_lshlrev_b64 v[5:6], 3, v[5:6]
	s_lshl_b64 s[2:3], s[24:25], 3
	s_mov_b64 s[24:25], 7
	v_add_co_u32 v73, vcc_lo, s12, v3
	v_add_co_ci_u32_e64 v74, null, s13, v4, vcc_lo
	v_add_co_u32 v75, vcc_lo, s14, v3
	v_add_co_ci_u32_e64 v76, null, s15, v4, vcc_lo
	;; [unrolled: 2-line block ×4, first 2 shown]
	s_mov_b64 s[26:27], s[20:21]
	s_branch .LBB30_5
.LBB30_3:                               ;   in Loop: Header=BB30_5 Depth=1
	s_or_b32 exec_lo, exec_lo, s30
	s_waitcnt vmcnt(1)
	ds_bpermute_b32 v41, v2, v43
	ds_bpermute_b32 v42, v2, v44
	ds_bpermute_b32 v81, v2, v43 offset:4
	ds_bpermute_b32 v82, v2, v44 offset:4
	s_waitcnt vmcnt(0) lgkmcnt(2)
	v_add_f64 v[19:20], v[19:20], -v[41:42]
	ds_bpermute_b32 v41, v2, v43 offset:8
	s_waitcnt lgkmcnt(1)
	v_add_f64 v[21:22], v[21:22], -v[81:82]
	ds_bpermute_b32 v42, v2, v44 offset:8
	ds_bpermute_b32 v81, v2, v45
	ds_bpermute_b32 v82, v2, v46
	v_mul_f64 v[19:20], v[3:4], v[19:20]
	v_add_f64 v[3:4], v[35:36], v[3:4]
	s_waitcnt lgkmcnt(2)
	v_add_f64 v[23:24], v[23:24], -v[41:42]
	v_mul_f64 v[21:22], v[5:6], v[21:22]
	ds_bpermute_b32 v35, v2, v43 offset:12
	ds_bpermute_b32 v36, v2, v44 offset:12
	;; [unrolled: 1-line block ×4, first 2 shown]
	s_waitcnt lgkmcnt(4)
	v_fma_f64 v[19:20], v[19:20], v[81:82], v[37:38]
	ds_bpermute_b32 v37, v2, v45 offset:4
	ds_bpermute_b32 v38, v2, v46 offset:4
	s_waitcnt lgkmcnt(4)
	v_add_f64 v[25:26], v[25:26], -v[35:36]
	v_add_f64 v[3:4], v[5:6], v[3:4]
	v_mul_f64 v[5:6], v[7:8], v[23:24]
	s_waitcnt lgkmcnt(2)
	v_add_f64 v[27:28], v[27:28], -v[41:42]
	ds_bpermute_b32 v23, v2, v43 offset:20
	ds_bpermute_b32 v24, v2, v44 offset:20
	s_waitcnt lgkmcnt(2)
	v_fma_f64 v[19:20], v[21:22], v[37:38], v[19:20]
	ds_bpermute_b32 v21, v2, v45 offset:8
	ds_bpermute_b32 v22, v2, v46 offset:8
	v_mul_f64 v[25:26], v[9:10], v[25:26]
	v_add_f64 v[3:4], v[7:8], v[3:4]
	ds_bpermute_b32 v7, v2, v45 offset:12
	ds_bpermute_b32 v8, v2, v46 offset:12
	s_waitcnt lgkmcnt(2)
	v_fma_f64 v[5:6], v[5:6], v[21:22], v[19:20]
	v_add_f64 v[21:22], v[29:30], -v[23:24]
	v_mul_f64 v[23:24], v[11:12], v[27:28]
	ds_bpermute_b32 v19, v2, v43 offset:24
	v_add_f64 v[3:4], v[9:10], v[3:4]
	ds_bpermute_b32 v20, v2, v44 offset:24
	s_waitcnt lgkmcnt(2)
	v_fma_f64 v[5:6], v[25:26], v[7:8], v[5:6]
	ds_bpermute_b32 v7, v2, v45 offset:16
	ds_bpermute_b32 v8, v2, v46 offset:16
	s_waitcnt lgkmcnt(2)
	v_add_f64 v[9:10], v[31:32], -v[19:20]
	v_mul_f64 v[19:20], v[13:14], v[21:22]
	v_add_f64 v[3:4], v[11:12], v[3:4]
	ds_bpermute_b32 v11, v2, v45 offset:24
	ds_bpermute_b32 v12, v2, v46 offset:24
	s_waitcnt lgkmcnt(2)
	v_fma_f64 v[5:6], v[23:24], v[7:8], v[5:6]
	ds_bpermute_b32 v7, v2, v45 offset:20
	ds_bpermute_b32 v8, v2, v46 offset:20
	v_mul_f64 v[9:10], v[15:16], v[9:10]
	ds_bpermute_b32 v45, v2, v45 offset:28
	v_add_f64 v[3:4], v[13:14], v[3:4]
	ds_bpermute_b32 v46, v2, v46 offset:28
	s_waitcnt lgkmcnt(2)
	v_fma_f64 v[7:8], v[19:20], v[7:8], v[5:6]
	v_add_f64 v[5:6], v[15:16], v[3:4]
	v_fma_f64 v[3:4], v[9:10], v[11:12], v[7:8]
	ds_bpermute_b32 v7, v2, v43 offset:28
	ds_bpermute_b32 v8, v2, v44 offset:28
.LBB30_4:                               ;   in Loop: Header=BB30_5 Depth=1
	s_waitcnt lgkmcnt(0)
	v_add_f64 v[7:8], v[33:34], -v[7:8]
	v_add_f64 v[35:36], v[5:6], v[17:18]
	v_add_co_u32 v49, vcc_lo, v49, s2
	v_add_co_ci_u32_e64 v50, null, s3, v50, vcc_lo
	v_add_co_u32 v51, vcc_lo, v51, s2
	v_add_co_ci_u32_e64 v52, null, s3, v52, vcc_lo
	;; [unrolled: 2-line block ×5, first 2 shown]
	v_mul_f64 v[5:6], v[17:18], v[7:8]
	v_add_co_u32 v59, vcc_lo, v59, s2
	v_add_co_ci_u32_e64 v60, null, s3, v60, vcc_lo
	v_add_co_u32 v61, vcc_lo, v61, s2
	v_add_co_ci_u32_e64 v62, null, s3, v62, vcc_lo
	;; [unrolled: 2-line block ×5, first 2 shown]
	v_add_co_u32 v69, vcc_lo, v69, s2
	v_fma_f64 v[37:38], v[5:6], v[45:46], v[3:4]
	v_add_co_ci_u32_e64 v70, null, s3, v70, vcc_lo
	v_add_co_u32 v71, vcc_lo, v71, s2
	v_add_co_ci_u32_e64 v72, null, s3, v72, vcc_lo
	v_add_co_u32 v73, vcc_lo, v73, s2
	;; [unrolled: 2-line block ×3, first 2 shown]
	s_add_u32 s26, s26, s29
	v_add_co_ci_u32_e64 v76, null, s3, v76, vcc_lo
	v_add_co_u32 v77, vcc_lo, v77, s2
	s_addc_u32 s27, s27, 0
	v_add_co_ci_u32_e64 v78, null, s3, v78, vcc_lo
	v_add_co_u32 v79, vcc_lo, v79, s2
	v_cmp_lt_i64_e64 s30, s[26:27], s[8:9]
	v_add_co_ci_u32_e64 v80, null, s3, v80, vcc_lo
	v_add_co_u32 v47, vcc_lo, v47, s29
	v_add_co_ci_u32_e64 v48, null, 0, v48, vcc_lo
	s_add_u32 s24, s24, s29
	s_addc_u32 s25, 0, s25
	s_and_b32 vcc_lo, exec_lo, s30
	s_cbranch_vccz .LBB30_49
.LBB30_5:                               ; =>This Inner Loop Header: Depth=1
	s_add_u32 s30, s20, s24
	s_addc_u32 s31, 0, s25
	v_add_co_u32 v41, vcc_lo, s20, v47
	v_cmp_ge_i64_e64 s30, s[30:31], s[8:9]
	v_add_co_ci_u32_e64 v42, null, 0, v48, vcc_lo
                                        ; implicit-def: $vgpr3_vgpr4_vgpr5_vgpr6_vgpr7_vgpr8_vgpr9_vgpr10_vgpr11_vgpr12_vgpr13_vgpr14_vgpr15_vgpr16_vgpr17_vgpr18
                                        ; implicit-def: $vgpr45_vgpr46
                                        ; implicit-def: $vgpr19_vgpr20_vgpr21_vgpr22_vgpr23_vgpr24_vgpr25_vgpr26_vgpr27_vgpr28_vgpr29_vgpr30_vgpr31_vgpr32_vgpr33_vgpr34
                                        ; implicit-def: $vgpr7
                                        ; implicit-def: $vgpr5_vgpr6
                                        ; implicit-def: $vgpr3_vgpr4
	s_and_b32 vcc_lo, exec_lo, s30
	s_mov_b32 s30, -1
	s_cbranch_vccz .LBB30_27
; %bb.6:                                ;   in Loop: Header=BB30_5 Depth=1
	s_load_dword s30, s[22:23], 0xc
	v_mov_b32_e32 v45, 0
	v_mov_b32_e32 v43, 0
	;; [unrolled: 1-line block ×4, first 2 shown]
	s_waitcnt lgkmcnt(0)
	s_and_b32 s30, s30, 0xffff
	v_mad_u32_u24 v3, v1, s30, v0
	s_mov_b32 s30, exec_lo
	v_and_b32_e32 v3, 31, v3
	v_cmpx_gt_u32_e32 8, v3
	s_cbranch_execz .LBB30_10
; %bb.7:                                ;   in Loop: Header=BB30_5 Depth=1
	v_add_co_u32 v3, vcc_lo, v41, v3
	v_mov_b32_e32 v43, 0
	v_mov_b32_e32 v45, 0
	v_add_co_ci_u32_e64 v4, null, 0, v42, vcc_lo
	v_mov_b32_e32 v44, 0
	v_mov_b32_e32 v46, 0
	s_mov_b32 s31, exec_lo
	v_cmpx_gt_i64_e64 s[8:9], v[3:4]
	s_cbranch_execz .LBB30_9
; %bb.8:                                ;   in Loop: Header=BB30_5 Depth=1
	v_lshlrev_b64 v[3:4], 3, v[3:4]
	v_add_co_u32 v5, vcc_lo, s16, v3
	v_add_co_ci_u32_e64 v6, null, s17, v4, vcc_lo
	v_add_co_u32 v3, vcc_lo, s18, v3
	v_add_co_ci_u32_e64 v4, null, s19, v4, vcc_lo
	global_load_dwordx2 v[43:44], v[5:6], off
	global_load_dwordx2 v[45:46], v[3:4], off
.LBB30_9:                               ;   in Loop: Header=BB30_5 Depth=1
	s_or_b32 exec_lo, exec_lo, s31
.LBB30_10:                              ;   in Loop: Header=BB30_5 Depth=1
	s_or_b32 exec_lo, exec_lo, s30
	v_mov_b32_e32 v17, v2
	v_mov_b32_e32 v3, v2
	;; [unrolled: 1-line block ×15, first 2 shown]
	v_cmp_gt_i64_e32 vcc_lo, s[8:9], v[41:42]
	v_mov_b32_e32 v34, v17
	v_mov_b32_e32 v31, v14
	;; [unrolled: 1-line block ×32, first 2 shown]
	s_and_b32 s31, s1, vcc_lo
	s_and_saveexec_b32 s30, s31
	s_cbranch_execz .LBB30_12
; %bb.11:                               ;   in Loop: Header=BB30_5 Depth=1
	v_add_co_u32 v3, vcc_lo, v49, v39
	v_add_co_ci_u32_e64 v4, null, v50, v40, vcc_lo
	v_add_co_u32 v5, vcc_lo, v51, v39
	v_add_co_ci_u32_e64 v6, null, v52, v40, vcc_lo
	global_load_dwordx2 v[3:4], v[3:4], off
	global_load_dwordx2 v[19:20], v[5:6], off
	v_mov_b32_e32 v5, v2
	v_mov_b32_e32 v6, v2
	;; [unrolled: 1-line block ×28, first 2 shown]
.LBB30_12:                              ;   in Loop: Header=BB30_5 Depth=1
	s_or_b32 exec_lo, exec_lo, s30
	v_add_co_u32 v81, vcc_lo, v41, 1
	v_add_co_ci_u32_e64 v82, null, 0, v42, vcc_lo
	v_cmp_gt_i64_e32 vcc_lo, s[8:9], v[81:82]
	s_and_b32 s31, s1, vcc_lo
	s_and_saveexec_b32 s30, s31
	s_cbranch_execz .LBB30_14
; %bb.13:                               ;   in Loop: Header=BB30_5 Depth=1
	v_add_co_u32 v5, vcc_lo, v77, v39
	v_add_co_ci_u32_e64 v6, null, v78, v40, vcc_lo
	v_add_co_u32 v21, vcc_lo, v79, v39
	v_add_co_ci_u32_e64 v22, null, v80, v40, vcc_lo
	global_load_dwordx2 v[5:6], v[5:6], off
	global_load_dwordx2 v[21:22], v[21:22], off
.LBB30_14:                              ;   in Loop: Header=BB30_5 Depth=1
	s_or_b32 exec_lo, exec_lo, s30
	v_add_co_u32 v81, vcc_lo, v41, 2
	v_add_co_ci_u32_e64 v82, null, 0, v42, vcc_lo
	v_cmp_gt_i64_e32 vcc_lo, s[8:9], v[81:82]
	s_and_b32 s31, s1, vcc_lo
	s_and_saveexec_b32 s30, s31
	s_cbranch_execz .LBB30_16
; %bb.15:                               ;   in Loop: Header=BB30_5 Depth=1
	v_add_co_u32 v7, vcc_lo, v73, v39
	v_add_co_ci_u32_e64 v8, null, v74, v40, vcc_lo
	v_add_co_u32 v23, vcc_lo, v75, v39
	v_add_co_ci_u32_e64 v24, null, v76, v40, vcc_lo
	global_load_dwordx2 v[7:8], v[7:8], off
	global_load_dwordx2 v[23:24], v[23:24], off
.LBB30_16:                              ;   in Loop: Header=BB30_5 Depth=1
	;; [unrolled: 15-line block ×7, first 2 shown]
	s_or_b32 exec_lo, exec_lo, s30
	s_waitcnt vmcnt(1)
	ds_bpermute_b32 v81, v2, v43
	ds_bpermute_b32 v82, v2, v44
	ds_bpermute_b32 v83, v2, v43 offset:4
	ds_bpermute_b32 v84, v2, v44 offset:4
	;; [unrolled: 1-line block ×4, first 2 shown]
	s_mov_b32 s30, 0
	s_waitcnt vmcnt(0) lgkmcnt(4)
	v_add_f64 v[19:20], v[19:20], -v[81:82]
	ds_bpermute_b32 v81, v2, v43 offset:8
	s_waitcnt lgkmcnt(3)
	v_add_f64 v[21:22], v[21:22], -v[83:84]
	ds_bpermute_b32 v82, v2, v44 offset:8
	ds_bpermute_b32 v83, v2, v45
	ds_bpermute_b32 v84, v2, v46
	s_waitcnt lgkmcnt(4)
	v_add_f64 v[25:26], v[25:26], -v[85:86]
	v_mul_f64 v[19:20], v[3:4], v[19:20]
	v_add_f64 v[3:4], v[35:36], v[3:4]
	s_waitcnt lgkmcnt(2)
	v_add_f64 v[23:24], v[23:24], -v[81:82]
	v_mul_f64 v[21:22], v[5:6], v[21:22]
	ds_bpermute_b32 v81, v2, v45 offset:4
	ds_bpermute_b32 v82, v2, v46 offset:4
	v_mul_f64 v[25:26], v[9:10], v[25:26]
	s_waitcnt lgkmcnt(2)
	v_fma_f64 v[19:20], v[19:20], v[83:84], v[37:38]
	v_add_f64 v[3:4], v[5:6], v[3:4]
	v_mul_f64 v[5:6], v[7:8], v[23:24]
	ds_bpermute_b32 v83, v2, v43 offset:16
	ds_bpermute_b32 v84, v2, v44 offset:16
	;; [unrolled: 1-line block ×4, first 2 shown]
	s_waitcnt lgkmcnt(4)
	v_fma_f64 v[19:20], v[21:22], v[81:82], v[19:20]
	ds_bpermute_b32 v21, v2, v45 offset:8
	ds_bpermute_b32 v22, v2, v46 offset:8
	s_waitcnt lgkmcnt(4)
	v_add_f64 v[27:28], v[27:28], -v[83:84]
	v_add_f64 v[3:4], v[7:8], v[3:4]
	ds_bpermute_b32 v7, v2, v45 offset:12
	ds_bpermute_b32 v8, v2, v46 offset:12
	s_waitcnt lgkmcnt(2)
	v_fma_f64 v[5:6], v[5:6], v[21:22], v[19:20]
	v_add_f64 v[21:22], v[29:30], -v[23:24]
	ds_bpermute_b32 v19, v2, v43 offset:24
	v_mul_f64 v[23:24], v[11:12], v[27:28]
	v_add_f64 v[3:4], v[9:10], v[3:4]
	ds_bpermute_b32 v20, v2, v44 offset:24
	s_waitcnt lgkmcnt(2)
	v_fma_f64 v[5:6], v[25:26], v[7:8], v[5:6]
	ds_bpermute_b32 v7, v2, v45 offset:16
	ds_bpermute_b32 v8, v2, v46 offset:16
	s_waitcnt lgkmcnt(2)
	v_add_f64 v[9:10], v[31:32], -v[19:20]
	v_mul_f64 v[19:20], v[13:14], v[21:22]
	v_add_f64 v[3:4], v[11:12], v[3:4]
	ds_bpermute_b32 v11, v2, v45 offset:24
	ds_bpermute_b32 v12, v2, v46 offset:24
	s_waitcnt lgkmcnt(2)
	v_fma_f64 v[5:6], v[23:24], v[7:8], v[5:6]
	ds_bpermute_b32 v7, v2, v45 offset:20
	ds_bpermute_b32 v8, v2, v46 offset:20
	v_mul_f64 v[9:10], v[15:16], v[9:10]
	ds_bpermute_b32 v45, v2, v45 offset:28
	v_add_f64 v[3:4], v[13:14], v[3:4]
	ds_bpermute_b32 v46, v2, v46 offset:28
	s_waitcnt lgkmcnt(2)
	v_fma_f64 v[7:8], v[19:20], v[7:8], v[5:6]
	v_add_f64 v[5:6], v[15:16], v[3:4]
	v_fma_f64 v[3:4], v[9:10], v[11:12], v[7:8]
	ds_bpermute_b32 v7, v2, v43 offset:28
	ds_bpermute_b32 v8, v2, v44 offset:28
.LBB30_27:                              ;   in Loop: Header=BB30_5 Depth=1
	s_and_b32 vcc_lo, exec_lo, s30
	s_cbranch_vccz .LBB30_4
; %bb.28:                               ;   in Loop: Header=BB30_5 Depth=1
	s_load_dword s30, s[22:23], 0x0
	s_waitcnt lgkmcnt(0)
	v_mov_b32_e32 v45, 0
	v_mov_b32_e32 v43, 0
	;; [unrolled: 1-line block ×4, first 2 shown]
	s_cmp_lt_u32 s6, s30
	s_cselect_b32 s30, 12, 18
	s_add_u32 s30, s22, s30
	s_addc_u32 s31, s23, 0
	global_load_ushort v3, v2, s[30:31]
	s_mov_b32 s30, exec_lo
	s_waitcnt vmcnt(0)
	v_mad_u32_u24 v3, v1, v3, v0
	v_and_b32_e32 v3, 31, v3
	v_cmpx_gt_u32_e32 8, v3
	s_cbranch_execz .LBB30_32
; %bb.29:                               ;   in Loop: Header=BB30_5 Depth=1
	v_add_co_u32 v3, vcc_lo, v41, v3
	v_mov_b32_e32 v43, 0
	v_mov_b32_e32 v45, 0
	v_add_co_ci_u32_e64 v4, null, 0, v42, vcc_lo
	v_mov_b32_e32 v44, 0
	v_mov_b32_e32 v46, 0
	s_mov_b32 s31, exec_lo
	v_cmpx_gt_i64_e64 s[8:9], v[3:4]
	s_cbranch_execz .LBB30_31
; %bb.30:                               ;   in Loop: Header=BB30_5 Depth=1
	v_lshlrev_b64 v[3:4], 3, v[3:4]
	v_add_co_u32 v5, vcc_lo, s16, v3
	v_add_co_ci_u32_e64 v6, null, s17, v4, vcc_lo
	v_add_co_u32 v3, vcc_lo, s18, v3
	v_add_co_ci_u32_e64 v4, null, s19, v4, vcc_lo
	global_load_dwordx2 v[43:44], v[5:6], off
	global_load_dwordx2 v[45:46], v[3:4], off
.LBB30_31:                              ;   in Loop: Header=BB30_5 Depth=1
	s_or_b32 exec_lo, exec_lo, s31
.LBB30_32:                              ;   in Loop: Header=BB30_5 Depth=1
	s_or_b32 exec_lo, exec_lo, s30
	v_mov_b32_e32 v17, v2
	v_mov_b32_e32 v3, v2
	;; [unrolled: 1-line block ×47, first 2 shown]
	s_and_saveexec_b32 s30, s1
	s_cbranch_execnz .LBB30_40
; %bb.33:                               ;   in Loop: Header=BB30_5 Depth=1
	s_or_b32 exec_lo, exec_lo, s30
	s_and_saveexec_b32 s30, s1
	s_cbranch_execnz .LBB30_41
.LBB30_34:                              ;   in Loop: Header=BB30_5 Depth=1
	s_or_b32 exec_lo, exec_lo, s30
	s_and_saveexec_b32 s30, s1
	s_cbranch_execnz .LBB30_42
.LBB30_35:                              ;   in Loop: Header=BB30_5 Depth=1
	s_or_b32 exec_lo, exec_lo, s30
	s_and_saveexec_b32 s30, s1
	s_cbranch_execnz .LBB30_43
.LBB30_36:                              ;   in Loop: Header=BB30_5 Depth=1
	s_or_b32 exec_lo, exec_lo, s30
	s_and_saveexec_b32 s30, s1
	s_cbranch_execnz .LBB30_44
.LBB30_37:                              ;   in Loop: Header=BB30_5 Depth=1
	s_or_b32 exec_lo, exec_lo, s30
	s_and_saveexec_b32 s30, s1
	s_cbranch_execnz .LBB30_45
.LBB30_38:                              ;   in Loop: Header=BB30_5 Depth=1
	s_or_b32 exec_lo, exec_lo, s30
	s_and_saveexec_b32 s30, s1
	s_cbranch_execnz .LBB30_46
.LBB30_39:                              ;   in Loop: Header=BB30_5 Depth=1
	s_or_b32 exec_lo, exec_lo, s30
	s_and_saveexec_b32 s30, s1
	s_cbranch_execz .LBB30_3
	s_branch .LBB30_47
.LBB30_40:                              ;   in Loop: Header=BB30_5 Depth=1
	v_add_co_u32 v3, vcc_lo, v49, v39
	v_add_co_ci_u32_e64 v4, null, v50, v40, vcc_lo
	v_add_co_u32 v5, vcc_lo, v51, v39
	v_add_co_ci_u32_e64 v6, null, v52, v40, vcc_lo
	global_load_dwordx2 v[3:4], v[3:4], off
	global_load_dwordx2 v[19:20], v[5:6], off
	v_mov_b32_e32 v5, v2
	v_mov_b32_e32 v6, v2
	;; [unrolled: 1-line block ×28, first 2 shown]
	s_or_b32 exec_lo, exec_lo, s30
	s_and_saveexec_b32 s30, s1
	s_cbranch_execz .LBB30_34
.LBB30_41:                              ;   in Loop: Header=BB30_5 Depth=1
	v_add_co_u32 v5, vcc_lo, v77, v39
	v_add_co_ci_u32_e64 v6, null, v78, v40, vcc_lo
	v_add_co_u32 v21, vcc_lo, v79, v39
	v_add_co_ci_u32_e64 v22, null, v80, v40, vcc_lo
	global_load_dwordx2 v[5:6], v[5:6], off
	global_load_dwordx2 v[21:22], v[21:22], off
	s_or_b32 exec_lo, exec_lo, s30
	s_and_saveexec_b32 s30, s1
	s_cbranch_execz .LBB30_35
.LBB30_42:                              ;   in Loop: Header=BB30_5 Depth=1
	v_add_co_u32 v7, vcc_lo, v73, v39
	v_add_co_ci_u32_e64 v8, null, v74, v40, vcc_lo
	v_add_co_u32 v23, vcc_lo, v75, v39
	v_add_co_ci_u32_e64 v24, null, v76, v40, vcc_lo
	global_load_dwordx2 v[7:8], v[7:8], off
	global_load_dwordx2 v[23:24], v[23:24], off
	s_or_b32 exec_lo, exec_lo, s30
	s_and_saveexec_b32 s30, s1
	s_cbranch_execz .LBB30_36
.LBB30_43:                              ;   in Loop: Header=BB30_5 Depth=1
	v_add_co_u32 v9, vcc_lo, v69, v39
	v_add_co_ci_u32_e64 v10, null, v70, v40, vcc_lo
	v_add_co_u32 v25, vcc_lo, v71, v39
	v_add_co_ci_u32_e64 v26, null, v72, v40, vcc_lo
	global_load_dwordx2 v[9:10], v[9:10], off
	global_load_dwordx2 v[25:26], v[25:26], off
	s_or_b32 exec_lo, exec_lo, s30
	s_and_saveexec_b32 s30, s1
	s_cbranch_execz .LBB30_37
.LBB30_44:                              ;   in Loop: Header=BB30_5 Depth=1
	v_add_co_u32 v11, vcc_lo, v65, v39
	v_add_co_ci_u32_e64 v12, null, v66, v40, vcc_lo
	v_add_co_u32 v27, vcc_lo, v67, v39
	v_add_co_ci_u32_e64 v28, null, v68, v40, vcc_lo
	global_load_dwordx2 v[11:12], v[11:12], off
	global_load_dwordx2 v[27:28], v[27:28], off
	s_or_b32 exec_lo, exec_lo, s30
	s_and_saveexec_b32 s30, s1
	s_cbranch_execz .LBB30_38
.LBB30_45:                              ;   in Loop: Header=BB30_5 Depth=1
	v_add_co_u32 v13, vcc_lo, v61, v39
	v_add_co_ci_u32_e64 v14, null, v62, v40, vcc_lo
	v_add_co_u32 v29, vcc_lo, v63, v39
	v_add_co_ci_u32_e64 v30, null, v64, v40, vcc_lo
	global_load_dwordx2 v[13:14], v[13:14], off
	global_load_dwordx2 v[29:30], v[29:30], off
	s_or_b32 exec_lo, exec_lo, s30
	s_and_saveexec_b32 s30, s1
	s_cbranch_execz .LBB30_39
.LBB30_46:                              ;   in Loop: Header=BB30_5 Depth=1
	v_add_co_u32 v15, vcc_lo, v57, v39
	v_add_co_ci_u32_e64 v16, null, v58, v40, vcc_lo
	v_add_co_u32 v31, vcc_lo, v59, v39
	v_add_co_ci_u32_e64 v32, null, v60, v40, vcc_lo
	global_load_dwordx2 v[15:16], v[15:16], off
	global_load_dwordx2 v[31:32], v[31:32], off
	s_or_b32 exec_lo, exec_lo, s30
	s_and_saveexec_b32 s30, s1
	s_cbranch_execz .LBB30_3
.LBB30_47:                              ;   in Loop: Header=BB30_5 Depth=1
	v_add_co_u32 v17, vcc_lo, v53, v39
	v_add_co_ci_u32_e64 v18, null, v54, v40, vcc_lo
	v_add_co_u32 v33, vcc_lo, v55, v39
	v_add_co_ci_u32_e64 v34, null, v56, v40, vcc_lo
	global_load_dwordx2 v[17:18], v[17:18], off
	global_load_dwordx2 v[33:34], v[33:34], off
	s_branch .LBB30_3
.LBB30_48:
                                        ; implicit-def: $vgpr35_vgpr36
                                        ; implicit-def: $vgpr37_vgpr38
	s_branch .LBB30_50
.LBB30_49:
	s_cbranch_execnz .LBB30_81
.LBB30_50:
	v_mov_b32_e32 v35, 0
	v_mov_b32_e32 v37, 0
	v_mov_b32_e32 v36, 0
	v_mov_b32_e32 v38, 0
	s_andn2_b32 vcc_lo, exec_lo, s28
	s_cbranch_vccnz .LBB30_81
; %bb.51:
	v_lshlrev_b32_e32 v75, 3, v1
	v_lshlrev_b32_e32 v4, 6, v1
	s_add_u32 s2, s4, 64
	s_addc_u32 s3, s5, 0
	s_lshl_b64 s[22:23], s[20:21], 3
	v_add_co_u32 v10, s1, v75, s20
	v_add_co_ci_u32_e64 v11, null, 0, 0, s1
	v_add_co_u32 v7, s1, v4, s22
	v_mul_lo_u32 v5, s11, v10
	v_mul_lo_u32 v6, s10, v11
	v_mad_u64_u32 v[2:3], null, s10, v10, 0
	v_add_co_ci_u32_e64 v8, null, 0, s23, s1
	v_mov_b32_e32 v37, 0
	v_mov_b32_e32 v35, 0
	;; [unrolled: 1-line block ×4, first 2 shown]
	v_add3_u32 v3, v3, v6, v5
	v_add_co_u32 v6, vcc_lo, v7, 8
	v_add_co_ci_u32_e64 v9, null, 0, v8, vcc_lo
	v_lshlrev_b64 v[4:5], 3, v[2:3]
	v_mad_u64_u32 v[39:40], null, s10, v6, s[12:13]
	v_mul_lo_u32 v9, s10, v9
	v_mul_lo_u32 v12, s11, v6
	v_mad_u64_u32 v[53:54], null, s10, v6, s[14:15]
	v_add_co_u32 v76, vcc_lo, s12, v4
	v_add_co_ci_u32_e64 v77, null, s13, v5, vcc_lo
	v_add_co_u32 v78, vcc_lo, s14, v4
	v_add_co_ci_u32_e64 v79, null, s15, v5, vcc_lo
	;; [unrolled: 2-line block ×4, first 2 shown]
	v_add_co_u32 v16, vcc_lo, v7, 32
	v_mad_u64_u32 v[41:42], null, s10, v4, s[12:13]
	v_mul_lo_u32 v5, s10, v5
	v_mul_lo_u32 v15, s11, v4
	v_add_co_ci_u32_e64 v18, null, 0, v8, vcc_lo
	v_add_co_u32 v19, vcc_lo, v7, 40
	v_mad_u64_u32 v[55:56], null, s10, v4, s[14:15]
	v_add_co_ci_u32_e64 v20, null, 0, v8, vcc_lo
	v_add_co_u32 v22, vcc_lo, v7, 48
	v_add_co_ci_u32_e64 v24, null, 0, v8, vcc_lo
	v_add_co_u32 v7, vcc_lo, v7, 56
	;; [unrolled: 2-line block ×3, first 2 shown]
	v_add3_u32 v42, v15, v42, v5
	v_add3_u32 v56, v15, v56, v5
	v_add_co_ci_u32_e64 v5, null, 0, v11, vcc_lo
	v_add3_u32 v40, v12, v40, v9
	v_add3_u32 v54, v12, v54, v9
	v_mul_lo_u32 v6, s11, v4
	v_mul_lo_u32 v9, s10, v5
	v_mad_u64_u32 v[4:5], null, s10, v4, 0
	v_mad_u64_u32 v[51:52], null, s10, v7, s[12:13]
	v_mul_lo_u32 v8, s10, v8
	v_mul_lo_u32 v26, s11, v7
	v_mad_u64_u32 v[65:66], null, s10, v7, s[14:15]
	v_add3_u32 v5, v5, v9, v6
	v_add_co_u32 v6, vcc_lo, v10, 6
	v_add_co_ci_u32_e64 v7, null, 0, v11, vcc_lo
	v_mad_u64_u32 v[43:44], null, s10, v13, s[12:13]
	v_mul_lo_u32 v14, s10, v14
	v_mul_lo_u32 v17, s11, v13
	v_add3_u32 v52, v26, v52, v8
	v_mad_u64_u32 v[57:58], null, s10, v13, s[14:15]
	v_add3_u32 v66, v26, v66, v8
	v_mul_lo_u32 v8, s11, v6
	v_mul_lo_u32 v9, s10, v7
	v_mad_u64_u32 v[6:7], null, s10, v6, 0
	v_lshlrev_b64 v[4:5], 3, v[4:5]
	v_add_co_u32 v12, vcc_lo, v10, 5
	v_add_co_ci_u32_e64 v13, null, 0, v11, vcc_lo
	v_add3_u32 v44, v17, v44, v14
	v_add_co_u32 v80, vcc_lo, s12, v4
	v_add3_u32 v58, v17, v58, v14
	v_add3_u32 v7, v7, v9, v8
	v_mul_lo_u32 v14, s11, v12
	v_mul_lo_u32 v13, s10, v13
	v_mad_u64_u32 v[8:9], null, s10, v12, 0
	v_add_co_ci_u32_e64 v81, null, s13, v5, vcc_lo
	v_add_co_u32 v12, vcc_lo, v10, 4
	v_add_co_ci_u32_e64 v15, null, 0, v11, vcc_lo
	v_add_co_u32 v82, vcc_lo, s14, v4
	v_add_co_ci_u32_e64 v83, null, s15, v5, vcc_lo
	v_lshlrev_b64 v[4:5], 3, v[6:7]
	v_add3_u32 v9, v9, v13, v14
	v_mul_lo_u32 v13, s11, v12
	v_mul_lo_u32 v14, s10, v15
	v_mad_u64_u32 v[6:7], null, s10, v12, 0
	v_lshlrev_b64 v[8:9], 3, v[8:9]
	v_add_co_u32 v84, vcc_lo, s12, v4
	v_add_co_ci_u32_e64 v85, null, s13, v5, vcc_lo
	v_add_co_u32 v86, vcc_lo, s14, v4
	v_add3_u32 v7, v7, v14, v13
	v_add_co_ci_u32_e64 v87, null, s15, v5, vcc_lo
	v_add_co_u32 v88, vcc_lo, s12, v8
	v_add_co_ci_u32_e64 v89, null, s13, v9, vcc_lo
	v_lshlrev_b64 v[4:5], 3, v[6:7]
	v_add_co_u32 v6, vcc_lo, v10, 3
	v_add_co_ci_u32_e64 v7, null, 0, v11, vcc_lo
	v_add_co_u32 v90, s1, s14, v8
	v_add_co_u32 v8, vcc_lo, v10, 2
	v_add_co_ci_u32_e64 v91, null, s15, v9, s1
	v_mul_lo_u32 v12, s11, v6
	v_add_co_ci_u32_e64 v9, null, 0, v11, vcc_lo
	v_mul_lo_u32 v10, s10, v7
	v_mad_u64_u32 v[6:7], null, s10, v6, 0
	v_mul_lo_u32 v11, s11, v8
	v_mul_lo_u32 v13, s10, v9
	v_mad_u64_u32 v[8:9], null, s10, v8, 0
	v_add_co_u32 v92, vcc_lo, s12, v4
	v_add3_u32 v7, v7, v10, v12
	s_load_dword s1, s[4:5], 0x44
	v_add_co_ci_u32_e64 v93, null, s13, v5, vcc_lo
	v_add_co_u32 v94, vcc_lo, s14, v4
	v_add_co_ci_u32_e64 v95, null, s15, v5, vcc_lo
	v_lshlrev_b64 v[4:5], 3, v[6:7]
	v_add3_u32 v9, v9, v13, v11
	v_add_co_u32 v2, vcc_lo, v2, s10
	v_add_co_ci_u32_e64 v3, null, s11, v3, vcc_lo
	v_lshlrev_b64 v[6:7], 3, v[8:9]
	v_add_co_u32 v96, vcc_lo, s12, v4
	v_add_co_ci_u32_e64 v97, null, s13, v5, vcc_lo
	v_add_co_u32 v98, vcc_lo, s14, v4
	v_lshlrev_b64 v[3:4], 3, v[2:3]
	v_mov_b32_e32 v2, 0
	v_mad_u64_u32 v[45:46], null, s10, v16, s[12:13]
	v_mul_lo_u32 v18, s10, v18
	v_mul_lo_u32 v21, s11, v16
	v_mad_u64_u32 v[47:48], null, s10, v19, s[12:13]
	v_mul_lo_u32 v20, s10, v20
	v_mul_lo_u32 v23, s11, v19
	;; [unrolled: 3-line block ×3, first 2 shown]
	v_mad_u64_u32 v[59:60], null, s10, v16, s[14:15]
	v_mad_u64_u32 v[61:62], null, s10, v19, s[14:15]
	;; [unrolled: 1-line block ×3, first 2 shown]
	v_add_co_ci_u32_e64 v99, null, s15, v5, vcc_lo
	v_add_co_u32 v100, vcc_lo, s12, v6
	v_add_co_ci_u32_e64 v101, null, s13, v7, vcc_lo
	v_add_co_u32 v102, vcc_lo, s14, v6
	v_add_nc_u32_e32 v5, s7, v0
	v_mov_b32_e32 v6, v2
	v_add_co_ci_u32_e64 v103, null, s15, v7, vcc_lo
	v_add_co_u32 v104, vcc_lo, s12, v3
	s_waitcnt lgkmcnt(0)
	s_lshl_b32 s1, s1, 3
	v_add_co_ci_u32_e64 v105, null, s13, v4, vcc_lo
	v_add_co_u32 v106, vcc_lo, s14, v3
	s_mul_i32 s7, s11, s1
	s_mul_hi_u32 s12, s10, s1
	v_lshlrev_b64 v[67:68], 3, v[5:6]
	v_add3_u32 v46, v21, v46, v18
	v_add3_u32 v48, v23, v48, v20
	;; [unrolled: 1-line block ×6, first 2 shown]
	v_add_co_ci_u32_e64 v107, null, s15, v4, vcc_lo
	v_mov_b32_e32 v108, v2
	s_add_i32 s13, s12, s7
	s_mul_i32 s12, s10, s1
	s_mov_b64 s[14:15], 7
	s_lshl_b64 s[12:13], s[12:13], 3
	s_mov_b64 s[22:23], s[20:21]
	s_branch .LBB30_55
.LBB30_52:                              ;   in Loop: Header=BB30_55 Depth=1
	s_or_b32 exec_lo, exec_lo, s21
.LBB30_53:                              ;   in Loop: Header=BB30_55 Depth=1
	s_or_b32 exec_lo, exec_lo, s7
	v_add_co_u32 v7, vcc_lo, v78, v67
	v_add_co_ci_u32_e64 v8, null, v79, v68, vcc_lo
	v_add_co_u32 v9, vcc_lo, v53, v67
	v_add_co_ci_u32_e64 v10, null, v54, v68, vcc_lo
	global_load_dwordx2 v[7:8], v[7:8], off
	v_add_co_u32 v11, vcc_lo, v76, v67
	v_add_co_ci_u32_e64 v12, null, v77, v68, vcc_lo
	global_load_dwordx2 v[9:10], v[9:10], off
	global_load_dwordx2 v[11:12], v[11:12], off
	v_add_co_u32 v13, vcc_lo, v55, v67
	v_add_co_ci_u32_e64 v14, null, v56, v68, vcc_lo
	v_add_co_u32 v15, vcc_lo, v39, v67
	v_add_co_ci_u32_e64 v16, null, v40, v68, vcc_lo
	global_load_dwordx2 v[13:14], v[13:14], off
	global_load_dwordx2 v[15:16], v[15:16], off
	v_add_co_u32 v17, vcc_lo, v57, v67
	v_add_co_ci_u32_e64 v18, null, v58, v68, vcc_lo
	;; [unrolled: 6-line block ×5, first 2 shown]
	v_add_co_u32 v31, vcc_lo, v63, v67
	v_add_co_ci_u32_e64 v32, null, v64, v68, vcc_lo
	v_add_co_u32 v33, vcc_lo, v65, v67
	v_add_co_ci_u32_e64 v34, null, v66, v68, vcc_lo
	global_load_dwordx2 v[31:32], v[31:32], off
	global_load_dwordx2 v[69:70], v[17:18], off
	;; [unrolled: 1-line block ×3, first 2 shown]
	v_add_co_u32 v17, vcc_lo, v49, v67
	v_add_co_ci_u32_e64 v18, null, v50, v68, vcc_lo
	v_add_co_u32 v71, vcc_lo, v51, v67
	v_add_co_ci_u32_e64 v72, null, v52, v68, vcc_lo
	global_load_dwordx2 v[73:74], v[17:18], off
	global_load_dwordx2 v[17:18], v[71:72], off
	s_waitcnt vmcnt(17)
	ds_bpermute_b32 v71, v2, v5
	ds_bpermute_b32 v72, v2, v6
	ds_bpermute_b32 v109, v2, v5 offset:4
	ds_bpermute_b32 v110, v2, v6 offset:4
	;; [unrolled: 1-line block ×4, first 2 shown]
	s_waitcnt vmcnt(15) lgkmcnt(4)
	v_add_f64 v[7:8], v[7:8], -v[71:72]
	ds_bpermute_b32 v71, v2, v5 offset:8
	ds_bpermute_b32 v72, v2, v6 offset:8
	s_waitcnt vmcnt(14) lgkmcnt(4)
	v_add_f64 v[9:10], v[9:10], -v[109:110]
	ds_bpermute_b32 v109, v2, v3
	ds_bpermute_b32 v110, v2, v4
	s_waitcnt vmcnt(12) lgkmcnt(2)
	v_add_f64 v[13:14], v[13:14], -v[71:72]
	v_mul_f64 v[7:8], v[11:12], v[7:8]
	v_add_f64 v[11:12], v[35:36], v[11:12]
	ds_bpermute_b32 v35, v2, v3 offset:4
	ds_bpermute_b32 v36, v2, v4 offset:4
	s_waitcnt vmcnt(11)
	v_mul_f64 v[9:10], v[15:16], v[9:10]
	s_waitcnt vmcnt(10)
	v_add_f64 v[21:22], v[21:22], -v[111:112]
	s_waitcnt vmcnt(9)
	v_mul_f64 v[13:14], v[19:20], v[13:14]
	s_waitcnt lgkmcnt(2)
	v_fma_f64 v[7:8], v[7:8], v[109:110], v[37:38]
	v_add_f64 v[11:12], v[11:12], v[15:16]
	ds_bpermute_b32 v37, v2, v5 offset:16
	ds_bpermute_b32 v38, v2, v6 offset:16
	;; [unrolled: 1-line block ×4, first 2 shown]
	s_waitcnt vmcnt(7)
	v_mul_f64 v[21:22], v[23:24], v[21:22]
	s_waitcnt lgkmcnt(4)
	v_fma_f64 v[7:8], v[9:10], v[35:36], v[7:8]
	ds_bpermute_b32 v9, v2, v3 offset:8
	ds_bpermute_b32 v10, v2, v4 offset:8
	s_waitcnt lgkmcnt(4)
	v_add_f64 v[25:26], v[25:26], -v[37:38]
	v_add_f64 v[11:12], v[11:12], v[19:20]
	s_waitcnt vmcnt(6) lgkmcnt(2)
	v_add_f64 v[15:16], v[29:30], -v[15:16]
	s_waitcnt lgkmcnt(0)
	v_fma_f64 v[7:8], v[13:14], v[9:10], v[7:8]
	ds_bpermute_b32 v9, v2, v3 offset:12
	ds_bpermute_b32 v10, v2, v4 offset:12
	s_waitcnt vmcnt(5)
	v_mul_f64 v[19:20], v[27:28], v[25:26]
	v_add_f64 v[11:12], v[11:12], v[23:24]
	ds_bpermute_b32 v13, v2, v5 offset:24
	ds_bpermute_b32 v14, v2, v6 offset:24
	;; [unrolled: 1-line block ×4, first 2 shown]
	s_waitcnt vmcnt(3)
	v_mul_f64 v[15:16], v[69:70], v[15:16]
	s_waitcnt lgkmcnt(4)
	v_fma_f64 v[7:8], v[21:22], v[9:10], v[7:8]
	ds_bpermute_b32 v9, v2, v3 offset:16
	ds_bpermute_b32 v10, v2, v4 offset:16
	;; [unrolled: 1-line block ×3, first 2 shown]
	s_waitcnt lgkmcnt(5)
	v_add_f64 v[13:14], v[31:32], -v[13:14]
	v_add_f64 v[11:12], v[11:12], v[27:28]
	s_waitcnt vmcnt(2) lgkmcnt(3)
	v_add_f64 v[5:6], v[33:34], -v[5:6]
	ds_bpermute_b32 v22, v2, v4 offset:20
	s_waitcnt lgkmcnt(2)
	v_fma_f64 v[7:8], v[19:20], v[9:10], v[7:8]
	ds_bpermute_b32 v9, v2, v3 offset:24
	ds_bpermute_b32 v10, v2, v4 offset:24
	s_waitcnt vmcnt(1)
	v_mul_f64 v[13:14], v[73:74], v[13:14]
	v_add_f64 v[11:12], v[11:12], v[69:70]
	s_waitcnt vmcnt(0)
	v_mul_f64 v[5:6], v[17:18], v[5:6]
	s_waitcnt lgkmcnt(2)
	v_fma_f64 v[7:8], v[15:16], v[21:22], v[7:8]
	ds_bpermute_b32 v15, v2, v3 offset:28
	ds_bpermute_b32 v16, v2, v4 offset:28
	v_add_f64 v[3:4], v[11:12], v[73:74]
	s_waitcnt lgkmcnt(0)
	v_mul_f64 v[5:6], v[5:6], v[15:16]
	v_fma_f64 v[7:8], v[13:14], v[9:10], v[7:8]
.LBB30_54:                              ;   in Loop: Header=BB30_55 Depth=1
	v_add_co_u32 v76, vcc_lo, v76, s12
	v_add_co_ci_u32_e64 v77, null, s13, v77, vcc_lo
	v_add_co_u32 v78, vcc_lo, v78, s12
	v_add_co_ci_u32_e64 v79, null, s13, v79, vcc_lo
	;; [unrolled: 2-line block ×22, first 2 shown]
	v_add_co_u32 v90, vcc_lo, v90, s12
	v_add_f64 v[37:38], v[7:8], v[5:6]
	v_add_f64 v[35:36], v[3:4], v[17:18]
	v_add_co_ci_u32_e64 v91, null, s13, v91, vcc_lo
	v_add_co_u32 v92, vcc_lo, v92, s12
	v_add_co_ci_u32_e64 v93, null, s13, v93, vcc_lo
	v_add_co_u32 v94, vcc_lo, v94, s12
	;; [unrolled: 2-line block ×5, first 2 shown]
	s_add_u32 s22, s22, s1
	v_add_co_ci_u32_e64 v101, null, s13, v101, vcc_lo
	v_add_co_u32 v102, vcc_lo, v102, s12
	s_addc_u32 s23, s23, 0
	v_add_co_ci_u32_e64 v103, null, s13, v103, vcc_lo
	v_add_co_u32 v104, vcc_lo, v104, s12
	v_cmp_ge_i64_e64 s7, s[22:23], s[8:9]
	v_add_co_ci_u32_e64 v105, null, s13, v105, vcc_lo
	v_add_co_u32 v106, vcc_lo, v106, s12
	v_add_co_ci_u32_e64 v107, null, s13, v107, vcc_lo
	s_add_u32 s14, s14, s1
	s_addc_u32 s15, 0, s15
	s_and_b32 vcc_lo, exec_lo, s7
	s_cbranch_vccnz .LBB30_81
.LBB30_55:                              ; =>This Inner Loop Header: Depth=1
	s_add_u32 s24, s20, s14
	s_addc_u32 s25, 0, s15
	v_add_co_u32 v69, vcc_lo, s20, v75
	v_cmp_ge_i64_e64 s7, s[24:25], s[8:9]
	v_add_co_ci_u32_e64 v70, null, 0, v108, vcc_lo
                                        ; implicit-def: $vgpr17_vgpr18
                                        ; implicit-def: $vgpr5_vgpr6
                                        ; implicit-def: $vgpr3_vgpr4
                                        ; implicit-def: $vgpr7_vgpr8
	s_and_b32 vcc_lo, exec_lo, s7
	s_mov_b32 s7, -1
	s_cbranch_vccz .LBB30_77
; %bb.56:                               ;   in Loop: Header=BB30_55 Depth=1
	s_load_dword s7, s[2:3], 0xc
	v_mov_b32_e32 v71, 0
	v_mov_b32_e32 v73, 0
	;; [unrolled: 1-line block ×4, first 2 shown]
	s_waitcnt lgkmcnt(0)
	s_and_b32 s7, s7, 0xffff
	v_mad_u32_u24 v3, v1, s7, v0
	s_mov_b32 s7, exec_lo
	v_and_b32_e32 v3, 31, v3
	v_cmpx_gt_u32_e32 8, v3
	s_cbranch_execz .LBB30_60
; %bb.57:                               ;   in Loop: Header=BB30_55 Depth=1
	v_add_co_u32 v3, vcc_lo, v69, v3
	v_mov_b32_e32 v73, 0
	v_mov_b32_e32 v71, 0
	v_add_co_ci_u32_e64 v4, null, 0, v70, vcc_lo
	v_mov_b32_e32 v74, 0
	v_mov_b32_e32 v72, 0
	s_mov_b32 s21, exec_lo
	v_cmpx_gt_i64_e64 s[8:9], v[3:4]
	s_cbranch_execz .LBB30_59
; %bb.58:                               ;   in Loop: Header=BB30_55 Depth=1
	v_lshlrev_b64 v[3:4], 3, v[3:4]
	v_add_co_u32 v5, vcc_lo, s16, v3
	v_add_co_ci_u32_e64 v6, null, s17, v4, vcc_lo
	v_add_co_u32 v3, vcc_lo, s18, v3
	v_add_co_ci_u32_e64 v4, null, s19, v4, vcc_lo
	global_load_dwordx2 v[73:74], v[5:6], off
	global_load_dwordx2 v[71:72], v[3:4], off
.LBB30_59:                              ;   in Loop: Header=BB30_55 Depth=1
	s_or_b32 exec_lo, exec_lo, s21
.LBB30_60:                              ;   in Loop: Header=BB30_55 Depth=1
	s_or_b32 exec_lo, exec_lo, s7
	v_mov_b32_e32 v17, v2
	v_mov_b32_e32 v3, v2
	;; [unrolled: 1-line block ×47, first 2 shown]
	s_mov_b32 s7, exec_lo
	v_cmpx_gt_i64_e64 s[8:9], v[69:70]
	s_cbranch_execz .LBB30_62
; %bb.61:                               ;   in Loop: Header=BB30_55 Depth=1
	v_add_co_u32 v3, vcc_lo, v76, v67
	v_add_co_ci_u32_e64 v4, null, v77, v68, vcc_lo
	v_add_co_u32 v5, vcc_lo, v78, v67
	v_add_co_ci_u32_e64 v6, null, v79, v68, vcc_lo
	global_load_dwordx2 v[3:4], v[3:4], off
	global_load_dwordx2 v[19:20], v[5:6], off
	v_mov_b32_e32 v5, v2
	v_mov_b32_e32 v6, v2
	;; [unrolled: 1-line block ×28, first 2 shown]
.LBB30_62:                              ;   in Loop: Header=BB30_55 Depth=1
	s_or_b32 exec_lo, exec_lo, s7
	v_add_co_u32 v109, vcc_lo, v69, 1
	v_add_co_ci_u32_e64 v110, null, 0, v70, vcc_lo
	s_mov_b32 s7, exec_lo
	v_cmpx_gt_i64_e64 s[8:9], v[109:110]
	s_cbranch_execz .LBB30_64
; %bb.63:                               ;   in Loop: Header=BB30_55 Depth=1
	v_add_co_u32 v5, vcc_lo, v104, v67
	v_add_co_ci_u32_e64 v6, null, v105, v68, vcc_lo
	v_add_co_u32 v21, vcc_lo, v106, v67
	v_add_co_ci_u32_e64 v22, null, v107, v68, vcc_lo
	global_load_dwordx2 v[5:6], v[5:6], off
	global_load_dwordx2 v[21:22], v[21:22], off
.LBB30_64:                              ;   in Loop: Header=BB30_55 Depth=1
	s_or_b32 exec_lo, exec_lo, s7
	v_add_co_u32 v109, vcc_lo, v69, 2
	v_add_co_ci_u32_e64 v110, null, 0, v70, vcc_lo
	s_mov_b32 s7, exec_lo
	v_cmpx_gt_i64_e64 s[8:9], v[109:110]
	s_cbranch_execz .LBB30_66
; %bb.65:                               ;   in Loop: Header=BB30_55 Depth=1
	v_add_co_u32 v7, vcc_lo, v100, v67
	v_add_co_ci_u32_e64 v8, null, v101, v68, vcc_lo
	v_add_co_u32 v23, vcc_lo, v102, v67
	v_add_co_ci_u32_e64 v24, null, v103, v68, vcc_lo
	global_load_dwordx2 v[7:8], v[7:8], off
	global_load_dwordx2 v[23:24], v[23:24], off
.LBB30_66:                              ;   in Loop: Header=BB30_55 Depth=1
	;; [unrolled: 14-line block ×7, first 2 shown]
	s_or_b32 exec_lo, exec_lo, s7
	s_waitcnt vmcnt(1)
	ds_bpermute_b32 v109, v2, v73
	ds_bpermute_b32 v110, v2, v74
	ds_bpermute_b32 v111, v2, v73 offset:4
	ds_bpermute_b32 v112, v2, v74 offset:4
	;; [unrolled: 1-line block ×4, first 2 shown]
	s_mov_b32 s7, 0
	s_waitcnt vmcnt(0) lgkmcnt(4)
	v_add_f64 v[19:20], v[19:20], -v[109:110]
	ds_bpermute_b32 v109, v2, v73 offset:8
	s_waitcnt lgkmcnt(3)
	v_add_f64 v[21:22], v[21:22], -v[111:112]
	ds_bpermute_b32 v110, v2, v74 offset:8
	ds_bpermute_b32 v111, v2, v71
	ds_bpermute_b32 v112, v2, v72
	s_waitcnt lgkmcnt(4)
	v_add_f64 v[25:26], v[25:26], -v[113:114]
	v_mul_f64 v[19:20], v[3:4], v[19:20]
	v_add_f64 v[3:4], v[35:36], v[3:4]
	s_waitcnt lgkmcnt(2)
	v_add_f64 v[23:24], v[23:24], -v[109:110]
	v_mul_f64 v[21:22], v[5:6], v[21:22]
	ds_bpermute_b32 v109, v2, v71 offset:4
	ds_bpermute_b32 v110, v2, v72 offset:4
	v_mul_f64 v[25:26], v[9:10], v[25:26]
	s_waitcnt lgkmcnt(2)
	v_fma_f64 v[19:20], v[19:20], v[111:112], v[37:38]
	v_add_f64 v[3:4], v[5:6], v[3:4]
	v_mul_f64 v[5:6], v[7:8], v[23:24]
	ds_bpermute_b32 v111, v2, v73 offset:16
	ds_bpermute_b32 v112, v2, v74 offset:16
	ds_bpermute_b32 v23, v2, v73 offset:20
	ds_bpermute_b32 v24, v2, v74 offset:20
	s_waitcnt lgkmcnt(4)
	v_fma_f64 v[19:20], v[21:22], v[109:110], v[19:20]
	ds_bpermute_b32 v21, v2, v71 offset:8
	ds_bpermute_b32 v22, v2, v72 offset:8
	s_waitcnt lgkmcnt(4)
	v_add_f64 v[27:28], v[27:28], -v[111:112]
	v_add_f64 v[3:4], v[7:8], v[3:4]
	ds_bpermute_b32 v7, v2, v71 offset:12
	ds_bpermute_b32 v8, v2, v72 offset:12
	s_waitcnt lgkmcnt(4)
	v_add_f64 v[23:24], v[29:30], -v[23:24]
	s_waitcnt lgkmcnt(2)
	v_fma_f64 v[5:6], v[5:6], v[21:22], v[19:20]
	ds_bpermute_b32 v19, v2, v71 offset:16
	ds_bpermute_b32 v21, v2, v73 offset:24
	v_mul_f64 v[27:28], v[11:12], v[27:28]
	v_add_f64 v[3:4], v[9:10], v[3:4]
	ds_bpermute_b32 v22, v2, v74 offset:24
	ds_bpermute_b32 v20, v2, v72 offset:16
	v_mul_f64 v[23:24], v[13:14], v[23:24]
	ds_bpermute_b32 v9, v2, v71 offset:20
	ds_bpermute_b32 v10, v2, v72 offset:20
	s_waitcnt lgkmcnt(6)
	v_fma_f64 v[5:6], v[25:26], v[7:8], v[5:6]
	ds_bpermute_b32 v7, v2, v73 offset:28
	ds_bpermute_b32 v8, v2, v74 offset:28
	s_waitcnt lgkmcnt(5)
	v_add_f64 v[21:22], v[31:32], -v[21:22]
	v_add_f64 v[3:4], v[11:12], v[3:4]
	ds_bpermute_b32 v11, v2, v71 offset:24
	ds_bpermute_b32 v12, v2, v72 offset:24
	s_waitcnt lgkmcnt(2)
	v_add_f64 v[7:8], v[33:34], -v[7:8]
	v_fma_f64 v[5:6], v[27:28], v[19:20], v[5:6]
	v_mul_f64 v[19:20], v[15:16], v[21:22]
	v_add_f64 v[3:4], v[13:14], v[3:4]
	ds_bpermute_b32 v13, v2, v71 offset:28
	ds_bpermute_b32 v14, v2, v72 offset:28
	v_fma_f64 v[5:6], v[23:24], v[9:10], v[5:6]
	v_mul_f64 v[9:10], v[17:18], v[7:8]
	v_add_f64 v[3:4], v[15:16], v[3:4]
	s_waitcnt lgkmcnt(2)
	v_fma_f64 v[7:8], v[19:20], v[11:12], v[5:6]
	s_waitcnt lgkmcnt(0)
	v_mul_f64 v[5:6], v[9:10], v[13:14]
.LBB30_77:                              ;   in Loop: Header=BB30_55 Depth=1
	s_and_b32 vcc_lo, exec_lo, s7
	s_cbranch_vccz .LBB30_54
; %bb.78:                               ;   in Loop: Header=BB30_55 Depth=1
	s_load_dword s7, s[2:3], 0x0
	v_mov_b32_e32 v5, 0
	v_mov_b32_e32 v6, 0
	s_waitcnt lgkmcnt(0)
	s_cmp_lt_u32 s6, s7
	s_cselect_b32 s7, 12, 18
	s_add_u32 s24, s2, s7
	s_addc_u32 s25, s3, 0
	s_mov_b32 s7, exec_lo
	global_load_ushort v3, v2, s[24:25]
	s_waitcnt vmcnt(0)
	v_mad_u32_u24 v3, v1, v3, v0
	v_and_b32_e32 v7, 31, v3
	v_mov_b32_e32 v3, 0
	v_mov_b32_e32 v4, 0
	v_cmpx_gt_u32_e32 8, v7
	s_cbranch_execz .LBB30_53
; %bb.79:                               ;   in Loop: Header=BB30_55 Depth=1
	v_add_co_u32 v7, vcc_lo, v69, v7
	v_mov_b32_e32 v5, 0
	v_mov_b32_e32 v3, 0
	v_add_co_ci_u32_e64 v8, null, 0, v70, vcc_lo
	v_mov_b32_e32 v6, 0
	v_mov_b32_e32 v4, 0
	s_mov_b32 s21, exec_lo
	v_cmpx_gt_i64_e64 s[8:9], v[7:8]
	s_cbranch_execz .LBB30_52
; %bb.80:                               ;   in Loop: Header=BB30_55 Depth=1
	v_lshlrev_b64 v[3:4], 3, v[7:8]
	v_add_co_u32 v5, vcc_lo, s16, v3
	v_add_co_ci_u32_e64 v6, null, s17, v4, vcc_lo
	v_add_co_u32 v3, vcc_lo, s18, v3
	v_add_co_ci_u32_e64 v4, null, s19, v4, vcc_lo
	global_load_dwordx2 v[5:6], v[5:6], off
	global_load_dwordx2 v[3:4], v[3:4], off
	s_branch .LBB30_52
.LBB30_81:
	s_mov_b32 s7, 0
	s_mov_b32 s1, exec_lo
	s_lshl_b64 s[2:3], s[6:7], 6
	v_or_b32_e32 v4, s2, v0
	v_mov_b32_e32 v5, s3
	v_cmpx_gt_i64_e64 s[10:11], v[4:5]
	s_cbranch_execz .LBB30_86
; %bb.82:
	s_clause 0x1
	s_load_dword s1, s[4:5], 0x4c
	s_load_dwordx4 s[4:7], s[4:5], 0x30
	v_mov_b32_e32 v2, 0
	s_waitcnt lgkmcnt(0)
	s_lshr_b32 s1, s1, 16
	s_cmp_eq_u64 s[4:5], 0
	v_mad_u64_u32 v[2:3], null, s1, s0, v[1:2]
	v_lshlrev_b64 v[0:1], 3, v[4:5]
	v_mul_lo_u32 v3, v3, s10
	v_mul_lo_u32 v6, v2, s11
	s_cbranch_scc1 .LBB30_84
; %bb.83:
	v_mad_u64_u32 v[4:5], null, v2, s10, 0
	v_add3_u32 v5, v5, v6, v3
	v_lshlrev_b64 v[4:5], 3, v[4:5]
	v_add_co_u32 v4, vcc_lo, s4, v4
	v_add_co_ci_u32_e64 v5, null, s5, v5, vcc_lo
	v_add_co_u32 v4, vcc_lo, v4, v0
	v_add_co_ci_u32_e64 v5, null, v5, v1, vcc_lo
	global_store_dwordx2 v[4:5], v[37:38], off
.LBB30_84:
	s_cmp_eq_u64 s[6:7], 0
	s_cbranch_scc1 .LBB30_86
; %bb.85:
	v_mad_u64_u32 v[4:5], null, v2, s10, 0
	v_add3_u32 v5, v5, v6, v3
	v_lshlrev_b64 v[2:3], 3, v[4:5]
	v_add_co_u32 v2, vcc_lo, s6, v2
	v_add_co_ci_u32_e64 v3, null, s7, v3, vcc_lo
	v_add_co_u32 v0, vcc_lo, v2, v0
	v_add_co_ci_u32_e64 v1, null, v3, v1, vcc_lo
	global_store_dwordx2 v[0:1], v[35:36], off
.LBB30_86:
	s_endpgm
	.section	.rodata,"a",@progbits
	.p2align	6, 0x0
	.amdhsa_kernel _ZN2at6native12_GLOBAL__N_135GammaBetaBackwardCUDAKernelTemplateIddLj64ELj1ELj8ELb1ELb0ELb0EEEvllPKT_S5_PKT0_S8_PS3_S9_
		.amdhsa_group_segment_fixed_size 0
		.amdhsa_private_segment_fixed_size 0
		.amdhsa_kernarg_size 320
		.amdhsa_user_sgpr_count 6
		.amdhsa_user_sgpr_private_segment_buffer 1
		.amdhsa_user_sgpr_dispatch_ptr 0
		.amdhsa_user_sgpr_queue_ptr 0
		.amdhsa_user_sgpr_kernarg_segment_ptr 1
		.amdhsa_user_sgpr_dispatch_id 0
		.amdhsa_user_sgpr_flat_scratch_init 0
		.amdhsa_user_sgpr_private_segment_size 0
		.amdhsa_wavefront_size32 1
		.amdhsa_uses_dynamic_stack 0
		.amdhsa_system_sgpr_private_segment_wavefront_offset 0
		.amdhsa_system_sgpr_workgroup_id_x 1
		.amdhsa_system_sgpr_workgroup_id_y 1
		.amdhsa_system_sgpr_workgroup_id_z 0
		.amdhsa_system_sgpr_workgroup_info 0
		.amdhsa_system_vgpr_workitem_id 1
		.amdhsa_next_free_vgpr 115
		.amdhsa_next_free_sgpr 32
		.amdhsa_reserve_vcc 1
		.amdhsa_reserve_flat_scratch 0
		.amdhsa_float_round_mode_32 0
		.amdhsa_float_round_mode_16_64 0
		.amdhsa_float_denorm_mode_32 3
		.amdhsa_float_denorm_mode_16_64 3
		.amdhsa_dx10_clamp 1
		.amdhsa_ieee_mode 1
		.amdhsa_fp16_overflow 0
		.amdhsa_workgroup_processor_mode 1
		.amdhsa_memory_ordered 1
		.amdhsa_forward_progress 1
		.amdhsa_shared_vgpr_count 0
		.amdhsa_exception_fp_ieee_invalid_op 0
		.amdhsa_exception_fp_denorm_src 0
		.amdhsa_exception_fp_ieee_div_zero 0
		.amdhsa_exception_fp_ieee_overflow 0
		.amdhsa_exception_fp_ieee_underflow 0
		.amdhsa_exception_fp_ieee_inexact 0
		.amdhsa_exception_int_div_zero 0
	.end_amdhsa_kernel
	.section	.text._ZN2at6native12_GLOBAL__N_135GammaBetaBackwardCUDAKernelTemplateIddLj64ELj1ELj8ELb1ELb0ELb0EEEvllPKT_S5_PKT0_S8_PS3_S9_,"axG",@progbits,_ZN2at6native12_GLOBAL__N_135GammaBetaBackwardCUDAKernelTemplateIddLj64ELj1ELj8ELb1ELb0ELb0EEEvllPKT_S5_PKT0_S8_PS3_S9_,comdat
.Lfunc_end30:
	.size	_ZN2at6native12_GLOBAL__N_135GammaBetaBackwardCUDAKernelTemplateIddLj64ELj1ELj8ELb1ELb0ELb0EEEvllPKT_S5_PKT0_S8_PS3_S9_, .Lfunc_end30-_ZN2at6native12_GLOBAL__N_135GammaBetaBackwardCUDAKernelTemplateIddLj64ELj1ELj8ELb1ELb0ELb0EEEvllPKT_S5_PKT0_S8_PS3_S9_
                                        ; -- End function
	.set _ZN2at6native12_GLOBAL__N_135GammaBetaBackwardCUDAKernelTemplateIddLj64ELj1ELj8ELb1ELb0ELb0EEEvllPKT_S5_PKT0_S8_PS3_S9_.num_vgpr, 115
	.set _ZN2at6native12_GLOBAL__N_135GammaBetaBackwardCUDAKernelTemplateIddLj64ELj1ELj8ELb1ELb0ELb0EEEvllPKT_S5_PKT0_S8_PS3_S9_.num_agpr, 0
	.set _ZN2at6native12_GLOBAL__N_135GammaBetaBackwardCUDAKernelTemplateIddLj64ELj1ELj8ELb1ELb0ELb0EEEvllPKT_S5_PKT0_S8_PS3_S9_.numbered_sgpr, 32
	.set _ZN2at6native12_GLOBAL__N_135GammaBetaBackwardCUDAKernelTemplateIddLj64ELj1ELj8ELb1ELb0ELb0EEEvllPKT_S5_PKT0_S8_PS3_S9_.num_named_barrier, 0
	.set _ZN2at6native12_GLOBAL__N_135GammaBetaBackwardCUDAKernelTemplateIddLj64ELj1ELj8ELb1ELb0ELb0EEEvllPKT_S5_PKT0_S8_PS3_S9_.private_seg_size, 0
	.set _ZN2at6native12_GLOBAL__N_135GammaBetaBackwardCUDAKernelTemplateIddLj64ELj1ELj8ELb1ELb0ELb0EEEvllPKT_S5_PKT0_S8_PS3_S9_.uses_vcc, 1
	.set _ZN2at6native12_GLOBAL__N_135GammaBetaBackwardCUDAKernelTemplateIddLj64ELj1ELj8ELb1ELb0ELb0EEEvllPKT_S5_PKT0_S8_PS3_S9_.uses_flat_scratch, 0
	.set _ZN2at6native12_GLOBAL__N_135GammaBetaBackwardCUDAKernelTemplateIddLj64ELj1ELj8ELb1ELb0ELb0EEEvllPKT_S5_PKT0_S8_PS3_S9_.has_dyn_sized_stack, 0
	.set _ZN2at6native12_GLOBAL__N_135GammaBetaBackwardCUDAKernelTemplateIddLj64ELj1ELj8ELb1ELb0ELb0EEEvllPKT_S5_PKT0_S8_PS3_S9_.has_recursion, 0
	.set _ZN2at6native12_GLOBAL__N_135GammaBetaBackwardCUDAKernelTemplateIddLj64ELj1ELj8ELb1ELb0ELb0EEEvllPKT_S5_PKT0_S8_PS3_S9_.has_indirect_call, 0
	.section	.AMDGPU.csdata,"",@progbits
; Kernel info:
; codeLenInByte = 9528
; TotalNumSgprs: 34
; NumVgprs: 115
; ScratchSize: 0
; MemoryBound: 1
; FloatMode: 240
; IeeeMode: 1
; LDSByteSize: 0 bytes/workgroup (compile time only)
; SGPRBlocks: 0
; VGPRBlocks: 14
; NumSGPRsForWavesPerEU: 34
; NumVGPRsForWavesPerEU: 115
; Occupancy: 8
; WaveLimiterHint : 0
; COMPUTE_PGM_RSRC2:SCRATCH_EN: 0
; COMPUTE_PGM_RSRC2:USER_SGPR: 6
; COMPUTE_PGM_RSRC2:TRAP_HANDLER: 0
; COMPUTE_PGM_RSRC2:TGID_X_EN: 1
; COMPUTE_PGM_RSRC2:TGID_Y_EN: 1
; COMPUTE_PGM_RSRC2:TGID_Z_EN: 0
; COMPUTE_PGM_RSRC2:TIDIG_COMP_CNT: 1
	.section	.text._ZN2at6native12_GLOBAL__N_135GammaBetaBackwardCUDAKernelTemplateIddLj64ELj8ELj64ELb0ELb1ELb0EEEvllPKT_S5_PKT0_S8_PS3_S9_,"axG",@progbits,_ZN2at6native12_GLOBAL__N_135GammaBetaBackwardCUDAKernelTemplateIddLj64ELj8ELj64ELb0ELb1ELb0EEEvllPKT_S5_PKT0_S8_PS3_S9_,comdat
	.globl	_ZN2at6native12_GLOBAL__N_135GammaBetaBackwardCUDAKernelTemplateIddLj64ELj8ELj64ELb0ELb1ELb0EEEvllPKT_S5_PKT0_S8_PS3_S9_ ; -- Begin function _ZN2at6native12_GLOBAL__N_135GammaBetaBackwardCUDAKernelTemplateIddLj64ELj8ELj64ELb0ELb1ELb0EEEvllPKT_S5_PKT0_S8_PS3_S9_
	.p2align	8
	.type	_ZN2at6native12_GLOBAL__N_135GammaBetaBackwardCUDAKernelTemplateIddLj64ELj8ELj64ELb0ELb1ELb0EEEvllPKT_S5_PKT0_S8_PS3_S9_,@function
_ZN2at6native12_GLOBAL__N_135GammaBetaBackwardCUDAKernelTemplateIddLj64ELj8ELj64ELb0ELb1ELb0EEEvllPKT_S5_PKT0_S8_PS3_S9_: ; @_ZN2at6native12_GLOBAL__N_135GammaBetaBackwardCUDAKernelTemplateIddLj64ELj8ELj64ELb0ELb1ELb0EEEvllPKT_S5_PKT0_S8_PS3_S9_
; %bb.0:
	s_load_dwordx4 s[20:23], s[4:5], 0x0
	s_lshl_b32 s2, s7, 6
	s_mov_b32 s3, 0
	s_waitcnt lgkmcnt(0)
	v_cmp_gt_i64_e64 s0, s[20:21], s[2:3]
	s_and_b32 vcc_lo, exec_lo, s0
	s_cbranch_vccnz .LBB31_2
; %bb.1:
	s_mov_b32 s0, s3
	s_branch .LBB31_3
.LBB31_2:
	s_mov_b32 s0, -1
.LBB31_3:
	s_load_dwordx4 s[16:19], s[4:5], 0x30
	v_mov_b32_e32 v8, 0
	v_mov_b32_e32 v12, 0
	;; [unrolled: 1-line block ×4, first 2 shown]
	s_andn2_b32 vcc_lo, exec_lo, s0
	s_cbranch_vccnz .LBB31_10
; %bb.4:
	s_clause 0x2
	s_load_dword s0, s[4:5], 0x4c
	s_load_dword s1, s[4:5], 0x44
	s_load_dwordx8 s[8:15], s[4:5], 0x10
	v_lshlrev_b32_e32 v2, 3, v1
	v_mov_b32_e32 v3, 0
	v_mov_b32_e32 v16, 8
	;; [unrolled: 1-line block ×4, first 2 shown]
	v_add_co_u32 v4, s4, v2, s2
	v_add_co_ci_u32_e64 v5, null, 0, 0, s4
	v_lshl_add_u32 v2, s6, 6, v0
	v_mul_lo_u32 v10, s23, v4
	v_mad_u64_u32 v[6:7], null, s22, v4, 0
	v_mul_lo_u32 v11, s22, v5
	v_mov_b32_e32 v19, 16
	v_mov_b32_e32 v20, 20
	;; [unrolled: 1-line block ×3, first 2 shown]
	s_waitcnt lgkmcnt(0)
	s_and_b32 s0, s0, 0xffff
	s_lshl_b32 s4, s1, 6
	v_mad_u32_u24 v8, v1, s0, v0
	s_mul_i32 s1, s23, s4
	v_add3_u32 v7, v7, v11, v10
	s_mul_hi_u32 s7, s22, s4
	v_mov_b32_e32 v22, 28
	v_and_b32_e32 v12, 31, v8
	v_lshlrev_b64 v[8:9], 3, v[2:3]
	v_lshlrev_b64 v[10:11], 3, v[6:7]
	s_mov_b32 s5, 0
	s_add_i32 s27, s7, s1
	v_add_co_u32 v4, vcc_lo, v4, v12
	v_add_co_ci_u32_e64 v5, null, 0, v5, vcc_lo
	v_add_co_u32 v2, vcc_lo, v10, v8
	v_cmp_gt_u32_e64 s0, 8, v12
	v_lshlrev_b64 v[6:7], 3, v[4:5]
	v_add_co_ci_u32_e64 v23, null, v11, v9, vcc_lo
	v_mov_b32_e32 v12, 0
	v_mov_b32_e32 v8, 0
	;; [unrolled: 1-line block ×4, first 2 shown]
	s_mul_i32 s26, s22, s4
	s_lshl_b64 s[24:25], s[4:5], 3
	s_lshl_b64 s[26:27], s[26:27], 3
	;; [unrolled: 1-line block ×3, first 2 shown]
	s_branch .LBB31_7
.LBB31_5:                               ;   in Loop: Header=BB31_7 Depth=1
	s_or_b32 exec_lo, exec_lo, s5
.LBB31_6:                               ;   in Loop: Header=BB31_7 Depth=1
	s_or_b32 exec_lo, exec_lo, s1
	v_add_co_u32 v24, vcc_lo, s10, v2
	v_add_co_ci_u32_e64 v25, null, s11, v23, vcc_lo
	v_add_co_u32 v28, vcc_lo, s8, v2
	v_add_co_ci_u32_e64 v29, null, s9, v23, vcc_lo
	global_load_dwordx2 v[26:27], v[24:25], off
	v_add_co_u32 v24, vcc_lo, v24, s22
	v_add_co_ci_u32_e64 v25, null, s23, v25, vcc_lo
	global_load_dwordx2 v[30:31], v[28:29], off
	global_load_dwordx2 v[32:33], v[24:25], off
	v_add_co_u32 v24, vcc_lo, v24, s22
	v_add_co_ci_u32_e64 v25, null, s23, v25, vcc_lo
	v_add_co_u32 v28, vcc_lo, v28, s22
	v_add_co_ci_u32_e64 v29, null, s23, v29, vcc_lo
	global_load_dwordx2 v[34:35], v[24:25], off
	global_load_dwordx2 v[36:37], v[28:29], off
	v_add_co_u32 v24, vcc_lo, v24, s22
	v_add_co_ci_u32_e64 v25, null, s23, v25, vcc_lo
	;; [unrolled: 6-line block ×7, first 2 shown]
	s_waitcnt vmcnt(16)
	ds_bpermute_b32 v56, v3, v14
	ds_bpermute_b32 v57, v3, v15
	s_waitcnt vmcnt(15)
	ds_bpermute_b32 v58, v3, v10
	global_load_dwordx2 v[28:29], v[28:29], off
	ds_bpermute_b32 v59, v3, v11
	s_add_u32 s2, s2, s4
	v_add_co_u32 v6, vcc_lo, v6, s24
	s_addc_u32 s3, s3, 0
	v_add_co_ci_u32_e64 v7, null, s25, v7, vcc_lo
	v_add_co_u32 v4, vcc_lo, v4, s4
	v_cmp_lt_i64_e64 s1, s[2:3], s[20:21]
	v_add_co_ci_u32_e64 v5, null, 0, v5, vcc_lo
	v_add_co_u32 v2, vcc_lo, v2, s26
	v_add_co_ci_u32_e64 v23, null, s27, v23, vcc_lo
	s_and_b32 vcc_lo, exec_lo, s1
	s_waitcnt vmcnt(15) lgkmcnt(2)
	v_add_f64 v[26:27], v[26:27], -v[56:57]
	ds_bpermute_b32 v56, v17, v14
	ds_bpermute_b32 v57, v17, v15
	s_waitcnt vmcnt(14)
	v_add_f64 v[8:9], v[8:9], v[30:31]
	s_waitcnt vmcnt(13) lgkmcnt(0)
	v_add_f64 v[32:33], v[32:33], -v[56:57]
	v_mul_f64 v[26:27], v[30:31], v[26:27]
	ds_bpermute_b32 v56, v16, v14
	ds_bpermute_b32 v57, v16, v15
	;; [unrolled: 1-line block ×4, first 2 shown]
	s_waitcnt vmcnt(11)
	v_add_f64 v[8:9], v[8:9], v[36:37]
	v_mul_f64 v[32:33], v[36:37], v[32:33]
	v_fma_f64 v[12:13], v[26:27], v[58:59], v[12:13]
	s_waitcnt lgkmcnt(2)
	v_add_f64 v[34:35], v[34:35], -v[56:57]
	ds_bpermute_b32 v26, v17, v10
	ds_bpermute_b32 v58, v18, v14
	;; [unrolled: 1-line block ×6, first 2 shown]
	s_waitcnt vmcnt(9)
	v_add_f64 v[8:9], v[8:9], v[40:41]
	v_mul_f64 v[34:35], v[40:41], v[34:35]
	s_waitcnt lgkmcnt(3)
	v_add_f64 v[38:39], v[38:39], -v[58:59]
	s_waitcnt lgkmcnt(2)
	v_fma_f64 v[12:13], v[32:33], v[26:27], v[12:13]
	ds_bpermute_b32 v26, v18, v10
	s_waitcnt vmcnt(8) lgkmcnt(1)
	v_add_f64 v[36:37], v[42:43], -v[56:57]
	ds_bpermute_b32 v32, v20, v14
	ds_bpermute_b32 v33, v20, v15
	;; [unrolled: 1-line block ×3, first 2 shown]
	s_waitcnt vmcnt(7)
	v_add_f64 v[8:9], v[8:9], v[44:45]
	v_mul_f64 v[38:39], v[44:45], v[38:39]
	v_fma_f64 v[12:13], v[34:35], v[30:31], v[12:13]
	ds_bpermute_b32 v30, v19, v10
	s_waitcnt vmcnt(6) lgkmcnt(2)
	v_add_f64 v[32:33], v[46:47], -v[32:33]
	s_waitcnt vmcnt(5)
	v_mul_f64 v[36:37], v[48:49], v[36:37]
	ds_bpermute_b32 v34, v21, v14
	ds_bpermute_b32 v35, v21, v15
	;; [unrolled: 1-line block ×3, first 2 shown]
	v_add_f64 v[8:9], v[8:9], v[48:49]
	ds_bpermute_b32 v14, v22, v14
	ds_bpermute_b32 v15, v22, v15
	s_waitcnt lgkmcnt(6)
	v_fma_f64 v[12:13], v[38:39], v[26:27], v[12:13]
	ds_bpermute_b32 v26, v20, v10
	s_waitcnt vmcnt(3)
	v_mul_f64 v[32:33], v[52:53], v[32:33]
	s_waitcnt lgkmcnt(4)
	v_add_f64 v[34:35], v[50:51], -v[34:35]
	ds_bpermute_b32 v27, v20, v11
	s_waitcnt vmcnt(2) lgkmcnt(2)
	v_add_f64 v[14:15], v[24:25], -v[14:15]
	v_add_f64 v[8:9], v[8:9], v[52:53]
	v_fma_f64 v[12:13], v[36:37], v[30:31], v[12:13]
	ds_bpermute_b32 v30, v21, v10
	ds_bpermute_b32 v31, v21, v11
	s_waitcnt vmcnt(1)
	v_mul_f64 v[24:25], v[54:55], v[34:35]
	ds_bpermute_b32 v10, v22, v10
	ds_bpermute_b32 v11, v22, v11
	s_waitcnt vmcnt(0)
	v_mul_f64 v[14:15], v[28:29], v[14:15]
	v_add_f64 v[8:9], v[8:9], v[54:55]
	s_waitcnt lgkmcnt(4)
	v_fma_f64 v[12:13], v[32:33], v[26:27], v[12:13]
	v_add_f64 v[8:9], v[8:9], v[28:29]
	s_waitcnt lgkmcnt(2)
	v_fma_f64 v[12:13], v[24:25], v[30:31], v[12:13]
	s_waitcnt lgkmcnt(0)
	v_fma_f64 v[12:13], v[14:15], v[10:11], v[12:13]
	s_cbranch_vccz .LBB31_10
.LBB31_7:                               ; =>This Inner Loop Header: Depth=1
	v_mov_b32_e32 v10, 0
	v_mov_b32_e32 v14, 0
	;; [unrolled: 1-line block ×4, first 2 shown]
	s_and_saveexec_b32 s1, s0
	s_cbranch_execz .LBB31_6
; %bb.8:                                ;   in Loop: Header=BB31_7 Depth=1
	v_mov_b32_e32 v14, 0
	v_mov_b32_e32 v10, 0
	;; [unrolled: 1-line block ×4, first 2 shown]
	s_mov_b32 s5, exec_lo
	v_cmpx_gt_i64_e64 s[20:21], v[4:5]
	s_cbranch_execz .LBB31_5
; %bb.9:                                ;   in Loop: Header=BB31_7 Depth=1
	v_add_co_u32 v10, vcc_lo, s12, v6
	v_add_co_ci_u32_e64 v11, null, s13, v7, vcc_lo
	v_add_co_u32 v24, vcc_lo, s14, v6
	v_add_co_ci_u32_e64 v25, null, s15, v7, vcc_lo
	global_load_dwordx2 v[14:15], v[10:11], off
	global_load_dwordx2 v[10:11], v[24:25], off
	s_branch .LBB31_5
.LBB31_10:
	v_mad_u32_u24 v2, 0x41, v1, v0
	s_mov_b32 s0, exec_lo
	v_lshl_add_u32 v3, v2, 3, 0
	v_sub_nc_u32_e32 v7, v2, v1
	ds_write_b64 v3, v[12:13]
	ds_write_b64 v3, v[8:9] offset:4160
	s_waitcnt lgkmcnt(0)
	s_barrier
	buffer_gl0_inv
	v_cmpx_gt_u32_e32 0x800, v7
	s_cbranch_execz .LBB31_42
; %bb.11:
	v_and_b32_e32 v1, 31, v0
	v_lshrrev_b32_e32 v8, 5, v7
                                        ; implicit-def: $vgpr3_vgpr4
	v_cmp_gt_u32_e64 s0, 8, v1
	v_mul_u32_u24_e32 v9, 0x41, v1
                                        ; implicit-def: $vgpr1_vgpr2
	s_and_saveexec_b32 s1, s0
	s_cbranch_execz .LBB31_13
; %bb.12:
	v_add_nc_u32_e32 v1, v8, v9
	v_lshl_add_u32 v1, v1, 3, 0
	ds_read_b64 v[3:4], v1
	ds_read_b64 v[1:2], v1 offset:4160
.LBB31_13:
	s_or_b32 exec_lo, exec_lo, s1
	v_mbcnt_lo_u32_b32 v14, -1, 0
	s_mov_b32 s7, 0
	v_cmp_eq_u32_e64 s1, 0, v0
	s_lshl_b64 s[2:3], s[6:7], 6
	s_cmp_lg_u64 s[16:17], 0
	v_xor_b32_e32 v5, 4, v14
	s_cselect_b32 s5, -1, 0
	s_cmp_lg_u64 s[18:19], 0
	s_cselect_b32 s4, -1, 0
	v_cmp_gt_i32_e32 vcc_lo, 32, v5
	v_cndmask_b32_e32 v5, v14, v5, vcc_lo
	v_lshlrev_b32_e32 v10, 2, v5
	s_waitcnt lgkmcnt(1)
	ds_bpermute_b32 v5, v10, v3
	ds_bpermute_b32 v6, v10, v4
	s_waitcnt lgkmcnt(2)
	ds_bpermute_b32 v11, v10, v1
	ds_bpermute_b32 v12, v10, v2
	s_waitcnt lgkmcnt(2)
	v_add_f64 v[3:4], v[3:4], v[5:6]
	v_xor_b32_e32 v5, 2, v14
	s_waitcnt lgkmcnt(0)
	v_add_f64 v[1:2], v[1:2], v[11:12]
	v_cmp_gt_i32_e32 vcc_lo, 32, v5
	v_cndmask_b32_e32 v5, v14, v5, vcc_lo
	v_lshlrev_b32_e32 v11, 2, v5
	ds_bpermute_b32 v5, v11, v3
	ds_bpermute_b32 v6, v11, v4
	;; [unrolled: 1-line block ×4, first 2 shown]
	s_waitcnt lgkmcnt(2)
	v_add_f64 v[3:4], v[3:4], v[5:6]
	s_waitcnt lgkmcnt(0)
	v_add_f64 v[5:6], v[1:2], v[12:13]
	v_xor_b32_e32 v1, 1, v14
	v_cmp_gt_i32_e32 vcc_lo, 32, v1
	v_cndmask_b32_e32 v1, v14, v1, vcc_lo
	v_lshlrev_b32_e32 v12, 2, v1
	ds_bpermute_b32 v1, v12, v3
	ds_bpermute_b32 v2, v12, v4
	;; [unrolled: 1-line block ×4, first 2 shown]
	s_waitcnt lgkmcnt(2)
	v_add_f64 v[1:2], v[3:4], v[1:2]
	s_waitcnt lgkmcnt(0)
	v_add_f64 v[3:4], v[5:6], v[13:14]
	s_and_saveexec_b32 s6, s1
	s_cbranch_execz .LBB31_18
; %bb.14:
	v_mov_b32_e32 v6, s3
	v_or_b32_e32 v5, s2, v8
	s_andn2_b32 vcc_lo, exec_lo, s5
	v_lshlrev_b64 v[5:6], 3, v[5:6]
	s_cbranch_vccnz .LBB31_16
; %bb.15:
	v_add_co_u32 v13, vcc_lo, s16, v5
	v_add_co_ci_u32_e64 v14, null, s17, v6, vcc_lo
	global_store_dwordx2 v[13:14], v[1:2], off
.LBB31_16:
	s_andn2_b32 vcc_lo, exec_lo, s4
	s_cbranch_vccnz .LBB31_18
; %bb.17:
	v_add_co_u32 v5, vcc_lo, s18, v5
	v_add_co_ci_u32_e64 v6, null, s19, v6, vcc_lo
	global_store_dwordx2 v[5:6], v[3:4], off
.LBB31_18:
	s_or_b32 exec_lo, exec_lo, s6
	v_cmp_gt_u32_e32 vcc_lo, 0x600, v7
	s_and_b32 exec_lo, exec_lo, vcc_lo
	s_cbranch_execz .LBB31_42
; %bb.19:
	s_and_saveexec_b32 s6, s0
	s_cbranch_execz .LBB31_21
; %bb.20:
	v_add_nc_u32_e32 v0, v8, v9
	v_lshl_add_u32 v0, v0, 3, 0
	ds_read_b64 v[1:2], v0 offset:128
	ds_read_b64 v[3:4], v0 offset:4288
.LBB31_21:
	s_or_b32 exec_lo, exec_lo, s6
	s_waitcnt lgkmcnt(1)
	ds_bpermute_b32 v5, v10, v1
	ds_bpermute_b32 v6, v10, v2
	s_waitcnt lgkmcnt(2)
	ds_bpermute_b32 v13, v10, v3
	ds_bpermute_b32 v14, v10, v4
	s_waitcnt lgkmcnt(2)
	v_add_f64 v[0:1], v[1:2], v[5:6]
	s_waitcnt lgkmcnt(0)
	v_add_f64 v[2:3], v[3:4], v[13:14]
	ds_bpermute_b32 v4, v11, v0
	ds_bpermute_b32 v5, v11, v1
	;; [unrolled: 1-line block ×4, first 2 shown]
	s_waitcnt lgkmcnt(2)
	v_add_f64 v[0:1], v[0:1], v[4:5]
	s_waitcnt lgkmcnt(0)
	v_add_f64 v[2:3], v[2:3], v[13:14]
	ds_bpermute_b32 v4, v12, v0
	ds_bpermute_b32 v5, v12, v1
	;; [unrolled: 1-line block ×4, first 2 shown]
	s_waitcnt lgkmcnt(2)
	v_add_f64 v[0:1], v[0:1], v[4:5]
	s_waitcnt lgkmcnt(0)
	v_add_f64 v[2:3], v[2:3], v[13:14]
	s_and_saveexec_b32 s6, s1
	s_cbranch_execz .LBB31_26
; %bb.22:
	s_andn2_b32 vcc_lo, exec_lo, s5
	s_cbranch_vccnz .LBB31_24
; %bb.23:
	v_add_co_u32 v4, s7, s2, v8
	v_add_co_ci_u32_e64 v5, null, s3, 0, s7
	v_lshlrev_b64 v[4:5], 3, v[4:5]
	v_add_co_u32 v4, vcc_lo, s16, v4
	v_add_co_ci_u32_e64 v5, null, s17, v5, vcc_lo
	global_store_dwordx2 v[4:5], v[0:1], off offset:128
.LBB31_24:
	s_andn2_b32 vcc_lo, exec_lo, s4
	s_cbranch_vccnz .LBB31_26
; %bb.25:
	v_add_co_u32 v4, s7, s2, v8
	v_add_co_ci_u32_e64 v5, null, s3, 0, s7
	v_lshlrev_b64 v[4:5], 3, v[4:5]
	v_add_co_u32 v4, vcc_lo, s18, v4
	v_add_co_ci_u32_e64 v5, null, s19, v5, vcc_lo
	global_store_dwordx2 v[4:5], v[2:3], off offset:128
.LBB31_26:
	s_or_b32 exec_lo, exec_lo, s6
	v_cmp_gt_u32_e32 vcc_lo, 0x400, v7
	s_and_b32 exec_lo, exec_lo, vcc_lo
	s_cbranch_execz .LBB31_42
; %bb.27:
	s_and_saveexec_b32 s6, s0
	s_cbranch_execz .LBB31_29
; %bb.28:
	v_add_nc_u32_e32 v0, v8, v9
	v_lshl_add_u32 v2, v0, 3, 0
	ds_read_b64 v[0:1], v2 offset:256
	ds_read_b64 v[2:3], v2 offset:4416
.LBB31_29:
	s_or_b32 exec_lo, exec_lo, s6
	s_waitcnt lgkmcnt(1)
	ds_bpermute_b32 v4, v10, v0
	ds_bpermute_b32 v5, v10, v1
	s_waitcnt lgkmcnt(2)
	ds_bpermute_b32 v13, v10, v2
	ds_bpermute_b32 v14, v10, v3
	s_waitcnt lgkmcnt(2)
	v_add_f64 v[0:1], v[0:1], v[4:5]
	s_waitcnt lgkmcnt(0)
	v_add_f64 v[2:3], v[2:3], v[13:14]
	ds_bpermute_b32 v4, v11, v0
	ds_bpermute_b32 v5, v11, v1
	;; [unrolled: 1-line block ×4, first 2 shown]
	s_waitcnt lgkmcnt(2)
	v_add_f64 v[0:1], v[0:1], v[4:5]
	s_waitcnt lgkmcnt(0)
	v_add_f64 v[2:3], v[2:3], v[13:14]
	ds_bpermute_b32 v4, v12, v0
	ds_bpermute_b32 v5, v12, v1
	ds_bpermute_b32 v13, v12, v2
	ds_bpermute_b32 v14, v12, v3
	s_waitcnt lgkmcnt(2)
	v_add_f64 v[0:1], v[0:1], v[4:5]
	s_waitcnt lgkmcnt(0)
	v_add_f64 v[2:3], v[2:3], v[13:14]
	s_and_saveexec_b32 s6, s1
	s_cbranch_execz .LBB31_34
; %bb.30:
	s_andn2_b32 vcc_lo, exec_lo, s5
	s_cbranch_vccnz .LBB31_32
; %bb.31:
	v_add_co_u32 v4, s7, s2, v8
	v_add_co_ci_u32_e64 v5, null, s3, 0, s7
	v_lshlrev_b64 v[4:5], 3, v[4:5]
	v_add_co_u32 v4, vcc_lo, s16, v4
	v_add_co_ci_u32_e64 v5, null, s17, v5, vcc_lo
	global_store_dwordx2 v[4:5], v[0:1], off offset:256
.LBB31_32:
	s_andn2_b32 vcc_lo, exec_lo, s4
	s_cbranch_vccnz .LBB31_34
; %bb.33:
	v_add_co_u32 v4, s7, s2, v8
	v_add_co_ci_u32_e64 v5, null, s3, 0, s7
	v_lshlrev_b64 v[4:5], 3, v[4:5]
	v_add_co_u32 v4, vcc_lo, s18, v4
	v_add_co_ci_u32_e64 v5, null, s19, v5, vcc_lo
	global_store_dwordx2 v[4:5], v[2:3], off offset:256
.LBB31_34:
	s_or_b32 exec_lo, exec_lo, s6
	v_cmp_gt_u32_e32 vcc_lo, 0x200, v7
	s_and_b32 exec_lo, exec_lo, vcc_lo
	s_cbranch_execz .LBB31_42
; %bb.35:
	s_and_saveexec_b32 s6, s0
	s_cbranch_execz .LBB31_37
; %bb.36:
	v_add_nc_u32_e32 v0, v8, v9
	v_lshl_add_u32 v2, v0, 3, 0
	ds_read_b64 v[0:1], v2 offset:384
	ds_read_b64 v[2:3], v2 offset:4544
.LBB31_37:
	s_or_b32 exec_lo, exec_lo, s6
	s_waitcnt lgkmcnt(1)
	ds_bpermute_b32 v4, v10, v0
	ds_bpermute_b32 v5, v10, v1
	s_waitcnt lgkmcnt(2)
	ds_bpermute_b32 v6, v10, v2
	ds_bpermute_b32 v7, v10, v3
	s_waitcnt lgkmcnt(2)
	v_add_f64 v[0:1], v[0:1], v[4:5]
	s_waitcnt lgkmcnt(0)
	v_add_f64 v[2:3], v[2:3], v[6:7]
	ds_bpermute_b32 v4, v11, v0
	ds_bpermute_b32 v5, v11, v1
	;; [unrolled: 1-line block ×4, first 2 shown]
	s_waitcnt lgkmcnt(2)
	v_add_f64 v[4:5], v[0:1], v[4:5]
	s_waitcnt lgkmcnt(0)
	v_add_f64 v[0:1], v[2:3], v[6:7]
	ds_bpermute_b32 v6, v12, v4
	ds_bpermute_b32 v7, v12, v5
	;; [unrolled: 1-line block ×4, first 2 shown]
	s_and_b32 exec_lo, exec_lo, s1
	s_cbranch_execz .LBB31_42
; %bb.38:
	s_andn2_b32 vcc_lo, exec_lo, s5
	s_cbranch_vccnz .LBB31_40
; %bb.39:
	s_waitcnt lgkmcnt(2)
	v_add_f64 v[4:5], v[4:5], v[6:7]
	v_add_co_u32 v6, s0, s2, v8
	v_add_co_ci_u32_e64 v7, null, s3, 0, s0
	v_lshlrev_b64 v[6:7], 3, v[6:7]
	v_add_co_u32 v6, vcc_lo, s16, v6
	v_add_co_ci_u32_e64 v7, null, s17, v7, vcc_lo
	global_store_dwordx2 v[6:7], v[4:5], off offset:384
.LBB31_40:
	s_andn2_b32 vcc_lo, exec_lo, s4
	s_cbranch_vccnz .LBB31_42
; %bb.41:
	s_waitcnt lgkmcnt(0)
	v_add_f64 v[0:1], v[0:1], v[2:3]
	v_add_co_u32 v2, s0, s2, v8
	v_add_co_ci_u32_e64 v3, null, s3, 0, s0
	v_lshlrev_b64 v[2:3], 3, v[2:3]
	v_add_co_u32 v2, vcc_lo, s18, v2
	v_add_co_ci_u32_e64 v3, null, s19, v3, vcc_lo
	global_store_dwordx2 v[2:3], v[0:1], off offset:384
.LBB31_42:
	s_endpgm
	.section	.rodata,"a",@progbits
	.p2align	6, 0x0
	.amdhsa_kernel _ZN2at6native12_GLOBAL__N_135GammaBetaBackwardCUDAKernelTemplateIddLj64ELj8ELj64ELb0ELb1ELb0EEEvllPKT_S5_PKT0_S8_PS3_S9_
		.amdhsa_group_segment_fixed_size 0
		.amdhsa_private_segment_fixed_size 0
		.amdhsa_kernarg_size 320
		.amdhsa_user_sgpr_count 6
		.amdhsa_user_sgpr_private_segment_buffer 1
		.amdhsa_user_sgpr_dispatch_ptr 0
		.amdhsa_user_sgpr_queue_ptr 0
		.amdhsa_user_sgpr_kernarg_segment_ptr 1
		.amdhsa_user_sgpr_dispatch_id 0
		.amdhsa_user_sgpr_flat_scratch_init 0
		.amdhsa_user_sgpr_private_segment_size 0
		.amdhsa_wavefront_size32 1
		.amdhsa_uses_dynamic_stack 0
		.amdhsa_system_sgpr_private_segment_wavefront_offset 0
		.amdhsa_system_sgpr_workgroup_id_x 1
		.amdhsa_system_sgpr_workgroup_id_y 1
		.amdhsa_system_sgpr_workgroup_id_z 0
		.amdhsa_system_sgpr_workgroup_info 0
		.amdhsa_system_vgpr_workitem_id 1
		.amdhsa_next_free_vgpr 60
		.amdhsa_next_free_sgpr 28
		.amdhsa_reserve_vcc 1
		.amdhsa_reserve_flat_scratch 0
		.amdhsa_float_round_mode_32 0
		.amdhsa_float_round_mode_16_64 0
		.amdhsa_float_denorm_mode_32 3
		.amdhsa_float_denorm_mode_16_64 3
		.amdhsa_dx10_clamp 1
		.amdhsa_ieee_mode 1
		.amdhsa_fp16_overflow 0
		.amdhsa_workgroup_processor_mode 1
		.amdhsa_memory_ordered 1
		.amdhsa_forward_progress 1
		.amdhsa_shared_vgpr_count 0
		.amdhsa_exception_fp_ieee_invalid_op 0
		.amdhsa_exception_fp_denorm_src 0
		.amdhsa_exception_fp_ieee_div_zero 0
		.amdhsa_exception_fp_ieee_overflow 0
		.amdhsa_exception_fp_ieee_underflow 0
		.amdhsa_exception_fp_ieee_inexact 0
		.amdhsa_exception_int_div_zero 0
	.end_amdhsa_kernel
	.section	.text._ZN2at6native12_GLOBAL__N_135GammaBetaBackwardCUDAKernelTemplateIddLj64ELj8ELj64ELb0ELb1ELb0EEEvllPKT_S5_PKT0_S8_PS3_S9_,"axG",@progbits,_ZN2at6native12_GLOBAL__N_135GammaBetaBackwardCUDAKernelTemplateIddLj64ELj8ELj64ELb0ELb1ELb0EEEvllPKT_S5_PKT0_S8_PS3_S9_,comdat
.Lfunc_end31:
	.size	_ZN2at6native12_GLOBAL__N_135GammaBetaBackwardCUDAKernelTemplateIddLj64ELj8ELj64ELb0ELb1ELb0EEEvllPKT_S5_PKT0_S8_PS3_S9_, .Lfunc_end31-_ZN2at6native12_GLOBAL__N_135GammaBetaBackwardCUDAKernelTemplateIddLj64ELj8ELj64ELb0ELb1ELb0EEEvllPKT_S5_PKT0_S8_PS3_S9_
                                        ; -- End function
	.set _ZN2at6native12_GLOBAL__N_135GammaBetaBackwardCUDAKernelTemplateIddLj64ELj8ELj64ELb0ELb1ELb0EEEvllPKT_S5_PKT0_S8_PS3_S9_.num_vgpr, 60
	.set _ZN2at6native12_GLOBAL__N_135GammaBetaBackwardCUDAKernelTemplateIddLj64ELj8ELj64ELb0ELb1ELb0EEEvllPKT_S5_PKT0_S8_PS3_S9_.num_agpr, 0
	.set _ZN2at6native12_GLOBAL__N_135GammaBetaBackwardCUDAKernelTemplateIddLj64ELj8ELj64ELb0ELb1ELb0EEEvllPKT_S5_PKT0_S8_PS3_S9_.numbered_sgpr, 28
	.set _ZN2at6native12_GLOBAL__N_135GammaBetaBackwardCUDAKernelTemplateIddLj64ELj8ELj64ELb0ELb1ELb0EEEvllPKT_S5_PKT0_S8_PS3_S9_.num_named_barrier, 0
	.set _ZN2at6native12_GLOBAL__N_135GammaBetaBackwardCUDAKernelTemplateIddLj64ELj8ELj64ELb0ELb1ELb0EEEvllPKT_S5_PKT0_S8_PS3_S9_.private_seg_size, 0
	.set _ZN2at6native12_GLOBAL__N_135GammaBetaBackwardCUDAKernelTemplateIddLj64ELj8ELj64ELb0ELb1ELb0EEEvllPKT_S5_PKT0_S8_PS3_S9_.uses_vcc, 1
	.set _ZN2at6native12_GLOBAL__N_135GammaBetaBackwardCUDAKernelTemplateIddLj64ELj8ELj64ELb0ELb1ELb0EEEvllPKT_S5_PKT0_S8_PS3_S9_.uses_flat_scratch, 0
	.set _ZN2at6native12_GLOBAL__N_135GammaBetaBackwardCUDAKernelTemplateIddLj64ELj8ELj64ELb0ELb1ELb0EEEvllPKT_S5_PKT0_S8_PS3_S9_.has_dyn_sized_stack, 0
	.set _ZN2at6native12_GLOBAL__N_135GammaBetaBackwardCUDAKernelTemplateIddLj64ELj8ELj64ELb0ELb1ELb0EEEvllPKT_S5_PKT0_S8_PS3_S9_.has_recursion, 0
	.set _ZN2at6native12_GLOBAL__N_135GammaBetaBackwardCUDAKernelTemplateIddLj64ELj8ELj64ELb0ELb1ELb0EEEvllPKT_S5_PKT0_S8_PS3_S9_.has_indirect_call, 0
	.section	.AMDGPU.csdata,"",@progbits
; Kernel info:
; codeLenInByte = 3080
; TotalNumSgprs: 30
; NumVgprs: 60
; ScratchSize: 0
; MemoryBound: 0
; FloatMode: 240
; IeeeMode: 1
; LDSByteSize: 0 bytes/workgroup (compile time only)
; SGPRBlocks: 0
; VGPRBlocks: 7
; NumSGPRsForWavesPerEU: 30
; NumVGPRsForWavesPerEU: 60
; Occupancy: 16
; WaveLimiterHint : 0
; COMPUTE_PGM_RSRC2:SCRATCH_EN: 0
; COMPUTE_PGM_RSRC2:USER_SGPR: 6
; COMPUTE_PGM_RSRC2:TRAP_HANDLER: 0
; COMPUTE_PGM_RSRC2:TGID_X_EN: 1
; COMPUTE_PGM_RSRC2:TGID_Y_EN: 1
; COMPUTE_PGM_RSRC2:TGID_Z_EN: 0
; COMPUTE_PGM_RSRC2:TIDIG_COMP_CNT: 1
	.section	.text._ZN2at6native12_GLOBAL__N_135GammaBetaBackwardCUDAKernelTemplateIddLj64ELj8ELj64ELb0ELb0ELb0EEEvllPKT_S5_PKT0_S8_PS3_S9_,"axG",@progbits,_ZN2at6native12_GLOBAL__N_135GammaBetaBackwardCUDAKernelTemplateIddLj64ELj8ELj64ELb0ELb0ELb0EEEvllPKT_S5_PKT0_S8_PS3_S9_,comdat
	.globl	_ZN2at6native12_GLOBAL__N_135GammaBetaBackwardCUDAKernelTemplateIddLj64ELj8ELj64ELb0ELb0ELb0EEEvllPKT_S5_PKT0_S8_PS3_S9_ ; -- Begin function _ZN2at6native12_GLOBAL__N_135GammaBetaBackwardCUDAKernelTemplateIddLj64ELj8ELj64ELb0ELb0ELb0EEEvllPKT_S5_PKT0_S8_PS3_S9_
	.p2align	8
	.type	_ZN2at6native12_GLOBAL__N_135GammaBetaBackwardCUDAKernelTemplateIddLj64ELj8ELj64ELb0ELb0ELb0EEEvllPKT_S5_PKT0_S8_PS3_S9_,@function
_ZN2at6native12_GLOBAL__N_135GammaBetaBackwardCUDAKernelTemplateIddLj64ELj8ELj64ELb0ELb0ELb0EEEvllPKT_S5_PKT0_S8_PS3_S9_: ; @_ZN2at6native12_GLOBAL__N_135GammaBetaBackwardCUDAKernelTemplateIddLj64ELj8ELj64ELb0ELb0ELb0EEEvllPKT_S5_PKT0_S8_PS3_S9_
; %bb.0:
	s_clause 0x1
	s_load_dwordx8 s[8:15], s[4:5], 0x0
	s_load_dwordx4 s[16:19], s[4:5], 0x20
	s_lshl_b32 s28, s6, 6
	s_mov_b32 s3, 0
	s_or_b32 s2, s28, 63
	s_waitcnt lgkmcnt(0)
	v_cmp_le_i64_e64 s0, s[10:11], s[2:3]
	s_lshl_b32 s2, s7, 6
	v_cmp_gt_i64_e64 s7, s[8:9], s[2:3]
	s_and_b32 vcc_lo, exec_lo, s0
	v_cndmask_b32_e64 v2, 0, 1, s7
	v_cmp_ne_u32_e64 s0, 1, v2
	s_cbranch_vccz .LBB32_48
; %bb.1:
	v_mov_b32_e32 v37, 0
	v_mov_b32_e32 v35, 0
	;; [unrolled: 1-line block ×4, first 2 shown]
	s_and_b32 vcc_lo, exec_lo, s0
	s_cbranch_vccnz .LBB32_49
; %bb.2:
	v_lshlrev_b32_e32 v45, 3, v1
	v_mov_b32_e32 v2, 0
	v_add_nc_u32_e32 v5, s28, v0
	s_load_dword s1, s[4:5], 0x44
	s_add_u32 s20, s4, 64
	v_add_co_u32 v11, s0, v45, s2
	v_add_co_ci_u32_e64 v12, null, 0, 0, s0
	v_mov_b32_e32 v6, v2
	v_mul_lo_u32 v7, s11, v11
	v_mad_u64_u32 v[3:4], null, s10, v11, 0
	v_mul_lo_u32 v8, s10, v12
	v_cmp_gt_i64_e64 s0, s[10:11], v[5:6]
	v_lshlrev_b64 v[39:40], 3, v[5:6]
	s_addc_u32 s21, s5, 0
	v_mov_b32_e32 v35, 0
	v_mov_b32_e32 v37, 0
	;; [unrolled: 1-line block ×4, first 2 shown]
	v_add3_u32 v4, v4, v8, v7
	v_add_co_u32 v7, vcc_lo, v11, 7
	v_add_co_ci_u32_e64 v8, null, 0, v12, vcc_lo
	v_lshlrev_b64 v[5:6], 3, v[3:4]
	v_mul_lo_u32 v13, s11, v7
	s_waitcnt lgkmcnt(0)
	s_lshl_b32 s29, s1, 6
	v_mul_lo_u32 v14, s10, v8
	v_mad_u64_u32 v[7:8], null, s10, v7, 0
	v_add_co_u32 v46, vcc_lo, s12, v5
	v_add_co_ci_u32_e64 v47, null, s13, v6, vcc_lo
	v_add_co_u32 v9, vcc_lo, v11, 6
	v_add_co_ci_u32_e64 v10, null, 0, v12, vcc_lo
	v_add_co_u32 v48, vcc_lo, s14, v5
	v_mul_lo_u32 v15, s11, v9
	v_mul_lo_u32 v16, s10, v10
	v_mad_u64_u32 v[9:10], null, s10, v9, 0
	v_add3_u32 v8, v8, v14, v13
	v_add_co_ci_u32_e64 v49, null, s15, v6, vcc_lo
	v_add_co_u32 v13, vcc_lo, v11, 5
	v_add_co_ci_u32_e64 v14, null, 0, v12, vcc_lo
	v_add3_u32 v10, v10, v16, v15
	v_lshlrev_b64 v[5:6], 3, v[7:8]
	v_mul_lo_u32 v15, s11, v13
	v_mul_lo_u32 v14, s10, v14
	s_mul_i32 s1, s11, s29
	v_lshlrev_b64 v[7:8], 3, v[9:10]
	v_mad_u64_u32 v[9:10], null, s10, v13, 0
	v_add_co_u32 v50, vcc_lo, s12, v5
	v_add_co_ci_u32_e64 v51, null, s13, v6, vcc_lo
	v_add_co_u32 v52, vcc_lo, s14, v5
	v_add_co_ci_u32_e64 v53, null, s15, v6, vcc_lo
	v_add_co_u32 v54, vcc_lo, s12, v7
	v_add3_u32 v10, v10, v14, v15
	s_mul_hi_u32 s22, s10, s29
	v_add_co_ci_u32_e64 v55, null, s13, v8, vcc_lo
	v_add_co_u32 v13, vcc_lo, v11, 4
	s_add_i32 s23, s22, s1
	v_add_co_u32 v56, s1, s14, v7
	v_add_co_ci_u32_e64 v7, null, 0, v12, vcc_lo
	v_lshlrev_b64 v[5:6], 3, v[9:10]
	v_add_co_u32 v9, vcc_lo, v11, 3
	v_add_co_ci_u32_e64 v10, null, 0, v12, vcc_lo
	v_add_co_ci_u32_e64 v57, null, s15, v8, s1
	v_mul_lo_u32 v14, s11, v13
	v_mul_lo_u32 v15, s10, v7
	v_mad_u64_u32 v[7:8], null, s10, v13, 0
	v_mul_lo_u32 v13, s11, v9
	v_mul_lo_u32 v16, s10, v10
	v_mad_u64_u32 v[9:10], null, s10, v9, 0
	v_add_co_u32 v58, vcc_lo, s12, v5
	v_add_co_ci_u32_e64 v59, null, s13, v6, vcc_lo
	v_add3_u32 v8, v8, v15, v14
	v_add_co_u32 v60, vcc_lo, s14, v5
	v_add_co_ci_u32_e64 v61, null, s15, v6, vcc_lo
	v_add_co_u32 v11, vcc_lo, v11, 2
	v_add3_u32 v10, v10, v16, v13
	v_add_co_ci_u32_e64 v12, null, 0, v12, vcc_lo
	v_lshlrev_b64 v[5:6], 3, v[7:8]
	v_mul_lo_u32 v13, s11, v11
	v_lshlrev_b64 v[7:8], 3, v[9:10]
	v_mul_lo_u32 v12, s10, v12
	v_mad_u64_u32 v[9:10], null, s10, v11, 0
	v_add_co_u32 v62, vcc_lo, s12, v5
	v_add_co_ci_u32_e64 v63, null, s13, v6, vcc_lo
	v_add_co_u32 v64, vcc_lo, s14, v5
	v_add_co_ci_u32_e64 v65, null, s15, v6, vcc_lo
	;; [unrolled: 2-line block ×3, first 2 shown]
	v_add3_u32 v10, v10, v12, v13
	v_add_co_u32 v68, vcc_lo, s14, v7
	v_add_co_ci_u32_e64 v69, null, s15, v8, vcc_lo
	v_add_co_u32 v3, vcc_lo, v3, s10
	v_add_co_ci_u32_e64 v4, null, s11, v4, vcc_lo
	v_lshlrev_b64 v[5:6], 3, v[9:10]
	s_mul_i32 s22, s10, s29
	s_mov_b64 s[26:27], s[2:3]
	v_lshlrev_b64 v[3:4], 3, v[3:4]
	s_lshl_b64 s[22:23], s[22:23], 3
	s_add_u32 s24, s2, 63
	v_add_co_u32 v70, vcc_lo, s12, v5
	v_add_co_ci_u32_e64 v71, null, s13, v6, vcc_lo
	v_add_co_u32 v72, vcc_lo, s14, v5
	v_add_co_ci_u32_e64 v73, null, s15, v6, vcc_lo
	;; [unrolled: 2-line block ×4, first 2 shown]
	s_addc_u32 s25, 0, 0
	s_branch .LBB32_5
.LBB32_3:                               ;   in Loop: Header=BB32_5 Depth=1
	s_or_b32 exec_lo, exec_lo, s1
	s_waitcnt vmcnt(1)
	ds_bpermute_b32 v78, v2, v41
	ds_bpermute_b32 v79, v2, v42
	ds_bpermute_b32 v80, v2, v41 offset:4
	ds_bpermute_b32 v81, v2, v42 offset:4
	s_waitcnt vmcnt(0) lgkmcnt(2)
	v_add_f64 v[19:20], v[19:20], -v[78:79]
	ds_bpermute_b32 v78, v2, v41 offset:8
	s_waitcnt lgkmcnt(1)
	v_add_f64 v[21:22], v[21:22], -v[80:81]
	ds_bpermute_b32 v79, v2, v42 offset:8
	ds_bpermute_b32 v80, v2, v43
	ds_bpermute_b32 v81, v2, v44
	v_mul_f64 v[19:20], v[3:4], v[19:20]
	v_add_f64 v[3:4], v[37:38], v[3:4]
	s_waitcnt lgkmcnt(2)
	v_add_f64 v[23:24], v[23:24], -v[78:79]
	v_mul_f64 v[21:22], v[5:6], v[21:22]
	ds_bpermute_b32 v37, v2, v41 offset:12
	ds_bpermute_b32 v38, v2, v42 offset:12
	;; [unrolled: 1-line block ×4, first 2 shown]
	s_waitcnt lgkmcnt(4)
	v_fma_f64 v[19:20], v[19:20], v[80:81], v[35:36]
	ds_bpermute_b32 v35, v2, v43 offset:4
	ds_bpermute_b32 v36, v2, v44 offset:4
	s_waitcnt lgkmcnt(4)
	v_add_f64 v[25:26], v[25:26], -v[37:38]
	v_add_f64 v[3:4], v[5:6], v[3:4]
	v_mul_f64 v[5:6], v[7:8], v[23:24]
	s_waitcnt lgkmcnt(2)
	v_add_f64 v[27:28], v[27:28], -v[78:79]
	ds_bpermute_b32 v23, v2, v41 offset:20
	ds_bpermute_b32 v24, v2, v42 offset:20
	s_waitcnt lgkmcnt(2)
	v_fma_f64 v[19:20], v[21:22], v[35:36], v[19:20]
	ds_bpermute_b32 v21, v2, v43 offset:8
	ds_bpermute_b32 v22, v2, v44 offset:8
	v_mul_f64 v[25:26], v[9:10], v[25:26]
	v_add_f64 v[3:4], v[7:8], v[3:4]
	ds_bpermute_b32 v7, v2, v43 offset:12
	ds_bpermute_b32 v8, v2, v44 offset:12
	s_waitcnt lgkmcnt(2)
	v_fma_f64 v[5:6], v[5:6], v[21:22], v[19:20]
	v_add_f64 v[21:22], v[29:30], -v[23:24]
	v_mul_f64 v[23:24], v[11:12], v[27:28]
	ds_bpermute_b32 v19, v2, v41 offset:24
	v_add_f64 v[3:4], v[9:10], v[3:4]
	ds_bpermute_b32 v20, v2, v42 offset:24
	s_waitcnt lgkmcnt(2)
	v_fma_f64 v[5:6], v[25:26], v[7:8], v[5:6]
	ds_bpermute_b32 v7, v2, v43 offset:16
	ds_bpermute_b32 v8, v2, v44 offset:16
	s_waitcnt lgkmcnt(2)
	v_add_f64 v[9:10], v[31:32], -v[19:20]
	v_mul_f64 v[19:20], v[13:14], v[21:22]
	v_add_f64 v[3:4], v[11:12], v[3:4]
	ds_bpermute_b32 v11, v2, v43 offset:24
	ds_bpermute_b32 v12, v2, v44 offset:24
	s_waitcnt lgkmcnt(2)
	v_fma_f64 v[5:6], v[23:24], v[7:8], v[5:6]
	ds_bpermute_b32 v7, v2, v43 offset:20
	ds_bpermute_b32 v8, v2, v44 offset:20
	v_mul_f64 v[9:10], v[15:16], v[9:10]
	ds_bpermute_b32 v43, v2, v43 offset:28
	v_add_f64 v[3:4], v[13:14], v[3:4]
	ds_bpermute_b32 v44, v2, v44 offset:28
	s_waitcnt lgkmcnt(2)
	v_fma_f64 v[7:8], v[19:20], v[7:8], v[5:6]
	v_add_f64 v[5:6], v[15:16], v[3:4]
	v_fma_f64 v[3:4], v[9:10], v[11:12], v[7:8]
	ds_bpermute_b32 v7, v2, v41 offset:28
	ds_bpermute_b32 v8, v2, v42 offset:28
.LBB32_4:                               ;   in Loop: Header=BB32_5 Depth=1
	s_waitcnt lgkmcnt(0)
	v_add_f64 v[7:8], v[33:34], -v[7:8]
	v_add_f64 v[37:38], v[5:6], v[17:18]
	v_add_co_u32 v46, vcc_lo, v46, s22
	v_add_co_ci_u32_e64 v47, null, s23, v47, vcc_lo
	v_add_co_u32 v48, vcc_lo, v48, s22
	v_add_co_ci_u32_e64 v49, null, s23, v49, vcc_lo
	;; [unrolled: 2-line block ×5, first 2 shown]
	v_mul_f64 v[5:6], v[17:18], v[7:8]
	v_add_co_u32 v56, vcc_lo, v56, s22
	v_add_co_ci_u32_e64 v57, null, s23, v57, vcc_lo
	v_add_co_u32 v58, vcc_lo, v58, s22
	v_add_co_ci_u32_e64 v59, null, s23, v59, vcc_lo
	v_add_co_u32 v60, vcc_lo, v60, s22
	v_add_co_ci_u32_e64 v61, null, s23, v61, vcc_lo
	v_add_co_u32 v62, vcc_lo, v62, s22
	v_add_co_ci_u32_e64 v63, null, s23, v63, vcc_lo
	v_add_co_u32 v64, vcc_lo, v64, s22
	v_add_co_ci_u32_e64 v65, null, s23, v65, vcc_lo
	v_add_co_u32 v66, vcc_lo, v66, s22
	v_fma_f64 v[35:36], v[5:6], v[43:44], v[3:4]
	v_add_co_ci_u32_e64 v67, null, s23, v67, vcc_lo
	v_add_co_u32 v68, vcc_lo, v68, s22
	v_add_co_ci_u32_e64 v69, null, s23, v69, vcc_lo
	v_add_co_u32 v70, vcc_lo, v70, s22
	s_add_u32 s26, s26, s29
	v_add_co_ci_u32_e64 v71, null, s23, v71, vcc_lo
	v_add_co_u32 v72, vcc_lo, v72, s22
	s_addc_u32 s27, s27, 0
	v_add_co_ci_u32_e64 v73, null, s23, v73, vcc_lo
	v_add_co_u32 v74, vcc_lo, v74, s22
	v_cmp_lt_i64_e64 s1, s[26:27], s[8:9]
	v_add_co_ci_u32_e64 v75, null, s23, v75, vcc_lo
	v_add_co_u32 v76, vcc_lo, v76, s22
	v_add_co_ci_u32_e64 v77, null, s23, v77, vcc_lo
	s_add_u32 s24, s24, s29
	s_addc_u32 s25, s25, 0
	s_and_b32 vcc_lo, exec_lo, s1
	s_cbranch_vccz .LBB32_49
.LBB32_5:                               ; =>This Inner Loop Header: Depth=1
	v_cmp_ge_i64_e64 s1, s[24:25], s[8:9]
	v_add_co_u32 v78, s30, v45, s24
	v_add_co_ci_u32_e64 v79, null, 0, s25, s30
                                        ; implicit-def: $vgpr3_vgpr4_vgpr5_vgpr6_vgpr7_vgpr8_vgpr9_vgpr10_vgpr11_vgpr12_vgpr13_vgpr14_vgpr15_vgpr16_vgpr17_vgpr18
                                        ; implicit-def: $vgpr43_vgpr44
                                        ; implicit-def: $vgpr19_vgpr20_vgpr21_vgpr22_vgpr23_vgpr24_vgpr25_vgpr26_vgpr27_vgpr28_vgpr29_vgpr30_vgpr31_vgpr32_vgpr33_vgpr34
                                        ; implicit-def: $vgpr7
	s_and_b32 vcc_lo, exec_lo, s1
	s_mov_b32 s1, -1
                                        ; implicit-def: $vgpr5_vgpr6
                                        ; implicit-def: $vgpr3_vgpr4
	s_cbranch_vccz .LBB32_27
; %bb.6:                                ;   in Loop: Header=BB32_5 Depth=1
	s_load_dword s1, s[20:21], 0xc
	v_mov_b32_e32 v43, 0
	v_mov_b32_e32 v41, 0
	;; [unrolled: 1-line block ×4, first 2 shown]
	s_waitcnt lgkmcnt(0)
	s_and_b32 s1, s1, 0xffff
	v_mad_u32_u24 v3, v1, s1, v0
	s_mov_b32 s1, exec_lo
	v_and_b32_e32 v3, 31, v3
	v_cmpx_gt_u32_e32 8, v3
	s_cbranch_execz .LBB32_10
; %bb.7:                                ;   in Loop: Header=BB32_5 Depth=1
	v_add_co_u32 v3, vcc_lo, v78, v3
	v_add_co_ci_u32_e64 v4, null, 0, v79, vcc_lo
	v_mov_b32_e32 v41, 0
	v_add_co_u32 v3, vcc_lo, 0xffffffc1, v3
	v_mov_b32_e32 v43, 0
	v_add_co_ci_u32_e64 v4, null, -1, v4, vcc_lo
	v_mov_b32_e32 v42, 0
	v_mov_b32_e32 v44, 0
	s_mov_b32 s30, exec_lo
	v_cmpx_gt_i64_e64 s[8:9], v[3:4]
	s_cbranch_execz .LBB32_9
; %bb.8:                                ;   in Loop: Header=BB32_5 Depth=1
	v_lshlrev_b64 v[3:4], 3, v[3:4]
	v_add_co_u32 v5, vcc_lo, s16, v3
	v_add_co_ci_u32_e64 v6, null, s17, v4, vcc_lo
	v_add_co_u32 v3, vcc_lo, s18, v3
	v_add_co_ci_u32_e64 v4, null, s19, v4, vcc_lo
	global_load_dwordx2 v[41:42], v[5:6], off
	global_load_dwordx2 v[43:44], v[3:4], off
.LBB32_9:                               ;   in Loop: Header=BB32_5 Depth=1
	s_or_b32 exec_lo, exec_lo, s30
.LBB32_10:                              ;   in Loop: Header=BB32_5 Depth=1
	s_or_b32 exec_lo, exec_lo, s1
	v_add_co_u32 v18, vcc_lo, 0xffffffc1, v78
	v_add_co_ci_u32_e64 v19, null, -1, v79, vcc_lo
	v_mov_b32_e32 v17, v2
	v_mov_b32_e32 v3, v2
	;; [unrolled: 1-line block ×15, first 2 shown]
	v_cmp_gt_i64_e32 vcc_lo, s[8:9], v[18:19]
	v_mov_b32_e32 v34, v17
	v_mov_b32_e32 v31, v14
	v_mov_b32_e32 v32, v15
	v_mov_b32_e32 v33, v16
	v_mov_b32_e32 v30, v13
	v_mov_b32_e32 v29, v12
	v_mov_b32_e32 v28, v11
	v_mov_b32_e32 v27, v10
	v_mov_b32_e32 v26, v9
	v_mov_b32_e32 v25, v8
	v_mov_b32_e32 v24, v7
	v_mov_b32_e32 v23, v6
	v_mov_b32_e32 v22, v5
	v_mov_b32_e32 v21, v4
	v_mov_b32_e32 v20, v3
	v_mov_b32_e32 v19, v2
	v_mov_b32_e32 v18, v17
	v_mov_b32_e32 v17, v16
	v_mov_b32_e32 v16, v15
	v_mov_b32_e32 v15, v14
	v_mov_b32_e32 v14, v13
	v_mov_b32_e32 v13, v12
	v_mov_b32_e32 v12, v11
	v_mov_b32_e32 v11, v10
	v_mov_b32_e32 v10, v9
	v_mov_b32_e32 v9, v8
	v_mov_b32_e32 v8, v7
	v_mov_b32_e32 v7, v6
	v_mov_b32_e32 v6, v5
	v_mov_b32_e32 v5, v4
	v_mov_b32_e32 v4, v3
	v_mov_b32_e32 v3, v2
	s_and_b32 s30, s0, vcc_lo
	s_and_saveexec_b32 s1, s30
	s_cbranch_execz .LBB32_12
; %bb.11:                               ;   in Loop: Header=BB32_5 Depth=1
	v_add_co_u32 v3, vcc_lo, v46, v39
	v_add_co_ci_u32_e64 v4, null, v47, v40, vcc_lo
	v_add_co_u32 v5, vcc_lo, v48, v39
	v_add_co_ci_u32_e64 v6, null, v49, v40, vcc_lo
	global_load_dwordx2 v[3:4], v[3:4], off
	global_load_dwordx2 v[19:20], v[5:6], off
	v_mov_b32_e32 v5, v2
	v_mov_b32_e32 v6, v2
	;; [unrolled: 1-line block ×28, first 2 shown]
.LBB32_12:                              ;   in Loop: Header=BB32_5 Depth=1
	s_or_b32 exec_lo, exec_lo, s1
	v_add_co_u32 v80, vcc_lo, 0xffffffc2, v78
	v_add_co_ci_u32_e64 v81, null, -1, v79, vcc_lo
	v_cmp_gt_i64_e32 vcc_lo, s[8:9], v[80:81]
	s_and_b32 s30, s0, vcc_lo
	s_and_saveexec_b32 s1, s30
	s_cbranch_execz .LBB32_14
; %bb.13:                               ;   in Loop: Header=BB32_5 Depth=1
	v_add_co_u32 v5, vcc_lo, v74, v39
	v_add_co_ci_u32_e64 v6, null, v75, v40, vcc_lo
	v_add_co_u32 v21, vcc_lo, v76, v39
	v_add_co_ci_u32_e64 v22, null, v77, v40, vcc_lo
	global_load_dwordx2 v[5:6], v[5:6], off
	global_load_dwordx2 v[21:22], v[21:22], off
.LBB32_14:                              ;   in Loop: Header=BB32_5 Depth=1
	s_or_b32 exec_lo, exec_lo, s1
	v_add_co_u32 v80, vcc_lo, 0xffffffc3, v78
	v_add_co_ci_u32_e64 v81, null, -1, v79, vcc_lo
	v_cmp_gt_i64_e32 vcc_lo, s[8:9], v[80:81]
	s_and_b32 s30, s0, vcc_lo
	s_and_saveexec_b32 s1, s30
	s_cbranch_execz .LBB32_16
; %bb.15:                               ;   in Loop: Header=BB32_5 Depth=1
	v_add_co_u32 v7, vcc_lo, v70, v39
	v_add_co_ci_u32_e64 v8, null, v71, v40, vcc_lo
	v_add_co_u32 v23, vcc_lo, v72, v39
	v_add_co_ci_u32_e64 v24, null, v73, v40, vcc_lo
	global_load_dwordx2 v[7:8], v[7:8], off
	global_load_dwordx2 v[23:24], v[23:24], off
.LBB32_16:                              ;   in Loop: Header=BB32_5 Depth=1
	;; [unrolled: 15-line block ×7, first 2 shown]
	s_or_b32 exec_lo, exec_lo, s1
	s_waitcnt vmcnt(1)
	ds_bpermute_b32 v80, v2, v41
	ds_bpermute_b32 v81, v2, v42
	ds_bpermute_b32 v82, v2, v41 offset:4
	ds_bpermute_b32 v83, v2, v42 offset:4
	;; [unrolled: 1-line block ×4, first 2 shown]
	s_mov_b32 s1, 0
	s_waitcnt vmcnt(0) lgkmcnt(4)
	v_add_f64 v[19:20], v[19:20], -v[80:81]
	ds_bpermute_b32 v80, v2, v41 offset:8
	s_waitcnt lgkmcnt(3)
	v_add_f64 v[21:22], v[21:22], -v[82:83]
	ds_bpermute_b32 v81, v2, v42 offset:8
	ds_bpermute_b32 v82, v2, v43
	ds_bpermute_b32 v83, v2, v44
	s_waitcnt lgkmcnt(4)
	v_add_f64 v[25:26], v[25:26], -v[84:85]
	v_mul_f64 v[19:20], v[3:4], v[19:20]
	v_add_f64 v[3:4], v[37:38], v[3:4]
	s_waitcnt lgkmcnt(2)
	v_add_f64 v[23:24], v[23:24], -v[80:81]
	v_mul_f64 v[21:22], v[5:6], v[21:22]
	ds_bpermute_b32 v80, v2, v43 offset:4
	ds_bpermute_b32 v81, v2, v44 offset:4
	v_mul_f64 v[25:26], v[9:10], v[25:26]
	s_waitcnt lgkmcnt(2)
	v_fma_f64 v[19:20], v[19:20], v[82:83], v[35:36]
	v_add_f64 v[3:4], v[5:6], v[3:4]
	v_mul_f64 v[5:6], v[7:8], v[23:24]
	ds_bpermute_b32 v82, v2, v41 offset:16
	ds_bpermute_b32 v83, v2, v42 offset:16
	;; [unrolled: 1-line block ×4, first 2 shown]
	s_waitcnt lgkmcnt(4)
	v_fma_f64 v[19:20], v[21:22], v[80:81], v[19:20]
	ds_bpermute_b32 v21, v2, v43 offset:8
	ds_bpermute_b32 v22, v2, v44 offset:8
	s_waitcnt lgkmcnt(4)
	v_add_f64 v[27:28], v[27:28], -v[82:83]
	v_add_f64 v[3:4], v[7:8], v[3:4]
	ds_bpermute_b32 v7, v2, v43 offset:12
	ds_bpermute_b32 v8, v2, v44 offset:12
	s_waitcnt lgkmcnt(2)
	v_fma_f64 v[5:6], v[5:6], v[21:22], v[19:20]
	v_add_f64 v[21:22], v[29:30], -v[23:24]
	ds_bpermute_b32 v19, v2, v41 offset:24
	v_mul_f64 v[23:24], v[11:12], v[27:28]
	v_add_f64 v[3:4], v[9:10], v[3:4]
	ds_bpermute_b32 v20, v2, v42 offset:24
	s_waitcnt lgkmcnt(2)
	v_fma_f64 v[5:6], v[25:26], v[7:8], v[5:6]
	ds_bpermute_b32 v7, v2, v43 offset:16
	ds_bpermute_b32 v8, v2, v44 offset:16
	s_waitcnt lgkmcnt(2)
	v_add_f64 v[9:10], v[31:32], -v[19:20]
	v_mul_f64 v[19:20], v[13:14], v[21:22]
	v_add_f64 v[3:4], v[11:12], v[3:4]
	ds_bpermute_b32 v11, v2, v43 offset:24
	ds_bpermute_b32 v12, v2, v44 offset:24
	s_waitcnt lgkmcnt(2)
	v_fma_f64 v[5:6], v[23:24], v[7:8], v[5:6]
	ds_bpermute_b32 v7, v2, v43 offset:20
	ds_bpermute_b32 v8, v2, v44 offset:20
	v_mul_f64 v[9:10], v[15:16], v[9:10]
	ds_bpermute_b32 v43, v2, v43 offset:28
	v_add_f64 v[3:4], v[13:14], v[3:4]
	ds_bpermute_b32 v44, v2, v44 offset:28
	s_waitcnt lgkmcnt(2)
	v_fma_f64 v[7:8], v[19:20], v[7:8], v[5:6]
	v_add_f64 v[5:6], v[15:16], v[3:4]
	v_fma_f64 v[3:4], v[9:10], v[11:12], v[7:8]
	ds_bpermute_b32 v7, v2, v41 offset:28
	ds_bpermute_b32 v8, v2, v42 offset:28
.LBB32_27:                              ;   in Loop: Header=BB32_5 Depth=1
	s_and_b32 vcc_lo, exec_lo, s1
	s_cbranch_vccz .LBB32_4
; %bb.28:                               ;   in Loop: Header=BB32_5 Depth=1
	s_load_dword s1, s[20:21], 0x0
	s_waitcnt lgkmcnt(0)
	v_mov_b32_e32 v43, 0
	v_mov_b32_e32 v41, 0
	;; [unrolled: 1-line block ×4, first 2 shown]
	s_cmp_lt_u32 s6, s1
	s_cselect_b32 s1, 12, 18
	s_add_u32 s30, s20, s1
	s_addc_u32 s31, s21, 0
	s_mov_b32 s1, exec_lo
	global_load_ushort v3, v2, s[30:31]
	s_waitcnt vmcnt(0)
	v_mad_u32_u24 v3, v1, v3, v0
	v_and_b32_e32 v3, 31, v3
	v_cmpx_gt_u32_e32 8, v3
	s_cbranch_execz .LBB32_32
; %bb.29:                               ;   in Loop: Header=BB32_5 Depth=1
	v_add_co_u32 v3, vcc_lo, v78, v3
	v_add_co_ci_u32_e64 v4, null, 0, v79, vcc_lo
	v_mov_b32_e32 v41, 0
	v_add_co_u32 v3, vcc_lo, 0xffffffc1, v3
	v_mov_b32_e32 v43, 0
	v_add_co_ci_u32_e64 v4, null, -1, v4, vcc_lo
	v_mov_b32_e32 v42, 0
	v_mov_b32_e32 v44, 0
	s_mov_b32 s30, exec_lo
	v_cmpx_gt_i64_e64 s[8:9], v[3:4]
	s_cbranch_execz .LBB32_31
; %bb.30:                               ;   in Loop: Header=BB32_5 Depth=1
	v_lshlrev_b64 v[3:4], 3, v[3:4]
	v_add_co_u32 v5, vcc_lo, s16, v3
	v_add_co_ci_u32_e64 v6, null, s17, v4, vcc_lo
	v_add_co_u32 v3, vcc_lo, s18, v3
	v_add_co_ci_u32_e64 v4, null, s19, v4, vcc_lo
	global_load_dwordx2 v[41:42], v[5:6], off
	global_load_dwordx2 v[43:44], v[3:4], off
.LBB32_31:                              ;   in Loop: Header=BB32_5 Depth=1
	s_or_b32 exec_lo, exec_lo, s30
.LBB32_32:                              ;   in Loop: Header=BB32_5 Depth=1
	s_or_b32 exec_lo, exec_lo, s1
	v_mov_b32_e32 v17, v2
	v_mov_b32_e32 v3, v2
	;; [unrolled: 1-line block ×47, first 2 shown]
	s_and_saveexec_b32 s1, s0
	s_cbranch_execnz .LBB32_40
; %bb.33:                               ;   in Loop: Header=BB32_5 Depth=1
	s_or_b32 exec_lo, exec_lo, s1
	s_and_saveexec_b32 s1, s0
	s_cbranch_execnz .LBB32_41
.LBB32_34:                              ;   in Loop: Header=BB32_5 Depth=1
	s_or_b32 exec_lo, exec_lo, s1
	s_and_saveexec_b32 s1, s0
	s_cbranch_execnz .LBB32_42
.LBB32_35:                              ;   in Loop: Header=BB32_5 Depth=1
	s_or_b32 exec_lo, exec_lo, s1
	s_and_saveexec_b32 s1, s0
	s_cbranch_execnz .LBB32_43
.LBB32_36:                              ;   in Loop: Header=BB32_5 Depth=1
	s_or_b32 exec_lo, exec_lo, s1
	s_and_saveexec_b32 s1, s0
	s_cbranch_execnz .LBB32_44
.LBB32_37:                              ;   in Loop: Header=BB32_5 Depth=1
	s_or_b32 exec_lo, exec_lo, s1
	s_and_saveexec_b32 s1, s0
	s_cbranch_execnz .LBB32_45
.LBB32_38:                              ;   in Loop: Header=BB32_5 Depth=1
	s_or_b32 exec_lo, exec_lo, s1
	s_and_saveexec_b32 s1, s0
	s_cbranch_execnz .LBB32_46
.LBB32_39:                              ;   in Loop: Header=BB32_5 Depth=1
	s_or_b32 exec_lo, exec_lo, s1
	s_and_saveexec_b32 s1, s0
	s_cbranch_execz .LBB32_3
	s_branch .LBB32_47
.LBB32_40:                              ;   in Loop: Header=BB32_5 Depth=1
	v_add_co_u32 v3, vcc_lo, v46, v39
	v_add_co_ci_u32_e64 v4, null, v47, v40, vcc_lo
	v_add_co_u32 v5, vcc_lo, v48, v39
	v_add_co_ci_u32_e64 v6, null, v49, v40, vcc_lo
	global_load_dwordx2 v[3:4], v[3:4], off
	global_load_dwordx2 v[19:20], v[5:6], off
	v_mov_b32_e32 v5, v2
	v_mov_b32_e32 v6, v2
	;; [unrolled: 1-line block ×28, first 2 shown]
	s_or_b32 exec_lo, exec_lo, s1
	s_and_saveexec_b32 s1, s0
	s_cbranch_execz .LBB32_34
.LBB32_41:                              ;   in Loop: Header=BB32_5 Depth=1
	v_add_co_u32 v5, vcc_lo, v74, v39
	v_add_co_ci_u32_e64 v6, null, v75, v40, vcc_lo
	v_add_co_u32 v21, vcc_lo, v76, v39
	v_add_co_ci_u32_e64 v22, null, v77, v40, vcc_lo
	global_load_dwordx2 v[5:6], v[5:6], off
	global_load_dwordx2 v[21:22], v[21:22], off
	s_or_b32 exec_lo, exec_lo, s1
	s_and_saveexec_b32 s1, s0
	s_cbranch_execz .LBB32_35
.LBB32_42:                              ;   in Loop: Header=BB32_5 Depth=1
	v_add_co_u32 v7, vcc_lo, v70, v39
	v_add_co_ci_u32_e64 v8, null, v71, v40, vcc_lo
	v_add_co_u32 v23, vcc_lo, v72, v39
	v_add_co_ci_u32_e64 v24, null, v73, v40, vcc_lo
	global_load_dwordx2 v[7:8], v[7:8], off
	global_load_dwordx2 v[23:24], v[23:24], off
	s_or_b32 exec_lo, exec_lo, s1
	s_and_saveexec_b32 s1, s0
	s_cbranch_execz .LBB32_36
.LBB32_43:                              ;   in Loop: Header=BB32_5 Depth=1
	v_add_co_u32 v9, vcc_lo, v66, v39
	v_add_co_ci_u32_e64 v10, null, v67, v40, vcc_lo
	v_add_co_u32 v25, vcc_lo, v68, v39
	v_add_co_ci_u32_e64 v26, null, v69, v40, vcc_lo
	global_load_dwordx2 v[9:10], v[9:10], off
	global_load_dwordx2 v[25:26], v[25:26], off
	s_or_b32 exec_lo, exec_lo, s1
	s_and_saveexec_b32 s1, s0
	s_cbranch_execz .LBB32_37
.LBB32_44:                              ;   in Loop: Header=BB32_5 Depth=1
	v_add_co_u32 v11, vcc_lo, v62, v39
	v_add_co_ci_u32_e64 v12, null, v63, v40, vcc_lo
	v_add_co_u32 v27, vcc_lo, v64, v39
	v_add_co_ci_u32_e64 v28, null, v65, v40, vcc_lo
	global_load_dwordx2 v[11:12], v[11:12], off
	global_load_dwordx2 v[27:28], v[27:28], off
	s_or_b32 exec_lo, exec_lo, s1
	s_and_saveexec_b32 s1, s0
	s_cbranch_execz .LBB32_38
.LBB32_45:                              ;   in Loop: Header=BB32_5 Depth=1
	v_add_co_u32 v13, vcc_lo, v58, v39
	v_add_co_ci_u32_e64 v14, null, v59, v40, vcc_lo
	v_add_co_u32 v29, vcc_lo, v60, v39
	v_add_co_ci_u32_e64 v30, null, v61, v40, vcc_lo
	global_load_dwordx2 v[13:14], v[13:14], off
	global_load_dwordx2 v[29:30], v[29:30], off
	s_or_b32 exec_lo, exec_lo, s1
	s_and_saveexec_b32 s1, s0
	s_cbranch_execz .LBB32_39
.LBB32_46:                              ;   in Loop: Header=BB32_5 Depth=1
	v_add_co_u32 v15, vcc_lo, v54, v39
	v_add_co_ci_u32_e64 v16, null, v55, v40, vcc_lo
	v_add_co_u32 v31, vcc_lo, v56, v39
	v_add_co_ci_u32_e64 v32, null, v57, v40, vcc_lo
	global_load_dwordx2 v[15:16], v[15:16], off
	global_load_dwordx2 v[31:32], v[31:32], off
	s_or_b32 exec_lo, exec_lo, s1
	s_and_saveexec_b32 s1, s0
	s_cbranch_execz .LBB32_3
.LBB32_47:                              ;   in Loop: Header=BB32_5 Depth=1
	v_add_co_u32 v17, vcc_lo, v50, v39
	v_add_co_ci_u32_e64 v18, null, v51, v40, vcc_lo
	v_add_co_u32 v33, vcc_lo, v52, v39
	v_add_co_ci_u32_e64 v34, null, v53, v40, vcc_lo
	global_load_dwordx2 v[17:18], v[17:18], off
	global_load_dwordx2 v[33:34], v[33:34], off
	s_branch .LBB32_3
.LBB32_48:
                                        ; implicit-def: $vgpr37_vgpr38
                                        ; implicit-def: $vgpr35_vgpr36
	s_branch .LBB32_50
.LBB32_49:
	s_cbranch_execnz .LBB32_81
.LBB32_50:
	v_mov_b32_e32 v37, 0
	v_mov_b32_e32 v35, 0
	;; [unrolled: 1-line block ×4, first 2 shown]
	s_andn2_b32 vcc_lo, exec_lo, s7
	s_cbranch_vccnz .LBB32_81
; %bb.51:
	s_load_dword s7, s[4:5], 0x44
	v_lshlrev_b32_e32 v73, 3, v1
	v_lshlrev_b32_e32 v6, 6, v1
	v_mov_b32_e32 v35, 0
	v_mov_b32_e32 v37, 0
	;; [unrolled: 1-line block ×3, first 2 shown]
	v_add_co_u32 v10, s0, v73, s2
	v_add_co_ci_u32_e64 v11, null, 0, 0, s0
	s_add_u32 s0, s4, 64
	v_mul_lo_u32 v4, s11, v10
	v_mad_u64_u32 v[2:3], null, s10, v10, 0
	v_mul_lo_u32 v5, s10, v11
	s_addc_u32 s1, s5, 0
	v_mov_b32_e32 v38, 0
	s_waitcnt lgkmcnt(0)
	s_lshl_b32 s7, s7, 6
	v_add3_u32 v3, v3, v5, v4
	s_mul_i32 s21, s11, s7
	s_mul_hi_u32 s22, s10, s7
	s_mul_i32 s20, s10, s7
	s_add_i32 s21, s22, s21
	v_lshlrev_b64 v[4:5], 3, v[2:3]
	s_lshl_b64 s[20:21], s[20:21], 3
	s_add_u32 s22, s2, 63
	s_addc_u32 s23, 0, 0
	s_lshl_b64 s[24:25], s[2:3], 3
	v_add_co_u32 v6, s24, v6, s24
	v_add_co_ci_u32_e64 v7, null, 0, s25, s24
	v_add_co_u32 v8, vcc_lo, v6, 8
	v_add_co_ci_u32_e64 v9, null, 0, v7, vcc_lo
	v_add_co_u32 v74, vcc_lo, s12, v4
	v_add_co_ci_u32_e64 v75, null, s13, v5, vcc_lo
	;; [unrolled: 2-line block ×6, first 2 shown]
	v_add_co_u32 v19, vcc_lo, v6, 40
	v_mad_u64_u32 v[41:42], null, s10, v4, s[12:13]
	v_mul_lo_u32 v5, s10, v5
	v_mul_lo_u32 v15, s11, v4
	v_mad_u64_u32 v[55:56], null, s10, v4, s[14:15]
	v_add_co_ci_u32_e64 v20, null, 0, v7, vcc_lo
	v_add_co_u32 v22, vcc_lo, v6, 48
	v_add_co_ci_u32_e64 v24, null, 0, v7, vcc_lo
	v_add_co_u32 v6, vcc_lo, v6, 56
	v_mad_u64_u32 v[39:40], null, s10, v8, s[12:13]
	v_mul_lo_u32 v9, s10, v9
	v_mul_lo_u32 v12, s11, v8
	v_mad_u64_u32 v[53:54], null, s10, v8, s[14:15]
	v_add_co_ci_u32_e64 v7, null, 0, v7, vcc_lo
	v_add_co_u32 v4, vcc_lo, v10, 7
	v_add3_u32 v42, v15, v42, v5
	v_add3_u32 v56, v15, v56, v5
	v_add_co_ci_u32_e64 v5, null, 0, v11, vcc_lo
	v_mul_lo_u32 v26, s10, v7
	v_add_co_u32 v7, vcc_lo, v10, 6
	v_add3_u32 v40, v12, v40, v9
	v_add3_u32 v54, v12, v54, v9
	v_add_co_ci_u32_e64 v12, null, 0, v11, vcc_lo
	v_mul_lo_u32 v8, s11, v4
	v_mul_lo_u32 v9, s10, v5
	v_mad_u64_u32 v[4:5], null, s10, v4, 0
	v_mad_u64_u32 v[43:44], null, s10, v13, s[12:13]
	v_mul_lo_u32 v17, s11, v13
	v_mad_u64_u32 v[51:52], null, s10, v6, s[12:13]
	v_mul_lo_u32 v27, s11, v6
	v_mad_u64_u32 v[57:58], null, s10, v13, s[14:15]
	v_mad_u64_u32 v[65:66], null, s10, v6, s[14:15]
	v_mul_lo_u32 v13, s11, v7
	v_mul_lo_u32 v12, s10, v12
	v_mad_u64_u32 v[6:7], null, s10, v7, 0
	v_add3_u32 v5, v5, v9, v8
	v_add_co_u32 v8, vcc_lo, v10, 5
	v_add_co_ci_u32_e64 v9, null, 0, v11, vcc_lo
	v_lshlrev_b64 v[4:5], 3, v[4:5]
	v_add3_u32 v7, v7, v12, v13
	v_mul_lo_u32 v12, s11, v8
	v_mul_lo_u32 v13, s10, v9
	v_mad_u64_u32 v[8:9], null, s10, v8, 0
	v_lshlrev_b64 v[6:7], 3, v[6:7]
	v_add_co_u32 v78, vcc_lo, s12, v4
	v_add_co_ci_u32_e64 v79, null, s13, v5, vcc_lo
	v_add_co_u32 v80, vcc_lo, s14, v4
	v_add_co_ci_u32_e64 v81, null, s15, v5, vcc_lo
	;; [unrolled: 2-line block ×3, first 2 shown]
	v_add3_u32 v9, v9, v13, v12
	v_add_co_u32 v12, vcc_lo, v10, 4
	v_add_co_ci_u32_e64 v13, null, 0, v11, vcc_lo
	v_add_co_u32 v84, vcc_lo, s14, v6
	v_add_co_ci_u32_e64 v85, null, s15, v7, vcc_lo
	v_lshlrev_b64 v[4:5], 3, v[8:9]
	v_mul_lo_u32 v8, s11, v12
	v_mul_lo_u32 v9, s10, v13
	v_mad_u64_u32 v[6:7], null, s10, v12, 0
	v_mul_lo_u32 v14, s10, v14
	v_add_co_u32 v12, vcc_lo, v10, 3
	v_add_co_ci_u32_e64 v13, null, 0, v11, vcc_lo
	v_add_co_u32 v86, vcc_lo, s12, v4
	v_add_co_ci_u32_e64 v87, null, s13, v5, vcc_lo
	v_add3_u32 v7, v7, v9, v8
	v_add_co_u32 v10, vcc_lo, v10, 2
	v_add3_u32 v44, v17, v44, v14
	v_add3_u32 v58, v17, v58, v14
	v_mul_lo_u32 v14, s11, v12
	v_mul_lo_u32 v13, s10, v13
	v_mad_u64_u32 v[8:9], null, s10, v12, 0
	v_add_co_ci_u32_e64 v11, null, 0, v11, vcc_lo
	v_add_co_u32 v88, vcc_lo, s14, v4
	v_add_co_ci_u32_e64 v89, null, s15, v5, vcc_lo
	v_lshlrev_b64 v[4:5], 3, v[6:7]
	v_mul_lo_u32 v12, s11, v10
	v_mul_lo_u32 v11, s10, v11
	v_mad_u64_u32 v[6:7], null, s10, v10, 0
	v_add3_u32 v9, v9, v13, v14
	v_add_co_u32 v90, vcc_lo, s12, v4
	v_add_co_ci_u32_e64 v91, null, s13, v5, vcc_lo
	v_add_co_u32 v92, vcc_lo, s14, v4
	v_add_co_ci_u32_e64 v93, null, s15, v5, vcc_lo
	v_lshlrev_b64 v[4:5], 3, v[8:9]
	v_add3_u32 v7, v7, v11, v12
	v_add_co_u32 v2, vcc_lo, v2, s10
	v_add_co_ci_u32_e64 v3, null, s11, v3, vcc_lo
	v_lshlrev_b64 v[6:7], 3, v[6:7]
	v_add_co_u32 v94, vcc_lo, s12, v4
	v_add_co_ci_u32_e64 v95, null, s13, v5, vcc_lo
	v_add_co_u32 v96, vcc_lo, s14, v4
	v_lshlrev_b64 v[3:4], 3, v[2:3]
	v_mov_b32_e32 v2, 0
	v_mad_u64_u32 v[45:46], null, s10, v16, s[12:13]
	v_mul_lo_u32 v18, s10, v18
	v_mul_lo_u32 v21, s11, v16
	v_mad_u64_u32 v[47:48], null, s10, v19, s[12:13]
	v_mul_lo_u32 v20, s10, v20
	v_mul_lo_u32 v23, s11, v19
	;; [unrolled: 3-line block ×3, first 2 shown]
	v_mad_u64_u32 v[59:60], null, s10, v16, s[14:15]
	v_mad_u64_u32 v[61:62], null, s10, v19, s[14:15]
	v_mad_u64_u32 v[63:64], null, s10, v22, s[14:15]
	v_add_co_ci_u32_e64 v97, null, s15, v5, vcc_lo
	v_add_co_u32 v98, vcc_lo, s12, v6
	v_add_co_ci_u32_e64 v99, null, s13, v7, vcc_lo
	v_add_co_u32 v100, vcc_lo, s14, v6
	v_add_nc_u32_e32 v5, s28, v0
	v_mov_b32_e32 v6, v2
	v_add_co_ci_u32_e64 v101, null, s15, v7, vcc_lo
	v_add_co_u32 v102, vcc_lo, s12, v3
	v_add_co_ci_u32_e64 v103, null, s13, v4, vcc_lo
	v_add_co_u32 v104, vcc_lo, s14, v3
	v_lshlrev_b64 v[67:68], 3, v[5:6]
	v_add3_u32 v46, v21, v46, v18
	v_add3_u32 v48, v23, v48, v20
	;; [unrolled: 1-line block ×8, first 2 shown]
	v_add_co_ci_u32_e64 v105, null, s15, v4, vcc_lo
	s_branch .LBB32_55
.LBB32_52:                              ;   in Loop: Header=BB32_55 Depth=1
	s_or_b32 exec_lo, exec_lo, s13
.LBB32_53:                              ;   in Loop: Header=BB32_55 Depth=1
	s_or_b32 exec_lo, exec_lo, s12
	v_add_co_u32 v7, vcc_lo, v76, v67
	v_add_co_ci_u32_e64 v8, null, v77, v68, vcc_lo
	v_add_co_u32 v9, vcc_lo, v53, v67
	v_add_co_ci_u32_e64 v10, null, v54, v68, vcc_lo
	global_load_dwordx2 v[7:8], v[7:8], off
	v_add_co_u32 v11, vcc_lo, v74, v67
	v_add_co_ci_u32_e64 v12, null, v75, v68, vcc_lo
	global_load_dwordx2 v[9:10], v[9:10], off
	global_load_dwordx2 v[11:12], v[11:12], off
	v_add_co_u32 v13, vcc_lo, v55, v67
	v_add_co_ci_u32_e64 v14, null, v56, v68, vcc_lo
	v_add_co_u32 v15, vcc_lo, v39, v67
	v_add_co_ci_u32_e64 v16, null, v40, v68, vcc_lo
	global_load_dwordx2 v[13:14], v[13:14], off
	global_load_dwordx2 v[15:16], v[15:16], off
	v_add_co_u32 v17, vcc_lo, v57, v67
	v_add_co_ci_u32_e64 v18, null, v58, v68, vcc_lo
	;; [unrolled: 6-line block ×5, first 2 shown]
	v_add_co_u32 v31, vcc_lo, v47, v67
	v_add_co_ci_u32_e64 v32, null, v48, v68, vcc_lo
	v_add_co_u32 v33, vcc_lo, v65, v67
	v_add_co_ci_u32_e64 v34, null, v66, v68, vcc_lo
	global_load_dwordx2 v[69:70], v[17:18], off
	global_load_dwordx2 v[31:32], v[31:32], off
	;; [unrolled: 1-line block ×3, first 2 shown]
	v_add_co_u32 v17, vcc_lo, v49, v67
	v_add_co_ci_u32_e64 v18, null, v50, v68, vcc_lo
	v_add_co_u32 v71, vcc_lo, v51, v67
	v_add_co_ci_u32_e64 v72, null, v52, v68, vcc_lo
	global_load_dwordx2 v[106:107], v[17:18], off
	global_load_dwordx2 v[17:18], v[71:72], off
	s_waitcnt vmcnt(17)
	ds_bpermute_b32 v71, v2, v5
	ds_bpermute_b32 v72, v2, v6
	ds_bpermute_b32 v108, v2, v5 offset:4
	ds_bpermute_b32 v109, v2, v6 offset:4
	;; [unrolled: 1-line block ×4, first 2 shown]
	s_waitcnt vmcnt(15) lgkmcnt(4)
	v_add_f64 v[7:8], v[7:8], -v[71:72]
	ds_bpermute_b32 v71, v2, v5 offset:8
	ds_bpermute_b32 v72, v2, v6 offset:8
	s_waitcnt vmcnt(14) lgkmcnt(4)
	v_add_f64 v[9:10], v[9:10], -v[108:109]
	ds_bpermute_b32 v108, v2, v3
	ds_bpermute_b32 v109, v2, v4
	s_waitcnt vmcnt(12) lgkmcnt(2)
	v_add_f64 v[13:14], v[13:14], -v[71:72]
	v_mul_f64 v[7:8], v[11:12], v[7:8]
	v_add_f64 v[11:12], v[37:38], v[11:12]
	ds_bpermute_b32 v37, v2, v5 offset:16
	ds_bpermute_b32 v38, v2, v6 offset:16
	s_waitcnt vmcnt(11)
	v_mul_f64 v[9:10], v[15:16], v[9:10]
	s_waitcnt vmcnt(10)
	v_add_f64 v[21:22], v[21:22], -v[110:111]
	s_waitcnt vmcnt(9)
	v_mul_f64 v[13:14], v[19:20], v[13:14]
	s_waitcnt lgkmcnt(2)
	v_fma_f64 v[7:8], v[7:8], v[108:109], v[35:36]
	ds_bpermute_b32 v35, v2, v3 offset:4
	ds_bpermute_b32 v36, v2, v4 offset:4
	v_add_f64 v[11:12], v[11:12], v[15:16]
	s_waitcnt vmcnt(8) lgkmcnt(2)
	v_add_f64 v[25:26], v[25:26], -v[37:38]
	ds_bpermute_b32 v15, v2, v5 offset:20
	s_waitcnt vmcnt(7)
	v_mul_f64 v[21:22], v[23:24], v[21:22]
	ds_bpermute_b32 v16, v2, v6 offset:20
	s_waitcnt lgkmcnt(2)
	v_fma_f64 v[7:8], v[9:10], v[35:36], v[7:8]
	ds_bpermute_b32 v9, v2, v3 offset:8
	ds_bpermute_b32 v10, v2, v4 offset:8
	v_add_f64 v[11:12], v[11:12], v[19:20]
	s_waitcnt vmcnt(5)
	v_mul_f64 v[25:26], v[27:28], v[25:26]
	s_waitcnt lgkmcnt(2)
	v_add_f64 v[15:16], v[29:30], -v[15:16]
	ds_bpermute_b32 v19, v2, v3 offset:16
	ds_bpermute_b32 v20, v2, v4 offset:16
	s_waitcnt lgkmcnt(2)
	v_fma_f64 v[7:8], v[13:14], v[9:10], v[7:8]
	ds_bpermute_b32 v9, v2, v3 offset:12
	ds_bpermute_b32 v10, v2, v4 offset:12
	v_add_f64 v[11:12], v[11:12], v[23:24]
	ds_bpermute_b32 v13, v2, v5 offset:24
	ds_bpermute_b32 v14, v2, v6 offset:24
	;; [unrolled: 1-line block ×4, first 2 shown]
	s_waitcnt vmcnt(3)
	v_mul_f64 v[15:16], v[31:32], v[15:16]
	s_waitcnt lgkmcnt(4)
	v_fma_f64 v[7:8], v[21:22], v[9:10], v[7:8]
	ds_bpermute_b32 v9, v2, v3 offset:20
	ds_bpermute_b32 v10, v2, v4 offset:20
	s_waitcnt lgkmcnt(4)
	v_add_f64 v[13:14], v[69:70], -v[13:14]
	v_add_f64 v[11:12], v[11:12], v[27:28]
	s_waitcnt vmcnt(2) lgkmcnt(2)
	v_add_f64 v[5:6], v[33:34], -v[5:6]
	v_fma_f64 v[7:8], v[25:26], v[19:20], v[7:8]
	ds_bpermute_b32 v19, v2, v3 offset:24
	ds_bpermute_b32 v20, v2, v4 offset:24
	s_waitcnt vmcnt(1)
	v_mul_f64 v[13:14], v[106:107], v[13:14]
	v_add_f64 v[11:12], v[11:12], v[31:32]
	s_waitcnt vmcnt(0)
	v_mul_f64 v[5:6], v[17:18], v[5:6]
	s_waitcnt lgkmcnt(2)
	v_fma_f64 v[7:8], v[15:16], v[9:10], v[7:8]
	ds_bpermute_b32 v9, v2, v3 offset:28
	ds_bpermute_b32 v10, v2, v4 offset:28
	v_add_f64 v[3:4], v[11:12], v[106:107]
	s_waitcnt lgkmcnt(0)
	v_mul_f64 v[5:6], v[5:6], v[9:10]
	v_fma_f64 v[7:8], v[13:14], v[19:20], v[7:8]
.LBB32_54:                              ;   in Loop: Header=BB32_55 Depth=1
	v_add_co_u32 v74, vcc_lo, v74, s20
	v_add_co_ci_u32_e64 v75, null, s21, v75, vcc_lo
	v_add_co_u32 v76, vcc_lo, v76, s20
	v_add_co_ci_u32_e64 v77, null, s21, v77, vcc_lo
	;; [unrolled: 2-line block ×21, first 2 shown]
	v_add_co_u32 v88, vcc_lo, v88, s20
	v_add_f64 v[35:36], v[7:8], v[5:6]
	v_add_f64 v[37:38], v[3:4], v[17:18]
	v_add_co_ci_u32_e64 v89, null, s21, v89, vcc_lo
	v_add_co_u32 v90, vcc_lo, v90, s20
	v_add_co_ci_u32_e64 v91, null, s21, v91, vcc_lo
	v_add_co_u32 v92, vcc_lo, v92, s20
	;; [unrolled: 2-line block ×5, first 2 shown]
	s_add_u32 s2, s2, s7
	v_add_co_ci_u32_e64 v99, null, s21, v99, vcc_lo
	v_add_co_u32 v100, vcc_lo, v100, s20
	s_addc_u32 s3, s3, 0
	v_add_co_ci_u32_e64 v101, null, s21, v101, vcc_lo
	v_add_co_u32 v102, vcc_lo, v102, s20
	v_cmp_ge_i64_e64 s12, s[2:3], s[8:9]
	v_add_co_ci_u32_e64 v103, null, s21, v103, vcc_lo
	v_add_co_u32 v104, vcc_lo, v104, s20
	v_add_co_ci_u32_e64 v105, null, s21, v105, vcc_lo
	s_add_u32 s22, s22, s7
	s_addc_u32 s23, s23, 0
	s_and_b32 vcc_lo, exec_lo, s12
	s_cbranch_vccnz .LBB32_81
.LBB32_55:                              ; =>This Inner Loop Header: Depth=1
	v_cmp_ge_i64_e64 s12, s[22:23], s[8:9]
	v_add_co_u32 v106, s13, v73, s22
	v_add_co_ci_u32_e64 v107, null, 0, s23, s13
                                        ; implicit-def: $vgpr17_vgpr18
                                        ; implicit-def: $vgpr5_vgpr6
                                        ; implicit-def: $vgpr3_vgpr4
                                        ; implicit-def: $vgpr7_vgpr8
	s_and_b32 vcc_lo, exec_lo, s12
	s_mov_b32 s12, -1
	s_cbranch_vccz .LBB32_77
; %bb.56:                               ;   in Loop: Header=BB32_55 Depth=1
	s_load_dword s12, s[0:1], 0xc
	v_mov_b32_e32 v69, 0
	v_mov_b32_e32 v71, 0
	;; [unrolled: 1-line block ×4, first 2 shown]
	s_waitcnt lgkmcnt(0)
	s_and_b32 s12, s12, 0xffff
	v_mad_u32_u24 v3, v1, s12, v0
	s_mov_b32 s12, exec_lo
	v_and_b32_e32 v3, 31, v3
	v_cmpx_gt_u32_e32 8, v3
	s_cbranch_execz .LBB32_60
; %bb.57:                               ;   in Loop: Header=BB32_55 Depth=1
	v_add_co_u32 v3, vcc_lo, v106, v3
	v_add_co_ci_u32_e64 v4, null, 0, v107, vcc_lo
	v_mov_b32_e32 v71, 0
	v_add_co_u32 v3, vcc_lo, 0xffffffc1, v3
	v_mov_b32_e32 v69, 0
	v_add_co_ci_u32_e64 v4, null, -1, v4, vcc_lo
	v_mov_b32_e32 v72, 0
	v_mov_b32_e32 v70, 0
	s_mov_b32 s13, exec_lo
	v_cmpx_gt_i64_e64 s[8:9], v[3:4]
	s_cbranch_execz .LBB32_59
; %bb.58:                               ;   in Loop: Header=BB32_55 Depth=1
	v_lshlrev_b64 v[3:4], 3, v[3:4]
	v_add_co_u32 v5, vcc_lo, s16, v3
	v_add_co_ci_u32_e64 v6, null, s17, v4, vcc_lo
	v_add_co_u32 v3, vcc_lo, s18, v3
	v_add_co_ci_u32_e64 v4, null, s19, v4, vcc_lo
	global_load_dwordx2 v[71:72], v[5:6], off
	global_load_dwordx2 v[69:70], v[3:4], off
.LBB32_59:                              ;   in Loop: Header=BB32_55 Depth=1
	s_or_b32 exec_lo, exec_lo, s13
.LBB32_60:                              ;   in Loop: Header=BB32_55 Depth=1
	s_or_b32 exec_lo, exec_lo, s12
	v_add_co_u32 v18, vcc_lo, 0xffffffc1, v106
	v_add_co_ci_u32_e64 v19, null, -1, v107, vcc_lo
	v_mov_b32_e32 v17, v2
	v_mov_b32_e32 v3, v2
	v_mov_b32_e32 v4, v2
	v_mov_b32_e32 v5, v2
	v_mov_b32_e32 v6, v2
	v_mov_b32_e32 v7, v2
	v_mov_b32_e32 v8, v2
	v_mov_b32_e32 v9, v2
	v_mov_b32_e32 v10, v2
	v_mov_b32_e32 v11, v2
	v_mov_b32_e32 v12, v2
	v_mov_b32_e32 v13, v2
	v_mov_b32_e32 v14, v2
	v_mov_b32_e32 v15, v2
	v_mov_b32_e32 v16, v2
	v_cmp_gt_i64_e32 vcc_lo, s[8:9], v[18:19]
	v_mov_b32_e32 v34, v17
	v_mov_b32_e32 v31, v14
	;; [unrolled: 1-line block ×32, first 2 shown]
	s_and_saveexec_b32 s12, vcc_lo
	s_cbranch_execz .LBB32_62
; %bb.61:                               ;   in Loop: Header=BB32_55 Depth=1
	v_add_co_u32 v3, vcc_lo, v74, v67
	v_add_co_ci_u32_e64 v4, null, v75, v68, vcc_lo
	v_add_co_u32 v5, vcc_lo, v76, v67
	v_add_co_ci_u32_e64 v6, null, v77, v68, vcc_lo
	global_load_dwordx2 v[3:4], v[3:4], off
	global_load_dwordx2 v[19:20], v[5:6], off
	v_mov_b32_e32 v5, v2
	v_mov_b32_e32 v6, v2
	;; [unrolled: 1-line block ×28, first 2 shown]
.LBB32_62:                              ;   in Loop: Header=BB32_55 Depth=1
	s_or_b32 exec_lo, exec_lo, s12
	v_add_co_u32 v108, vcc_lo, 0xffffffc2, v106
	v_add_co_ci_u32_e64 v109, null, -1, v107, vcc_lo
	s_mov_b32 s12, exec_lo
	v_cmpx_gt_i64_e64 s[8:9], v[108:109]
	s_cbranch_execz .LBB32_64
; %bb.63:                               ;   in Loop: Header=BB32_55 Depth=1
	v_add_co_u32 v5, vcc_lo, v102, v67
	v_add_co_ci_u32_e64 v6, null, v103, v68, vcc_lo
	v_add_co_u32 v21, vcc_lo, v104, v67
	v_add_co_ci_u32_e64 v22, null, v105, v68, vcc_lo
	global_load_dwordx2 v[5:6], v[5:6], off
	global_load_dwordx2 v[21:22], v[21:22], off
.LBB32_64:                              ;   in Loop: Header=BB32_55 Depth=1
	s_or_b32 exec_lo, exec_lo, s12
	v_add_co_u32 v108, vcc_lo, 0xffffffc3, v106
	v_add_co_ci_u32_e64 v109, null, -1, v107, vcc_lo
	s_mov_b32 s12, exec_lo
	v_cmpx_gt_i64_e64 s[8:9], v[108:109]
	s_cbranch_execz .LBB32_66
; %bb.65:                               ;   in Loop: Header=BB32_55 Depth=1
	v_add_co_u32 v7, vcc_lo, v98, v67
	v_add_co_ci_u32_e64 v8, null, v99, v68, vcc_lo
	v_add_co_u32 v23, vcc_lo, v100, v67
	v_add_co_ci_u32_e64 v24, null, v101, v68, vcc_lo
	global_load_dwordx2 v[7:8], v[7:8], off
	global_load_dwordx2 v[23:24], v[23:24], off
.LBB32_66:                              ;   in Loop: Header=BB32_55 Depth=1
	;; [unrolled: 14-line block ×7, first 2 shown]
	s_or_b32 exec_lo, exec_lo, s12
	s_waitcnt vmcnt(1)
	ds_bpermute_b32 v108, v2, v71
	ds_bpermute_b32 v109, v2, v72
	ds_bpermute_b32 v110, v2, v71 offset:4
	ds_bpermute_b32 v111, v2, v72 offset:4
	;; [unrolled: 1-line block ×4, first 2 shown]
	s_mov_b32 s12, 0
	s_waitcnt vmcnt(0) lgkmcnt(4)
	v_add_f64 v[19:20], v[19:20], -v[108:109]
	ds_bpermute_b32 v108, v2, v71 offset:8
	s_waitcnt lgkmcnt(3)
	v_add_f64 v[21:22], v[21:22], -v[110:111]
	ds_bpermute_b32 v109, v2, v72 offset:8
	ds_bpermute_b32 v110, v2, v69
	ds_bpermute_b32 v111, v2, v70
	s_waitcnt lgkmcnt(4)
	v_add_f64 v[25:26], v[25:26], -v[112:113]
	v_mul_f64 v[19:20], v[3:4], v[19:20]
	v_add_f64 v[3:4], v[37:38], v[3:4]
	s_waitcnt lgkmcnt(2)
	v_add_f64 v[23:24], v[23:24], -v[108:109]
	v_mul_f64 v[21:22], v[5:6], v[21:22]
	ds_bpermute_b32 v108, v2, v69 offset:4
	ds_bpermute_b32 v109, v2, v70 offset:4
	v_mul_f64 v[25:26], v[9:10], v[25:26]
	s_waitcnt lgkmcnt(2)
	v_fma_f64 v[19:20], v[19:20], v[110:111], v[35:36]
	v_add_f64 v[3:4], v[5:6], v[3:4]
	v_mul_f64 v[5:6], v[7:8], v[23:24]
	ds_bpermute_b32 v110, v2, v71 offset:16
	ds_bpermute_b32 v111, v2, v72 offset:16
	;; [unrolled: 1-line block ×4, first 2 shown]
	s_waitcnt lgkmcnt(4)
	v_fma_f64 v[19:20], v[21:22], v[108:109], v[19:20]
	ds_bpermute_b32 v21, v2, v69 offset:8
	ds_bpermute_b32 v22, v2, v70 offset:8
	s_waitcnt lgkmcnt(4)
	v_add_f64 v[27:28], v[27:28], -v[110:111]
	v_add_f64 v[3:4], v[7:8], v[3:4]
	ds_bpermute_b32 v7, v2, v69 offset:12
	ds_bpermute_b32 v8, v2, v70 offset:12
	s_waitcnt lgkmcnt(4)
	v_add_f64 v[23:24], v[29:30], -v[23:24]
	s_waitcnt lgkmcnt(2)
	v_fma_f64 v[5:6], v[5:6], v[21:22], v[19:20]
	ds_bpermute_b32 v19, v2, v69 offset:16
	ds_bpermute_b32 v21, v2, v71 offset:24
	v_mul_f64 v[27:28], v[11:12], v[27:28]
	v_add_f64 v[3:4], v[9:10], v[3:4]
	ds_bpermute_b32 v22, v2, v72 offset:24
	ds_bpermute_b32 v20, v2, v70 offset:16
	v_mul_f64 v[23:24], v[13:14], v[23:24]
	ds_bpermute_b32 v9, v2, v69 offset:20
	ds_bpermute_b32 v10, v2, v70 offset:20
	s_waitcnt lgkmcnt(6)
	v_fma_f64 v[5:6], v[25:26], v[7:8], v[5:6]
	ds_bpermute_b32 v7, v2, v71 offset:28
	ds_bpermute_b32 v8, v2, v72 offset:28
	s_waitcnt lgkmcnt(5)
	v_add_f64 v[21:22], v[31:32], -v[21:22]
	v_add_f64 v[3:4], v[11:12], v[3:4]
	ds_bpermute_b32 v11, v2, v69 offset:24
	ds_bpermute_b32 v12, v2, v70 offset:24
	s_waitcnt lgkmcnt(2)
	v_add_f64 v[7:8], v[33:34], -v[7:8]
	v_fma_f64 v[5:6], v[27:28], v[19:20], v[5:6]
	v_mul_f64 v[19:20], v[15:16], v[21:22]
	v_add_f64 v[3:4], v[13:14], v[3:4]
	ds_bpermute_b32 v13, v2, v69 offset:28
	ds_bpermute_b32 v14, v2, v70 offset:28
	v_fma_f64 v[5:6], v[23:24], v[9:10], v[5:6]
	v_mul_f64 v[9:10], v[17:18], v[7:8]
	v_add_f64 v[3:4], v[15:16], v[3:4]
	s_waitcnt lgkmcnt(2)
	v_fma_f64 v[7:8], v[19:20], v[11:12], v[5:6]
	s_waitcnt lgkmcnt(0)
	v_mul_f64 v[5:6], v[9:10], v[13:14]
.LBB32_77:                              ;   in Loop: Header=BB32_55 Depth=1
	s_and_b32 vcc_lo, exec_lo, s12
	s_cbranch_vccz .LBB32_54
; %bb.78:                               ;   in Loop: Header=BB32_55 Depth=1
	s_load_dword s12, s[0:1], 0x0
	v_mov_b32_e32 v5, 0
	v_mov_b32_e32 v6, 0
	s_waitcnt lgkmcnt(0)
	s_cmp_lt_u32 s6, s12
	s_cselect_b32 s12, 12, 18
	s_add_u32 s12, s0, s12
	s_addc_u32 s13, s1, 0
	global_load_ushort v3, v2, s[12:13]
	s_mov_b32 s12, exec_lo
	s_waitcnt vmcnt(0)
	v_mad_u32_u24 v3, v1, v3, v0
	v_and_b32_e32 v7, 31, v3
	v_mov_b32_e32 v3, 0
	v_mov_b32_e32 v4, 0
	v_cmpx_gt_u32_e32 8, v7
	s_cbranch_execz .LBB32_53
; %bb.79:                               ;   in Loop: Header=BB32_55 Depth=1
	v_add_co_u32 v3, vcc_lo, v106, v7
	v_add_co_ci_u32_e64 v4, null, 0, v107, vcc_lo
	v_mov_b32_e32 v5, 0
	v_add_co_u32 v7, vcc_lo, 0xffffffc1, v3
	v_add_co_ci_u32_e64 v8, null, -1, v4, vcc_lo
	v_mov_b32_e32 v3, 0
	v_mov_b32_e32 v6, 0
	v_mov_b32_e32 v4, 0
	s_mov_b32 s13, exec_lo
	v_cmpx_gt_i64_e64 s[8:9], v[7:8]
	s_cbranch_execz .LBB32_52
; %bb.80:                               ;   in Loop: Header=BB32_55 Depth=1
	v_lshlrev_b64 v[3:4], 3, v[7:8]
	v_add_co_u32 v5, vcc_lo, s16, v3
	v_add_co_ci_u32_e64 v6, null, s17, v4, vcc_lo
	v_add_co_u32 v3, vcc_lo, s18, v3
	v_add_co_ci_u32_e64 v4, null, s19, v4, vcc_lo
	global_load_dwordx2 v[5:6], v[5:6], off
	global_load_dwordx2 v[3:4], v[3:4], off
	s_branch .LBB32_52
.LBB32_81:
	v_mad_u32_u24 v2, 0x41, v1, v0
	s_mov_b32 s0, exec_lo
	v_lshl_add_u32 v3, v2, 3, 0
	v_sub_nc_u32_e32 v7, v2, v1
	ds_write_b64 v3, v[35:36]
	ds_write_b64 v3, v[37:38] offset:4160
	s_waitcnt lgkmcnt(0)
	s_barrier
	buffer_gl0_inv
	v_cmpx_gt_u32_e32 0x800, v7
	s_cbranch_execz .LBB32_113
; %bb.82:
	s_load_dwordx4 s[12:15], s[4:5], 0x30
	v_and_b32_e32 v1, 31, v0
	v_lshrrev_b32_e32 v8, 5, v7
                                        ; implicit-def: $vgpr3_vgpr4
	v_cmp_gt_u32_e64 s0, 8, v1
	v_mul_u32_u24_e32 v9, 0x41, v1
                                        ; implicit-def: $vgpr1_vgpr2
	s_and_saveexec_b32 s1, s0
	s_cbranch_execz .LBB32_84
; %bb.83:
	v_add_nc_u32_e32 v1, v8, v9
	v_lshl_add_u32 v1, v1, 3, 0
	ds_read_b64 v[3:4], v1
	ds_read_b64 v[1:2], v1 offset:4160
.LBB32_84:
	s_or_b32 exec_lo, exec_lo, s1
	v_mbcnt_lo_u32_b32 v14, -1, 0
	s_mov_b32 s7, 0
	v_cmp_eq_u32_e64 s1, 0, v0
	s_lshl_b64 s[2:3], s[6:7], 6
	s_waitcnt lgkmcnt(0)
	s_cmp_lg_u64 s[12:13], 0
	v_xor_b32_e32 v5, 4, v14
	s_cselect_b32 s5, -1, 0
	s_cmp_lg_u64 s[14:15], 0
	s_cselect_b32 s4, -1, 0
	v_cmp_gt_i32_e32 vcc_lo, 32, v5
	v_cndmask_b32_e32 v5, v14, v5, vcc_lo
	v_lshlrev_b32_e32 v10, 2, v5
	ds_bpermute_b32 v5, v10, v3
	ds_bpermute_b32 v6, v10, v4
	;; [unrolled: 1-line block ×4, first 2 shown]
	s_waitcnt lgkmcnt(2)
	v_add_f64 v[3:4], v[3:4], v[5:6]
	v_xor_b32_e32 v5, 2, v14
	s_waitcnt lgkmcnt(0)
	v_add_f64 v[1:2], v[1:2], v[11:12]
	v_cmp_gt_i32_e32 vcc_lo, 32, v5
	v_cndmask_b32_e32 v5, v14, v5, vcc_lo
	v_lshlrev_b32_e32 v11, 2, v5
	ds_bpermute_b32 v5, v11, v3
	ds_bpermute_b32 v6, v11, v4
	;; [unrolled: 1-line block ×4, first 2 shown]
	s_waitcnt lgkmcnt(2)
	v_add_f64 v[3:4], v[3:4], v[5:6]
	s_waitcnt lgkmcnt(0)
	v_add_f64 v[5:6], v[1:2], v[12:13]
	v_xor_b32_e32 v1, 1, v14
	v_cmp_gt_i32_e32 vcc_lo, 32, v1
	v_cndmask_b32_e32 v1, v14, v1, vcc_lo
	v_lshlrev_b32_e32 v12, 2, v1
	ds_bpermute_b32 v1, v12, v3
	ds_bpermute_b32 v2, v12, v4
	;; [unrolled: 1-line block ×4, first 2 shown]
	s_waitcnt lgkmcnt(2)
	v_add_f64 v[1:2], v[3:4], v[1:2]
	s_waitcnt lgkmcnt(0)
	v_add_f64 v[3:4], v[5:6], v[13:14]
	v_or_b32_e32 v5, s2, v8
	v_mov_b32_e32 v6, s3
	v_cmp_gt_i64_e32 vcc_lo, s[10:11], v[5:6]
	s_and_b32 s7, s1, vcc_lo
	s_and_saveexec_b32 s6, s7
	s_cbranch_execz .LBB32_89
; %bb.85:
	v_lshlrev_b64 v[5:6], 3, v[5:6]
	s_andn2_b32 vcc_lo, exec_lo, s5
	s_cbranch_vccnz .LBB32_87
; %bb.86:
	v_add_co_u32 v13, vcc_lo, s12, v5
	v_add_co_ci_u32_e64 v14, null, s13, v6, vcc_lo
	global_store_dwordx2 v[13:14], v[1:2], off
.LBB32_87:
	s_andn2_b32 vcc_lo, exec_lo, s4
	s_cbranch_vccnz .LBB32_89
; %bb.88:
	v_add_co_u32 v5, vcc_lo, s14, v5
	v_add_co_ci_u32_e64 v6, null, s15, v6, vcc_lo
	global_store_dwordx2 v[5:6], v[3:4], off
.LBB32_89:
	s_or_b32 exec_lo, exec_lo, s6
	v_cmp_gt_u32_e32 vcc_lo, 0x600, v7
	s_and_b32 exec_lo, exec_lo, vcc_lo
	s_cbranch_execz .LBB32_113
; %bb.90:
	s_and_saveexec_b32 s6, s0
	s_cbranch_execz .LBB32_92
; %bb.91:
	v_add_nc_u32_e32 v0, v8, v9
	v_lshl_add_u32 v0, v0, 3, 0
	ds_read_b64 v[1:2], v0 offset:128
	ds_read_b64 v[3:4], v0 offset:4288
.LBB32_92:
	s_or_b32 exec_lo, exec_lo, s6
	s_waitcnt lgkmcnt(1)
	ds_bpermute_b32 v5, v10, v1
	ds_bpermute_b32 v6, v10, v2
	s_waitcnt lgkmcnt(2)
	ds_bpermute_b32 v13, v10, v3
	ds_bpermute_b32 v14, v10, v4
	s_waitcnt lgkmcnt(2)
	v_add_f64 v[0:1], v[1:2], v[5:6]
	s_waitcnt lgkmcnt(0)
	v_add_f64 v[2:3], v[3:4], v[13:14]
	ds_bpermute_b32 v4, v11, v0
	ds_bpermute_b32 v5, v11, v1
	;; [unrolled: 1-line block ×4, first 2 shown]
	s_waitcnt lgkmcnt(2)
	v_add_f64 v[0:1], v[0:1], v[4:5]
	s_waitcnt lgkmcnt(0)
	v_add_f64 v[2:3], v[2:3], v[13:14]
	ds_bpermute_b32 v4, v12, v0
	ds_bpermute_b32 v5, v12, v1
	;; [unrolled: 1-line block ×4, first 2 shown]
	s_waitcnt lgkmcnt(2)
	v_add_f64 v[0:1], v[0:1], v[4:5]
	v_add_nc_u32_e32 v4, 16, v8
	s_waitcnt lgkmcnt(0)
	v_add_f64 v[2:3], v[2:3], v[13:14]
	v_add_co_u32 v4, s6, s2, v4
	v_add_co_ci_u32_e64 v5, null, s3, 0, s6
	v_cmp_gt_i64_e32 vcc_lo, s[10:11], v[4:5]
	s_and_b32 s7, s1, vcc_lo
	s_and_saveexec_b32 s6, s7
	s_cbranch_execz .LBB32_97
; %bb.93:
	s_andn2_b32 vcc_lo, exec_lo, s5
	s_cbranch_vccnz .LBB32_95
; %bb.94:
	v_add_co_u32 v4, s7, s2, v8
	v_add_co_ci_u32_e64 v5, null, s3, 0, s7
	v_lshlrev_b64 v[4:5], 3, v[4:5]
	v_add_co_u32 v4, vcc_lo, s12, v4
	v_add_co_ci_u32_e64 v5, null, s13, v5, vcc_lo
	global_store_dwordx2 v[4:5], v[0:1], off offset:128
.LBB32_95:
	s_andn2_b32 vcc_lo, exec_lo, s4
	s_cbranch_vccnz .LBB32_97
; %bb.96:
	v_add_co_u32 v4, s7, s2, v8
	v_add_co_ci_u32_e64 v5, null, s3, 0, s7
	v_lshlrev_b64 v[4:5], 3, v[4:5]
	v_add_co_u32 v4, vcc_lo, s14, v4
	v_add_co_ci_u32_e64 v5, null, s15, v5, vcc_lo
	global_store_dwordx2 v[4:5], v[2:3], off offset:128
.LBB32_97:
	s_or_b32 exec_lo, exec_lo, s6
	v_cmp_gt_u32_e32 vcc_lo, 0x400, v7
	s_and_b32 exec_lo, exec_lo, vcc_lo
	s_cbranch_execz .LBB32_113
; %bb.98:
	s_and_saveexec_b32 s6, s0
	s_cbranch_execz .LBB32_100
; %bb.99:
	v_add_nc_u32_e32 v0, v8, v9
	v_lshl_add_u32 v2, v0, 3, 0
	ds_read_b64 v[0:1], v2 offset:256
	ds_read_b64 v[2:3], v2 offset:4416
.LBB32_100:
	s_or_b32 exec_lo, exec_lo, s6
	s_waitcnt lgkmcnt(1)
	ds_bpermute_b32 v4, v10, v0
	ds_bpermute_b32 v5, v10, v1
	s_waitcnt lgkmcnt(2)
	ds_bpermute_b32 v13, v10, v2
	ds_bpermute_b32 v14, v10, v3
	s_waitcnt lgkmcnt(2)
	v_add_f64 v[0:1], v[0:1], v[4:5]
	s_waitcnt lgkmcnt(0)
	v_add_f64 v[2:3], v[2:3], v[13:14]
	ds_bpermute_b32 v4, v11, v0
	ds_bpermute_b32 v5, v11, v1
	;; [unrolled: 1-line block ×4, first 2 shown]
	s_waitcnt lgkmcnt(2)
	v_add_f64 v[0:1], v[0:1], v[4:5]
	s_waitcnt lgkmcnt(0)
	v_add_f64 v[2:3], v[2:3], v[13:14]
	ds_bpermute_b32 v4, v12, v0
	ds_bpermute_b32 v5, v12, v1
	;; [unrolled: 1-line block ×4, first 2 shown]
	s_waitcnt lgkmcnt(2)
	v_add_f64 v[0:1], v[0:1], v[4:5]
	v_add_nc_u32_e32 v4, 32, v8
	s_waitcnt lgkmcnt(0)
	v_add_f64 v[2:3], v[2:3], v[13:14]
	v_mov_b32_e32 v5, s3
	v_or_b32_e32 v4, s2, v4
	v_cmp_gt_i64_e32 vcc_lo, s[10:11], v[4:5]
	s_and_b32 s7, s1, vcc_lo
	s_and_saveexec_b32 s6, s7
	s_cbranch_execz .LBB32_105
; %bb.101:
	s_andn2_b32 vcc_lo, exec_lo, s5
	s_cbranch_vccnz .LBB32_103
; %bb.102:
	v_add_co_u32 v4, s7, s2, v8
	v_add_co_ci_u32_e64 v5, null, s3, 0, s7
	v_lshlrev_b64 v[4:5], 3, v[4:5]
	v_add_co_u32 v4, vcc_lo, s12, v4
	v_add_co_ci_u32_e64 v5, null, s13, v5, vcc_lo
	global_store_dwordx2 v[4:5], v[0:1], off offset:256
.LBB32_103:
	s_andn2_b32 vcc_lo, exec_lo, s4
	s_cbranch_vccnz .LBB32_105
; %bb.104:
	v_add_co_u32 v4, s7, s2, v8
	v_add_co_ci_u32_e64 v5, null, s3, 0, s7
	v_lshlrev_b64 v[4:5], 3, v[4:5]
	v_add_co_u32 v4, vcc_lo, s14, v4
	v_add_co_ci_u32_e64 v5, null, s15, v5, vcc_lo
	global_store_dwordx2 v[4:5], v[2:3], off offset:256
.LBB32_105:
	s_or_b32 exec_lo, exec_lo, s6
	v_cmp_gt_u32_e32 vcc_lo, 0x200, v7
	s_and_b32 exec_lo, exec_lo, vcc_lo
	s_cbranch_execz .LBB32_113
; %bb.106:
	s_and_saveexec_b32 s6, s0
	s_cbranch_execz .LBB32_108
; %bb.107:
	v_add_nc_u32_e32 v0, v8, v9
	v_lshl_add_u32 v2, v0, 3, 0
	ds_read_b64 v[0:1], v2 offset:384
	ds_read_b64 v[2:3], v2 offset:4544
.LBB32_108:
	s_or_b32 exec_lo, exec_lo, s6
	s_waitcnt lgkmcnt(1)
	ds_bpermute_b32 v4, v10, v0
	ds_bpermute_b32 v5, v10, v1
	s_waitcnt lgkmcnt(2)
	ds_bpermute_b32 v6, v10, v2
	ds_bpermute_b32 v7, v10, v3
	v_add_nc_u32_e32 v9, 48, v8
	v_mov_b32_e32 v10, s3
	v_or_b32_e32 v9, s2, v9
	v_cmp_gt_i64_e32 vcc_lo, s[10:11], v[9:10]
	s_and_b32 s0, s1, vcc_lo
	s_waitcnt lgkmcnt(2)
	v_add_f64 v[0:1], v[0:1], v[4:5]
	s_waitcnt lgkmcnt(0)
	v_add_f64 v[2:3], v[2:3], v[6:7]
	ds_bpermute_b32 v4, v11, v0
	ds_bpermute_b32 v5, v11, v1
	;; [unrolled: 1-line block ×4, first 2 shown]
	s_waitcnt lgkmcnt(2)
	v_add_f64 v[4:5], v[0:1], v[4:5]
	s_waitcnt lgkmcnt(0)
	v_add_f64 v[0:1], v[2:3], v[6:7]
	ds_bpermute_b32 v6, v12, v4
	ds_bpermute_b32 v7, v12, v5
	;; [unrolled: 1-line block ×4, first 2 shown]
	s_and_b32 exec_lo, exec_lo, s0
	s_cbranch_execz .LBB32_113
; %bb.109:
	s_andn2_b32 vcc_lo, exec_lo, s5
	s_cbranch_vccnz .LBB32_111
; %bb.110:
	s_waitcnt lgkmcnt(2)
	v_add_f64 v[4:5], v[4:5], v[6:7]
	v_add_co_u32 v6, s0, s2, v8
	v_add_co_ci_u32_e64 v7, null, s3, 0, s0
	v_lshlrev_b64 v[6:7], 3, v[6:7]
	v_add_co_u32 v6, vcc_lo, s12, v6
	v_add_co_ci_u32_e64 v7, null, s13, v7, vcc_lo
	global_store_dwordx2 v[6:7], v[4:5], off offset:384
.LBB32_111:
	s_andn2_b32 vcc_lo, exec_lo, s4
	s_cbranch_vccnz .LBB32_113
; %bb.112:
	s_waitcnt lgkmcnt(0)
	v_add_f64 v[0:1], v[0:1], v[2:3]
	v_add_co_u32 v2, s0, s2, v8
	v_add_co_ci_u32_e64 v3, null, s3, 0, s0
	v_lshlrev_b64 v[2:3], 3, v[2:3]
	v_add_co_u32 v2, vcc_lo, s14, v2
	v_add_co_ci_u32_e64 v3, null, s15, v3, vcc_lo
	global_store_dwordx2 v[2:3], v[0:1], off offset:384
.LBB32_113:
	s_endpgm
	.section	.rodata,"a",@progbits
	.p2align	6, 0x0
	.amdhsa_kernel _ZN2at6native12_GLOBAL__N_135GammaBetaBackwardCUDAKernelTemplateIddLj64ELj8ELj64ELb0ELb0ELb0EEEvllPKT_S5_PKT0_S8_PS3_S9_
		.amdhsa_group_segment_fixed_size 0
		.amdhsa_private_segment_fixed_size 0
		.amdhsa_kernarg_size 320
		.amdhsa_user_sgpr_count 6
		.amdhsa_user_sgpr_private_segment_buffer 1
		.amdhsa_user_sgpr_dispatch_ptr 0
		.amdhsa_user_sgpr_queue_ptr 0
		.amdhsa_user_sgpr_kernarg_segment_ptr 1
		.amdhsa_user_sgpr_dispatch_id 0
		.amdhsa_user_sgpr_flat_scratch_init 0
		.amdhsa_user_sgpr_private_segment_size 0
		.amdhsa_wavefront_size32 1
		.amdhsa_uses_dynamic_stack 0
		.amdhsa_system_sgpr_private_segment_wavefront_offset 0
		.amdhsa_system_sgpr_workgroup_id_x 1
		.amdhsa_system_sgpr_workgroup_id_y 1
		.amdhsa_system_sgpr_workgroup_id_z 0
		.amdhsa_system_sgpr_workgroup_info 0
		.amdhsa_system_vgpr_workitem_id 1
		.amdhsa_next_free_vgpr 114
		.amdhsa_next_free_sgpr 32
		.amdhsa_reserve_vcc 1
		.amdhsa_reserve_flat_scratch 0
		.amdhsa_float_round_mode_32 0
		.amdhsa_float_round_mode_16_64 0
		.amdhsa_float_denorm_mode_32 3
		.amdhsa_float_denorm_mode_16_64 3
		.amdhsa_dx10_clamp 1
		.amdhsa_ieee_mode 1
		.amdhsa_fp16_overflow 0
		.amdhsa_workgroup_processor_mode 1
		.amdhsa_memory_ordered 1
		.amdhsa_forward_progress 1
		.amdhsa_shared_vgpr_count 0
		.amdhsa_exception_fp_ieee_invalid_op 0
		.amdhsa_exception_fp_denorm_src 0
		.amdhsa_exception_fp_ieee_div_zero 0
		.amdhsa_exception_fp_ieee_overflow 0
		.amdhsa_exception_fp_ieee_underflow 0
		.amdhsa_exception_fp_ieee_inexact 0
		.amdhsa_exception_int_div_zero 0
	.end_amdhsa_kernel
	.section	.text._ZN2at6native12_GLOBAL__N_135GammaBetaBackwardCUDAKernelTemplateIddLj64ELj8ELj64ELb0ELb0ELb0EEEvllPKT_S5_PKT0_S8_PS3_S9_,"axG",@progbits,_ZN2at6native12_GLOBAL__N_135GammaBetaBackwardCUDAKernelTemplateIddLj64ELj8ELj64ELb0ELb0ELb0EEEvllPKT_S5_PKT0_S8_PS3_S9_,comdat
.Lfunc_end32:
	.size	_ZN2at6native12_GLOBAL__N_135GammaBetaBackwardCUDAKernelTemplateIddLj64ELj8ELj64ELb0ELb0ELb0EEEvllPKT_S5_PKT0_S8_PS3_S9_, .Lfunc_end32-_ZN2at6native12_GLOBAL__N_135GammaBetaBackwardCUDAKernelTemplateIddLj64ELj8ELj64ELb0ELb0ELb0EEEvllPKT_S5_PKT0_S8_PS3_S9_
                                        ; -- End function
	.set _ZN2at6native12_GLOBAL__N_135GammaBetaBackwardCUDAKernelTemplateIddLj64ELj8ELj64ELb0ELb0ELb0EEEvllPKT_S5_PKT0_S8_PS3_S9_.num_vgpr, 114
	.set _ZN2at6native12_GLOBAL__N_135GammaBetaBackwardCUDAKernelTemplateIddLj64ELj8ELj64ELb0ELb0ELb0EEEvllPKT_S5_PKT0_S8_PS3_S9_.num_agpr, 0
	.set _ZN2at6native12_GLOBAL__N_135GammaBetaBackwardCUDAKernelTemplateIddLj64ELj8ELj64ELb0ELb0ELb0EEEvllPKT_S5_PKT0_S8_PS3_S9_.numbered_sgpr, 32
	.set _ZN2at6native12_GLOBAL__N_135GammaBetaBackwardCUDAKernelTemplateIddLj64ELj8ELj64ELb0ELb0ELb0EEEvllPKT_S5_PKT0_S8_PS3_S9_.num_named_barrier, 0
	.set _ZN2at6native12_GLOBAL__N_135GammaBetaBackwardCUDAKernelTemplateIddLj64ELj8ELj64ELb0ELb0ELb0EEEvllPKT_S5_PKT0_S8_PS3_S9_.private_seg_size, 0
	.set _ZN2at6native12_GLOBAL__N_135GammaBetaBackwardCUDAKernelTemplateIddLj64ELj8ELj64ELb0ELb0ELb0EEEvllPKT_S5_PKT0_S8_PS3_S9_.uses_vcc, 1
	.set _ZN2at6native12_GLOBAL__N_135GammaBetaBackwardCUDAKernelTemplateIddLj64ELj8ELj64ELb0ELb0ELb0EEEvllPKT_S5_PKT0_S8_PS3_S9_.uses_flat_scratch, 0
	.set _ZN2at6native12_GLOBAL__N_135GammaBetaBackwardCUDAKernelTemplateIddLj64ELj8ELj64ELb0ELb0ELb0EEEvllPKT_S5_PKT0_S8_PS3_S9_.has_dyn_sized_stack, 0
	.set _ZN2at6native12_GLOBAL__N_135GammaBetaBackwardCUDAKernelTemplateIddLj64ELj8ELj64ELb0ELb0ELb0EEEvllPKT_S5_PKT0_S8_PS3_S9_.has_recursion, 0
	.set _ZN2at6native12_GLOBAL__N_135GammaBetaBackwardCUDAKernelTemplateIddLj64ELj8ELj64ELb0ELb0ELb0EEEvllPKT_S5_PKT0_S8_PS3_S9_.has_indirect_call, 0
	.section	.AMDGPU.csdata,"",@progbits
; Kernel info:
; codeLenInByte = 11036
; TotalNumSgprs: 34
; NumVgprs: 114
; ScratchSize: 0
; MemoryBound: 1
; FloatMode: 240
; IeeeMode: 1
; LDSByteSize: 0 bytes/workgroup (compile time only)
; SGPRBlocks: 0
; VGPRBlocks: 14
; NumSGPRsForWavesPerEU: 34
; NumVGPRsForWavesPerEU: 114
; Occupancy: 8
; WaveLimiterHint : 0
; COMPUTE_PGM_RSRC2:SCRATCH_EN: 0
; COMPUTE_PGM_RSRC2:USER_SGPR: 6
; COMPUTE_PGM_RSRC2:TRAP_HANDLER: 0
; COMPUTE_PGM_RSRC2:TGID_X_EN: 1
; COMPUTE_PGM_RSRC2:TGID_Y_EN: 1
; COMPUTE_PGM_RSRC2:TGID_Z_EN: 0
; COMPUTE_PGM_RSRC2:TIDIG_COMP_CNT: 1
	.section	.text._ZN2at6native12_GLOBAL__N_135GammaBetaBackwardCUDAKernelTemplateIddLj64ELj16ELj128ELb0ELb1ELb0EEEvllPKT_S5_PKT0_S8_PS3_S9_,"axG",@progbits,_ZN2at6native12_GLOBAL__N_135GammaBetaBackwardCUDAKernelTemplateIddLj64ELj16ELj128ELb0ELb1ELb0EEEvllPKT_S5_PKT0_S8_PS3_S9_,comdat
	.globl	_ZN2at6native12_GLOBAL__N_135GammaBetaBackwardCUDAKernelTemplateIddLj64ELj16ELj128ELb0ELb1ELb0EEEvllPKT_S5_PKT0_S8_PS3_S9_ ; -- Begin function _ZN2at6native12_GLOBAL__N_135GammaBetaBackwardCUDAKernelTemplateIddLj64ELj16ELj128ELb0ELb1ELb0EEEvllPKT_S5_PKT0_S8_PS3_S9_
	.p2align	8
	.type	_ZN2at6native12_GLOBAL__N_135GammaBetaBackwardCUDAKernelTemplateIddLj64ELj16ELj128ELb0ELb1ELb0EEEvllPKT_S5_PKT0_S8_PS3_S9_,@function
_ZN2at6native12_GLOBAL__N_135GammaBetaBackwardCUDAKernelTemplateIddLj64ELj16ELj128ELb0ELb1ELb0EEEvllPKT_S5_PKT0_S8_PS3_S9_: ; @_ZN2at6native12_GLOBAL__N_135GammaBetaBackwardCUDAKernelTemplateIddLj64ELj16ELj128ELb0ELb1ELb0EEEvllPKT_S5_PKT0_S8_PS3_S9_
; %bb.0:
	s_load_dwordx4 s[20:23], s[4:5], 0x0
	s_lshl_b32 s2, s7, 7
	s_mov_b32 s3, 0
	s_waitcnt lgkmcnt(0)
	v_cmp_gt_i64_e64 s0, s[20:21], s[2:3]
	s_and_b32 vcc_lo, exec_lo, s0
	s_cbranch_vccnz .LBB33_2
; %bb.1:
	s_mov_b32 s0, s3
	s_branch .LBB33_3
.LBB33_2:
	s_mov_b32 s0, -1
.LBB33_3:
	s_load_dwordx4 s[16:19], s[4:5], 0x30
	v_mov_b32_e32 v8, 0
	v_mov_b32_e32 v12, 0
	;; [unrolled: 1-line block ×4, first 2 shown]
	s_andn2_b32 vcc_lo, exec_lo, s0
	s_cbranch_vccnz .LBB33_10
; %bb.4:
	s_clause 0x2
	s_load_dword s0, s[4:5], 0x4c
	s_load_dword s1, s[4:5], 0x44
	s_load_dwordx8 s[8:15], s[4:5], 0x10
	v_lshlrev_b32_e32 v2, 3, v1
	v_mov_b32_e32 v3, 0
	v_mov_b32_e32 v16, 8
	v_mov_b32_e32 v17, 4
	v_mov_b32_e32 v18, 12
	v_add_co_u32 v4, s4, v2, s2
	v_add_co_ci_u32_e64 v5, null, 0, 0, s4
	v_lshl_add_u32 v2, s6, 6, v0
	v_mul_lo_u32 v10, s23, v4
	v_mad_u64_u32 v[6:7], null, s22, v4, 0
	v_mul_lo_u32 v11, s22, v5
	v_mov_b32_e32 v19, 16
	v_mov_b32_e32 v20, 20
	;; [unrolled: 1-line block ×3, first 2 shown]
	s_waitcnt lgkmcnt(0)
	s_and_b32 s0, s0, 0xffff
	s_lshl_b32 s4, s1, 7
	v_mad_u32_u24 v8, v1, s0, v0
	s_mul_i32 s1, s23, s4
	v_add3_u32 v7, v7, v11, v10
	s_mul_hi_u32 s7, s22, s4
	v_mov_b32_e32 v22, 28
	v_and_b32_e32 v12, 31, v8
	v_lshlrev_b64 v[8:9], 3, v[2:3]
	v_lshlrev_b64 v[10:11], 3, v[6:7]
	s_mov_b32 s5, 0
	s_add_i32 s27, s7, s1
	v_add_co_u32 v4, vcc_lo, v4, v12
	v_add_co_ci_u32_e64 v5, null, 0, v5, vcc_lo
	v_add_co_u32 v2, vcc_lo, v10, v8
	v_cmp_gt_u32_e64 s0, 8, v12
	v_lshlrev_b64 v[6:7], 3, v[4:5]
	v_add_co_ci_u32_e64 v23, null, v11, v9, vcc_lo
	v_mov_b32_e32 v12, 0
	v_mov_b32_e32 v8, 0
	;; [unrolled: 1-line block ×4, first 2 shown]
	s_mul_i32 s26, s22, s4
	s_lshl_b64 s[24:25], s[4:5], 3
	s_lshl_b64 s[26:27], s[26:27], 3
	;; [unrolled: 1-line block ×3, first 2 shown]
	s_branch .LBB33_7
.LBB33_5:                               ;   in Loop: Header=BB33_7 Depth=1
	s_or_b32 exec_lo, exec_lo, s5
.LBB33_6:                               ;   in Loop: Header=BB33_7 Depth=1
	s_or_b32 exec_lo, exec_lo, s1
	v_add_co_u32 v24, vcc_lo, s10, v2
	v_add_co_ci_u32_e64 v25, null, s11, v23, vcc_lo
	v_add_co_u32 v28, vcc_lo, s8, v2
	v_add_co_ci_u32_e64 v29, null, s9, v23, vcc_lo
	global_load_dwordx2 v[26:27], v[24:25], off
	v_add_co_u32 v24, vcc_lo, v24, s22
	v_add_co_ci_u32_e64 v25, null, s23, v25, vcc_lo
	global_load_dwordx2 v[30:31], v[28:29], off
	global_load_dwordx2 v[32:33], v[24:25], off
	v_add_co_u32 v24, vcc_lo, v24, s22
	v_add_co_ci_u32_e64 v25, null, s23, v25, vcc_lo
	v_add_co_u32 v28, vcc_lo, v28, s22
	v_add_co_ci_u32_e64 v29, null, s23, v29, vcc_lo
	global_load_dwordx2 v[34:35], v[24:25], off
	global_load_dwordx2 v[36:37], v[28:29], off
	v_add_co_u32 v24, vcc_lo, v24, s22
	v_add_co_ci_u32_e64 v25, null, s23, v25, vcc_lo
	;; [unrolled: 6-line block ×7, first 2 shown]
	s_waitcnt vmcnt(16)
	ds_bpermute_b32 v56, v3, v14
	ds_bpermute_b32 v57, v3, v15
	s_waitcnt vmcnt(15)
	ds_bpermute_b32 v58, v3, v10
	global_load_dwordx2 v[28:29], v[28:29], off
	ds_bpermute_b32 v59, v3, v11
	s_add_u32 s2, s2, s4
	v_add_co_u32 v6, vcc_lo, v6, s24
	s_addc_u32 s3, s3, 0
	v_add_co_ci_u32_e64 v7, null, s25, v7, vcc_lo
	v_add_co_u32 v4, vcc_lo, v4, s4
	v_cmp_lt_i64_e64 s1, s[2:3], s[20:21]
	v_add_co_ci_u32_e64 v5, null, 0, v5, vcc_lo
	v_add_co_u32 v2, vcc_lo, v2, s26
	v_add_co_ci_u32_e64 v23, null, s27, v23, vcc_lo
	s_and_b32 vcc_lo, exec_lo, s1
	s_waitcnt vmcnt(15) lgkmcnt(2)
	v_add_f64 v[26:27], v[26:27], -v[56:57]
	ds_bpermute_b32 v56, v17, v14
	ds_bpermute_b32 v57, v17, v15
	s_waitcnt vmcnt(14)
	v_add_f64 v[8:9], v[8:9], v[30:31]
	s_waitcnt vmcnt(13) lgkmcnt(0)
	v_add_f64 v[32:33], v[32:33], -v[56:57]
	v_mul_f64 v[26:27], v[30:31], v[26:27]
	ds_bpermute_b32 v56, v16, v14
	ds_bpermute_b32 v57, v16, v15
	;; [unrolled: 1-line block ×4, first 2 shown]
	s_waitcnt vmcnt(11)
	v_add_f64 v[8:9], v[8:9], v[36:37]
	v_mul_f64 v[32:33], v[36:37], v[32:33]
	v_fma_f64 v[12:13], v[26:27], v[58:59], v[12:13]
	s_waitcnt lgkmcnt(2)
	v_add_f64 v[34:35], v[34:35], -v[56:57]
	ds_bpermute_b32 v26, v17, v10
	ds_bpermute_b32 v58, v18, v14
	;; [unrolled: 1-line block ×6, first 2 shown]
	s_waitcnt vmcnt(9)
	v_add_f64 v[8:9], v[8:9], v[40:41]
	v_mul_f64 v[34:35], v[40:41], v[34:35]
	s_waitcnt lgkmcnt(3)
	v_add_f64 v[38:39], v[38:39], -v[58:59]
	s_waitcnt lgkmcnt(2)
	v_fma_f64 v[12:13], v[32:33], v[26:27], v[12:13]
	ds_bpermute_b32 v26, v18, v10
	s_waitcnt vmcnt(8) lgkmcnt(1)
	v_add_f64 v[36:37], v[42:43], -v[56:57]
	ds_bpermute_b32 v32, v20, v14
	ds_bpermute_b32 v33, v20, v15
	;; [unrolled: 1-line block ×3, first 2 shown]
	s_waitcnt vmcnt(7)
	v_add_f64 v[8:9], v[8:9], v[44:45]
	v_mul_f64 v[38:39], v[44:45], v[38:39]
	v_fma_f64 v[12:13], v[34:35], v[30:31], v[12:13]
	ds_bpermute_b32 v30, v19, v10
	s_waitcnt vmcnt(6) lgkmcnt(2)
	v_add_f64 v[32:33], v[46:47], -v[32:33]
	s_waitcnt vmcnt(5)
	v_mul_f64 v[36:37], v[48:49], v[36:37]
	ds_bpermute_b32 v34, v21, v14
	ds_bpermute_b32 v35, v21, v15
	;; [unrolled: 1-line block ×3, first 2 shown]
	v_add_f64 v[8:9], v[8:9], v[48:49]
	ds_bpermute_b32 v14, v22, v14
	ds_bpermute_b32 v15, v22, v15
	s_waitcnt lgkmcnt(6)
	v_fma_f64 v[12:13], v[38:39], v[26:27], v[12:13]
	ds_bpermute_b32 v26, v20, v10
	s_waitcnt vmcnt(3)
	v_mul_f64 v[32:33], v[52:53], v[32:33]
	s_waitcnt lgkmcnt(4)
	v_add_f64 v[34:35], v[50:51], -v[34:35]
	ds_bpermute_b32 v27, v20, v11
	s_waitcnt vmcnt(2) lgkmcnt(2)
	v_add_f64 v[14:15], v[24:25], -v[14:15]
	v_add_f64 v[8:9], v[8:9], v[52:53]
	v_fma_f64 v[12:13], v[36:37], v[30:31], v[12:13]
	ds_bpermute_b32 v30, v21, v10
	ds_bpermute_b32 v31, v21, v11
	s_waitcnt vmcnt(1)
	v_mul_f64 v[24:25], v[54:55], v[34:35]
	ds_bpermute_b32 v10, v22, v10
	ds_bpermute_b32 v11, v22, v11
	s_waitcnt vmcnt(0)
	v_mul_f64 v[14:15], v[28:29], v[14:15]
	v_add_f64 v[8:9], v[8:9], v[54:55]
	s_waitcnt lgkmcnt(4)
	v_fma_f64 v[12:13], v[32:33], v[26:27], v[12:13]
	v_add_f64 v[8:9], v[8:9], v[28:29]
	s_waitcnt lgkmcnt(2)
	v_fma_f64 v[12:13], v[24:25], v[30:31], v[12:13]
	s_waitcnt lgkmcnt(0)
	v_fma_f64 v[12:13], v[14:15], v[10:11], v[12:13]
	s_cbranch_vccz .LBB33_10
.LBB33_7:                               ; =>This Inner Loop Header: Depth=1
	v_mov_b32_e32 v10, 0
	v_mov_b32_e32 v14, 0
	;; [unrolled: 1-line block ×4, first 2 shown]
	s_and_saveexec_b32 s1, s0
	s_cbranch_execz .LBB33_6
; %bb.8:                                ;   in Loop: Header=BB33_7 Depth=1
	v_mov_b32_e32 v14, 0
	v_mov_b32_e32 v10, 0
	;; [unrolled: 1-line block ×4, first 2 shown]
	s_mov_b32 s5, exec_lo
	v_cmpx_gt_i64_e64 s[20:21], v[4:5]
	s_cbranch_execz .LBB33_5
; %bb.9:                                ;   in Loop: Header=BB33_7 Depth=1
	v_add_co_u32 v10, vcc_lo, s12, v6
	v_add_co_ci_u32_e64 v11, null, s13, v7, vcc_lo
	v_add_co_u32 v24, vcc_lo, s14, v6
	v_add_co_ci_u32_e64 v25, null, s15, v7, vcc_lo
	global_load_dwordx2 v[14:15], v[10:11], off
	global_load_dwordx2 v[10:11], v[24:25], off
	s_branch .LBB33_5
.LBB33_10:
	v_mad_u32_u24 v2, 0x41, v1, v0
	s_mov_b32 s0, exec_lo
	v_lshl_add_u32 v3, v2, 3, 0
	v_sub_nc_u32_e32 v7, v2, v1
	ds_write_b64 v3, v[12:13]
	ds_write_b64 v3, v[8:9] offset:8320
	s_waitcnt lgkmcnt(0)
	s_barrier
	buffer_gl0_inv
	v_cmpx_gt_u32_e32 0x800, v7
	s_cbranch_execz .LBB33_26
; %bb.11:
	v_and_b32_e32 v1, 31, v0
	v_lshrrev_b32_e32 v8, 5, v7
                                        ; implicit-def: $vgpr3_vgpr4
	v_cmp_gt_u32_e64 s0, 16, v1
	v_mul_u32_u24_e32 v9, 0x41, v1
                                        ; implicit-def: $vgpr1_vgpr2
	s_and_saveexec_b32 s1, s0
	s_cbranch_execz .LBB33_13
; %bb.12:
	v_add_nc_u32_e32 v1, v8, v9
	v_lshl_add_u32 v1, v1, 3, 0
	ds_read_b64 v[3:4], v1
	ds_read_b64 v[1:2], v1 offset:8320
.LBB33_13:
	s_or_b32 exec_lo, exec_lo, s1
	v_mbcnt_lo_u32_b32 v15, -1, 0
	s_mov_b32 s7, 0
	v_cmp_eq_u32_e64 s1, 0, v0
	s_lshl_b64 s[2:3], s[6:7], 6
	s_cmp_lg_u64 s[16:17], 0
	v_xor_b32_e32 v5, 8, v15
	s_cselect_b32 s5, -1, 0
	s_cmp_lg_u64 s[18:19], 0
	s_cselect_b32 s4, -1, 0
	v_cmp_gt_i32_e32 vcc_lo, 32, v5
	v_cndmask_b32_e32 v5, v15, v5, vcc_lo
	v_lshlrev_b32_e32 v10, 2, v5
	s_waitcnt lgkmcnt(1)
	ds_bpermute_b32 v5, v10, v3
	ds_bpermute_b32 v6, v10, v4
	s_waitcnt lgkmcnt(2)
	ds_bpermute_b32 v11, v10, v1
	ds_bpermute_b32 v12, v10, v2
	s_waitcnt lgkmcnt(2)
	v_add_f64 v[3:4], v[3:4], v[5:6]
	v_xor_b32_e32 v5, 4, v15
	s_waitcnt lgkmcnt(0)
	v_add_f64 v[1:2], v[1:2], v[11:12]
	v_cmp_gt_i32_e32 vcc_lo, 32, v5
	v_cndmask_b32_e32 v5, v15, v5, vcc_lo
	v_lshlrev_b32_e32 v11, 2, v5
	ds_bpermute_b32 v5, v11, v3
	ds_bpermute_b32 v6, v11, v4
	;; [unrolled: 1-line block ×4, first 2 shown]
	s_waitcnt lgkmcnt(2)
	v_add_f64 v[3:4], v[3:4], v[5:6]
	v_xor_b32_e32 v5, 2, v15
	s_waitcnt lgkmcnt(0)
	v_add_f64 v[1:2], v[1:2], v[12:13]
	v_cmp_gt_i32_e32 vcc_lo, 32, v5
	v_cndmask_b32_e32 v5, v15, v5, vcc_lo
	v_lshlrev_b32_e32 v12, 2, v5
	ds_bpermute_b32 v5, v12, v3
	ds_bpermute_b32 v6, v12, v4
	;; [unrolled: 1-line block ×4, first 2 shown]
	s_waitcnt lgkmcnt(2)
	v_add_f64 v[3:4], v[3:4], v[5:6]
	s_waitcnt lgkmcnt(0)
	v_add_f64 v[5:6], v[1:2], v[13:14]
	v_xor_b32_e32 v1, 1, v15
	v_cmp_gt_i32_e32 vcc_lo, 32, v1
	v_cndmask_b32_e32 v1, v15, v1, vcc_lo
	v_lshlrev_b32_e32 v13, 2, v1
	ds_bpermute_b32 v1, v13, v3
	ds_bpermute_b32 v2, v13, v4
	;; [unrolled: 1-line block ×4, first 2 shown]
	s_waitcnt lgkmcnt(2)
	v_add_f64 v[1:2], v[3:4], v[1:2]
	s_waitcnt lgkmcnt(0)
	v_add_f64 v[3:4], v[5:6], v[14:15]
	s_and_saveexec_b32 s6, s1
	s_cbranch_execz .LBB33_18
; %bb.14:
	v_mov_b32_e32 v6, s3
	v_or_b32_e32 v5, s2, v8
	s_andn2_b32 vcc_lo, exec_lo, s5
	v_lshlrev_b64 v[5:6], 3, v[5:6]
	s_cbranch_vccnz .LBB33_16
; %bb.15:
	v_add_co_u32 v14, vcc_lo, s16, v5
	v_add_co_ci_u32_e64 v15, null, s17, v6, vcc_lo
	global_store_dwordx2 v[14:15], v[1:2], off
.LBB33_16:
	s_andn2_b32 vcc_lo, exec_lo, s4
	s_cbranch_vccnz .LBB33_18
; %bb.17:
	v_add_co_u32 v5, vcc_lo, s18, v5
	v_add_co_ci_u32_e64 v6, null, s19, v6, vcc_lo
	global_store_dwordx2 v[5:6], v[3:4], off
.LBB33_18:
	s_or_b32 exec_lo, exec_lo, s6
	v_cmp_gt_u32_e32 vcc_lo, 0x400, v7
	s_and_b32 exec_lo, exec_lo, vcc_lo
	s_cbranch_execz .LBB33_26
; %bb.19:
	s_and_saveexec_b32 s6, s0
	s_cbranch_execz .LBB33_21
; %bb.20:
	v_add_nc_u32_e32 v0, v8, v9
	v_lshl_add_u32 v0, v0, 3, 0
	ds_read_b64 v[1:2], v0 offset:256
	ds_read_b64 v[3:4], v0 offset:8576
.LBB33_21:
	s_or_b32 exec_lo, exec_lo, s6
	s_waitcnt lgkmcnt(1)
	ds_bpermute_b32 v5, v10, v1
	ds_bpermute_b32 v6, v10, v2
	s_waitcnt lgkmcnt(2)
	ds_bpermute_b32 v9, v10, v3
	ds_bpermute_b32 v10, v10, v4
	s_waitcnt lgkmcnt(2)
	v_add_f64 v[0:1], v[1:2], v[5:6]
	s_waitcnt lgkmcnt(0)
	v_add_f64 v[2:3], v[3:4], v[9:10]
	ds_bpermute_b32 v4, v11, v0
	ds_bpermute_b32 v5, v11, v1
	ds_bpermute_b32 v6, v11, v2
	ds_bpermute_b32 v7, v11, v3
	s_waitcnt lgkmcnt(2)
	v_add_f64 v[0:1], v[0:1], v[4:5]
	s_waitcnt lgkmcnt(0)
	v_add_f64 v[2:3], v[2:3], v[6:7]
	ds_bpermute_b32 v4, v12, v0
	ds_bpermute_b32 v5, v12, v1
	;; [unrolled: 8-line block ×3, first 2 shown]
	ds_bpermute_b32 v2, v13, v0
	ds_bpermute_b32 v3, v13, v1
	s_and_b32 exec_lo, exec_lo, s1
	s_cbranch_execz .LBB33_26
; %bb.22:
	s_andn2_b32 vcc_lo, exec_lo, s5
	s_cbranch_vccnz .LBB33_24
; %bb.23:
	s_waitcnt lgkmcnt(2)
	v_add_f64 v[4:5], v[4:5], v[6:7]
	v_add_co_u32 v6, s0, s2, v8
	v_add_co_ci_u32_e64 v7, null, s3, 0, s0
	v_lshlrev_b64 v[6:7], 3, v[6:7]
	v_add_co_u32 v6, vcc_lo, s16, v6
	v_add_co_ci_u32_e64 v7, null, s17, v7, vcc_lo
	global_store_dwordx2 v[6:7], v[4:5], off offset:256
.LBB33_24:
	s_andn2_b32 vcc_lo, exec_lo, s4
	s_cbranch_vccnz .LBB33_26
; %bb.25:
	s_waitcnt lgkmcnt(0)
	v_add_f64 v[0:1], v[0:1], v[2:3]
	v_add_co_u32 v2, s0, s2, v8
	v_add_co_ci_u32_e64 v3, null, s3, 0, s0
	v_lshlrev_b64 v[2:3], 3, v[2:3]
	v_add_co_u32 v2, vcc_lo, s18, v2
	v_add_co_ci_u32_e64 v3, null, s19, v3, vcc_lo
	global_store_dwordx2 v[2:3], v[0:1], off offset:256
.LBB33_26:
	s_endpgm
	.section	.rodata,"a",@progbits
	.p2align	6, 0x0
	.amdhsa_kernel _ZN2at6native12_GLOBAL__N_135GammaBetaBackwardCUDAKernelTemplateIddLj64ELj16ELj128ELb0ELb1ELb0EEEvllPKT_S5_PKT0_S8_PS3_S9_
		.amdhsa_group_segment_fixed_size 0
		.amdhsa_private_segment_fixed_size 0
		.amdhsa_kernarg_size 320
		.amdhsa_user_sgpr_count 6
		.amdhsa_user_sgpr_private_segment_buffer 1
		.amdhsa_user_sgpr_dispatch_ptr 0
		.amdhsa_user_sgpr_queue_ptr 0
		.amdhsa_user_sgpr_kernarg_segment_ptr 1
		.amdhsa_user_sgpr_dispatch_id 0
		.amdhsa_user_sgpr_flat_scratch_init 0
		.amdhsa_user_sgpr_private_segment_size 0
		.amdhsa_wavefront_size32 1
		.amdhsa_uses_dynamic_stack 0
		.amdhsa_system_sgpr_private_segment_wavefront_offset 0
		.amdhsa_system_sgpr_workgroup_id_x 1
		.amdhsa_system_sgpr_workgroup_id_y 1
		.amdhsa_system_sgpr_workgroup_id_z 0
		.amdhsa_system_sgpr_workgroup_info 0
		.amdhsa_system_vgpr_workitem_id 1
		.amdhsa_next_free_vgpr 60
		.amdhsa_next_free_sgpr 28
		.amdhsa_reserve_vcc 1
		.amdhsa_reserve_flat_scratch 0
		.amdhsa_float_round_mode_32 0
		.amdhsa_float_round_mode_16_64 0
		.amdhsa_float_denorm_mode_32 3
		.amdhsa_float_denorm_mode_16_64 3
		.amdhsa_dx10_clamp 1
		.amdhsa_ieee_mode 1
		.amdhsa_fp16_overflow 0
		.amdhsa_workgroup_processor_mode 1
		.amdhsa_memory_ordered 1
		.amdhsa_forward_progress 1
		.amdhsa_shared_vgpr_count 0
		.amdhsa_exception_fp_ieee_invalid_op 0
		.amdhsa_exception_fp_denorm_src 0
		.amdhsa_exception_fp_ieee_div_zero 0
		.amdhsa_exception_fp_ieee_overflow 0
		.amdhsa_exception_fp_ieee_underflow 0
		.amdhsa_exception_fp_ieee_inexact 0
		.amdhsa_exception_int_div_zero 0
	.end_amdhsa_kernel
	.section	.text._ZN2at6native12_GLOBAL__N_135GammaBetaBackwardCUDAKernelTemplateIddLj64ELj16ELj128ELb0ELb1ELb0EEEvllPKT_S5_PKT0_S8_PS3_S9_,"axG",@progbits,_ZN2at6native12_GLOBAL__N_135GammaBetaBackwardCUDAKernelTemplateIddLj64ELj16ELj128ELb0ELb1ELb0EEEvllPKT_S5_PKT0_S8_PS3_S9_,comdat
.Lfunc_end33:
	.size	_ZN2at6native12_GLOBAL__N_135GammaBetaBackwardCUDAKernelTemplateIddLj64ELj16ELj128ELb0ELb1ELb0EEEvllPKT_S5_PKT0_S8_PS3_S9_, .Lfunc_end33-_ZN2at6native12_GLOBAL__N_135GammaBetaBackwardCUDAKernelTemplateIddLj64ELj16ELj128ELb0ELb1ELb0EEEvllPKT_S5_PKT0_S8_PS3_S9_
                                        ; -- End function
	.set _ZN2at6native12_GLOBAL__N_135GammaBetaBackwardCUDAKernelTemplateIddLj64ELj16ELj128ELb0ELb1ELb0EEEvllPKT_S5_PKT0_S8_PS3_S9_.num_vgpr, 60
	.set _ZN2at6native12_GLOBAL__N_135GammaBetaBackwardCUDAKernelTemplateIddLj64ELj16ELj128ELb0ELb1ELb0EEEvllPKT_S5_PKT0_S8_PS3_S9_.num_agpr, 0
	.set _ZN2at6native12_GLOBAL__N_135GammaBetaBackwardCUDAKernelTemplateIddLj64ELj16ELj128ELb0ELb1ELb0EEEvllPKT_S5_PKT0_S8_PS3_S9_.numbered_sgpr, 28
	.set _ZN2at6native12_GLOBAL__N_135GammaBetaBackwardCUDAKernelTemplateIddLj64ELj16ELj128ELb0ELb1ELb0EEEvllPKT_S5_PKT0_S8_PS3_S9_.num_named_barrier, 0
	.set _ZN2at6native12_GLOBAL__N_135GammaBetaBackwardCUDAKernelTemplateIddLj64ELj16ELj128ELb0ELb1ELb0EEEvllPKT_S5_PKT0_S8_PS3_S9_.private_seg_size, 0
	.set _ZN2at6native12_GLOBAL__N_135GammaBetaBackwardCUDAKernelTemplateIddLj64ELj16ELj128ELb0ELb1ELb0EEEvllPKT_S5_PKT0_S8_PS3_S9_.uses_vcc, 1
	.set _ZN2at6native12_GLOBAL__N_135GammaBetaBackwardCUDAKernelTemplateIddLj64ELj16ELj128ELb0ELb1ELb0EEEvllPKT_S5_PKT0_S8_PS3_S9_.uses_flat_scratch, 0
	.set _ZN2at6native12_GLOBAL__N_135GammaBetaBackwardCUDAKernelTemplateIddLj64ELj16ELj128ELb0ELb1ELb0EEEvllPKT_S5_PKT0_S8_PS3_S9_.has_dyn_sized_stack, 0
	.set _ZN2at6native12_GLOBAL__N_135GammaBetaBackwardCUDAKernelTemplateIddLj64ELj16ELj128ELb0ELb1ELb0EEEvllPKT_S5_PKT0_S8_PS3_S9_.has_recursion, 0
	.set _ZN2at6native12_GLOBAL__N_135GammaBetaBackwardCUDAKernelTemplateIddLj64ELj16ELj128ELb0ELb1ELb0EEEvllPKT_S5_PKT0_S8_PS3_S9_.has_indirect_call, 0
	.section	.AMDGPU.csdata,"",@progbits
; Kernel info:
; codeLenInByte = 2496
; TotalNumSgprs: 30
; NumVgprs: 60
; ScratchSize: 0
; MemoryBound: 0
; FloatMode: 240
; IeeeMode: 1
; LDSByteSize: 0 bytes/workgroup (compile time only)
; SGPRBlocks: 0
; VGPRBlocks: 7
; NumSGPRsForWavesPerEU: 30
; NumVGPRsForWavesPerEU: 60
; Occupancy: 16
; WaveLimiterHint : 0
; COMPUTE_PGM_RSRC2:SCRATCH_EN: 0
; COMPUTE_PGM_RSRC2:USER_SGPR: 6
; COMPUTE_PGM_RSRC2:TRAP_HANDLER: 0
; COMPUTE_PGM_RSRC2:TGID_X_EN: 1
; COMPUTE_PGM_RSRC2:TGID_Y_EN: 1
; COMPUTE_PGM_RSRC2:TGID_Z_EN: 0
; COMPUTE_PGM_RSRC2:TIDIG_COMP_CNT: 1
	.section	.text._ZN2at6native12_GLOBAL__N_135GammaBetaBackwardCUDAKernelTemplateIddLj64ELj16ELj128ELb0ELb0ELb0EEEvllPKT_S5_PKT0_S8_PS3_S9_,"axG",@progbits,_ZN2at6native12_GLOBAL__N_135GammaBetaBackwardCUDAKernelTemplateIddLj64ELj16ELj128ELb0ELb0ELb0EEEvllPKT_S5_PKT0_S8_PS3_S9_,comdat
	.globl	_ZN2at6native12_GLOBAL__N_135GammaBetaBackwardCUDAKernelTemplateIddLj64ELj16ELj128ELb0ELb0ELb0EEEvllPKT_S5_PKT0_S8_PS3_S9_ ; -- Begin function _ZN2at6native12_GLOBAL__N_135GammaBetaBackwardCUDAKernelTemplateIddLj64ELj16ELj128ELb0ELb0ELb0EEEvllPKT_S5_PKT0_S8_PS3_S9_
	.p2align	8
	.type	_ZN2at6native12_GLOBAL__N_135GammaBetaBackwardCUDAKernelTemplateIddLj64ELj16ELj128ELb0ELb0ELb0EEEvllPKT_S5_PKT0_S8_PS3_S9_,@function
_ZN2at6native12_GLOBAL__N_135GammaBetaBackwardCUDAKernelTemplateIddLj64ELj16ELj128ELb0ELb0ELb0EEEvllPKT_S5_PKT0_S8_PS3_S9_: ; @_ZN2at6native12_GLOBAL__N_135GammaBetaBackwardCUDAKernelTemplateIddLj64ELj16ELj128ELb0ELb0ELb0EEEvllPKT_S5_PKT0_S8_PS3_S9_
; %bb.0:
	s_clause 0x1
	s_load_dwordx8 s[8:15], s[4:5], 0x0
	s_load_dwordx4 s[16:19], s[4:5], 0x20
	s_lshl_b32 s28, s6, 6
	s_mov_b32 s3, 0
	s_or_b32 s2, s28, 63
	s_waitcnt lgkmcnt(0)
	v_cmp_le_i64_e64 s0, s[10:11], s[2:3]
	s_lshl_b32 s2, s7, 7
	v_cmp_gt_i64_e64 s7, s[8:9], s[2:3]
	s_and_b32 vcc_lo, exec_lo, s0
	v_cndmask_b32_e64 v2, 0, 1, s7
	v_cmp_ne_u32_e64 s0, 1, v2
	s_cbranch_vccz .LBB34_48
; %bb.1:
	v_mov_b32_e32 v37, 0
	v_mov_b32_e32 v35, 0
	;; [unrolled: 1-line block ×4, first 2 shown]
	s_and_b32 vcc_lo, exec_lo, s0
	s_cbranch_vccnz .LBB34_49
; %bb.2:
	v_lshlrev_b32_e32 v45, 3, v1
	v_mov_b32_e32 v2, 0
	v_add_nc_u32_e32 v5, s28, v0
	s_load_dword s1, s[4:5], 0x44
	s_add_u32 s20, s4, 64
	v_add_co_u32 v11, s0, v45, s2
	v_add_co_ci_u32_e64 v12, null, 0, 0, s0
	v_mov_b32_e32 v6, v2
	v_mul_lo_u32 v7, s11, v11
	v_mad_u64_u32 v[3:4], null, s10, v11, 0
	v_mul_lo_u32 v8, s10, v12
	v_cmp_gt_i64_e64 s0, s[10:11], v[5:6]
	v_lshlrev_b64 v[39:40], 3, v[5:6]
	s_addc_u32 s21, s5, 0
	v_mov_b32_e32 v35, 0
	v_mov_b32_e32 v37, 0
	;; [unrolled: 1-line block ×4, first 2 shown]
	v_add3_u32 v4, v4, v8, v7
	v_add_co_u32 v7, vcc_lo, v11, 7
	v_add_co_ci_u32_e64 v8, null, 0, v12, vcc_lo
	v_lshlrev_b64 v[5:6], 3, v[3:4]
	v_mul_lo_u32 v13, s11, v7
	s_waitcnt lgkmcnt(0)
	s_lshl_b32 s29, s1, 7
	v_mul_lo_u32 v14, s10, v8
	v_mad_u64_u32 v[7:8], null, s10, v7, 0
	v_add_co_u32 v46, vcc_lo, s12, v5
	v_add_co_ci_u32_e64 v47, null, s13, v6, vcc_lo
	v_add_co_u32 v9, vcc_lo, v11, 6
	v_add_co_ci_u32_e64 v10, null, 0, v12, vcc_lo
	v_add_co_u32 v48, vcc_lo, s14, v5
	v_mul_lo_u32 v15, s11, v9
	v_mul_lo_u32 v16, s10, v10
	v_mad_u64_u32 v[9:10], null, s10, v9, 0
	v_add3_u32 v8, v8, v14, v13
	v_add_co_ci_u32_e64 v49, null, s15, v6, vcc_lo
	v_add_co_u32 v13, vcc_lo, v11, 5
	v_add_co_ci_u32_e64 v14, null, 0, v12, vcc_lo
	v_add3_u32 v10, v10, v16, v15
	v_lshlrev_b64 v[5:6], 3, v[7:8]
	v_mul_lo_u32 v15, s11, v13
	v_mul_lo_u32 v14, s10, v14
	s_mul_i32 s1, s11, s29
	v_lshlrev_b64 v[7:8], 3, v[9:10]
	v_mad_u64_u32 v[9:10], null, s10, v13, 0
	v_add_co_u32 v50, vcc_lo, s12, v5
	v_add_co_ci_u32_e64 v51, null, s13, v6, vcc_lo
	v_add_co_u32 v52, vcc_lo, s14, v5
	v_add_co_ci_u32_e64 v53, null, s15, v6, vcc_lo
	v_add_co_u32 v54, vcc_lo, s12, v7
	v_add3_u32 v10, v10, v14, v15
	s_mul_hi_u32 s22, s10, s29
	v_add_co_ci_u32_e64 v55, null, s13, v8, vcc_lo
	v_add_co_u32 v13, vcc_lo, v11, 4
	s_add_i32 s23, s22, s1
	v_add_co_u32 v56, s1, s14, v7
	v_add_co_ci_u32_e64 v7, null, 0, v12, vcc_lo
	v_lshlrev_b64 v[5:6], 3, v[9:10]
	v_add_co_u32 v9, vcc_lo, v11, 3
	v_add_co_ci_u32_e64 v10, null, 0, v12, vcc_lo
	v_add_co_ci_u32_e64 v57, null, s15, v8, s1
	v_mul_lo_u32 v14, s11, v13
	v_mul_lo_u32 v15, s10, v7
	v_mad_u64_u32 v[7:8], null, s10, v13, 0
	v_mul_lo_u32 v13, s11, v9
	v_mul_lo_u32 v16, s10, v10
	v_mad_u64_u32 v[9:10], null, s10, v9, 0
	v_add_co_u32 v58, vcc_lo, s12, v5
	v_add_co_ci_u32_e64 v59, null, s13, v6, vcc_lo
	v_add3_u32 v8, v8, v15, v14
	v_add_co_u32 v60, vcc_lo, s14, v5
	v_add_co_ci_u32_e64 v61, null, s15, v6, vcc_lo
	v_add_co_u32 v11, vcc_lo, v11, 2
	v_add3_u32 v10, v10, v16, v13
	v_add_co_ci_u32_e64 v12, null, 0, v12, vcc_lo
	v_lshlrev_b64 v[5:6], 3, v[7:8]
	v_mul_lo_u32 v13, s11, v11
	v_lshlrev_b64 v[7:8], 3, v[9:10]
	v_mul_lo_u32 v12, s10, v12
	v_mad_u64_u32 v[9:10], null, s10, v11, 0
	v_add_co_u32 v62, vcc_lo, s12, v5
	v_add_co_ci_u32_e64 v63, null, s13, v6, vcc_lo
	v_add_co_u32 v64, vcc_lo, s14, v5
	v_add_co_ci_u32_e64 v65, null, s15, v6, vcc_lo
	;; [unrolled: 2-line block ×3, first 2 shown]
	v_add3_u32 v10, v10, v12, v13
	v_add_co_u32 v68, vcc_lo, s14, v7
	v_add_co_ci_u32_e64 v69, null, s15, v8, vcc_lo
	v_add_co_u32 v3, vcc_lo, v3, s10
	v_add_co_ci_u32_e64 v4, null, s11, v4, vcc_lo
	v_lshlrev_b64 v[5:6], 3, v[9:10]
	s_mul_i32 s22, s10, s29
	s_mov_b64 s[26:27], s[2:3]
	v_lshlrev_b64 v[3:4], 3, v[3:4]
	s_lshl_b64 s[22:23], s[22:23], 3
	s_add_u32 s24, s2, 0x7f
	v_add_co_u32 v70, vcc_lo, s12, v5
	v_add_co_ci_u32_e64 v71, null, s13, v6, vcc_lo
	v_add_co_u32 v72, vcc_lo, s14, v5
	v_add_co_ci_u32_e64 v73, null, s15, v6, vcc_lo
	;; [unrolled: 2-line block ×4, first 2 shown]
	s_addc_u32 s25, 0, 0
	s_branch .LBB34_5
.LBB34_3:                               ;   in Loop: Header=BB34_5 Depth=1
	s_or_b32 exec_lo, exec_lo, s1
	s_waitcnt vmcnt(1)
	ds_bpermute_b32 v78, v2, v41
	ds_bpermute_b32 v79, v2, v42
	ds_bpermute_b32 v80, v2, v41 offset:4
	ds_bpermute_b32 v81, v2, v42 offset:4
	s_waitcnt vmcnt(0) lgkmcnt(2)
	v_add_f64 v[19:20], v[19:20], -v[78:79]
	ds_bpermute_b32 v78, v2, v41 offset:8
	s_waitcnt lgkmcnt(1)
	v_add_f64 v[21:22], v[21:22], -v[80:81]
	ds_bpermute_b32 v79, v2, v42 offset:8
	ds_bpermute_b32 v80, v2, v43
	ds_bpermute_b32 v81, v2, v44
	v_mul_f64 v[19:20], v[3:4], v[19:20]
	v_add_f64 v[3:4], v[37:38], v[3:4]
	s_waitcnt lgkmcnt(2)
	v_add_f64 v[23:24], v[23:24], -v[78:79]
	v_mul_f64 v[21:22], v[5:6], v[21:22]
	ds_bpermute_b32 v37, v2, v41 offset:12
	ds_bpermute_b32 v38, v2, v42 offset:12
	;; [unrolled: 1-line block ×4, first 2 shown]
	s_waitcnt lgkmcnt(4)
	v_fma_f64 v[19:20], v[19:20], v[80:81], v[35:36]
	ds_bpermute_b32 v35, v2, v43 offset:4
	ds_bpermute_b32 v36, v2, v44 offset:4
	s_waitcnt lgkmcnt(4)
	v_add_f64 v[25:26], v[25:26], -v[37:38]
	v_add_f64 v[3:4], v[5:6], v[3:4]
	v_mul_f64 v[5:6], v[7:8], v[23:24]
	s_waitcnt lgkmcnt(2)
	v_add_f64 v[27:28], v[27:28], -v[78:79]
	ds_bpermute_b32 v23, v2, v41 offset:20
	ds_bpermute_b32 v24, v2, v42 offset:20
	s_waitcnt lgkmcnt(2)
	v_fma_f64 v[19:20], v[21:22], v[35:36], v[19:20]
	ds_bpermute_b32 v21, v2, v43 offset:8
	ds_bpermute_b32 v22, v2, v44 offset:8
	v_mul_f64 v[25:26], v[9:10], v[25:26]
	v_add_f64 v[3:4], v[7:8], v[3:4]
	ds_bpermute_b32 v7, v2, v43 offset:12
	ds_bpermute_b32 v8, v2, v44 offset:12
	s_waitcnt lgkmcnt(2)
	v_fma_f64 v[5:6], v[5:6], v[21:22], v[19:20]
	v_add_f64 v[21:22], v[29:30], -v[23:24]
	v_mul_f64 v[23:24], v[11:12], v[27:28]
	ds_bpermute_b32 v19, v2, v41 offset:24
	v_add_f64 v[3:4], v[9:10], v[3:4]
	ds_bpermute_b32 v20, v2, v42 offset:24
	s_waitcnt lgkmcnt(2)
	v_fma_f64 v[5:6], v[25:26], v[7:8], v[5:6]
	ds_bpermute_b32 v7, v2, v43 offset:16
	ds_bpermute_b32 v8, v2, v44 offset:16
	s_waitcnt lgkmcnt(2)
	v_add_f64 v[9:10], v[31:32], -v[19:20]
	v_mul_f64 v[19:20], v[13:14], v[21:22]
	v_add_f64 v[3:4], v[11:12], v[3:4]
	ds_bpermute_b32 v11, v2, v43 offset:24
	ds_bpermute_b32 v12, v2, v44 offset:24
	s_waitcnt lgkmcnt(2)
	v_fma_f64 v[5:6], v[23:24], v[7:8], v[5:6]
	ds_bpermute_b32 v7, v2, v43 offset:20
	ds_bpermute_b32 v8, v2, v44 offset:20
	v_mul_f64 v[9:10], v[15:16], v[9:10]
	ds_bpermute_b32 v43, v2, v43 offset:28
	v_add_f64 v[3:4], v[13:14], v[3:4]
	ds_bpermute_b32 v44, v2, v44 offset:28
	s_waitcnt lgkmcnt(2)
	v_fma_f64 v[7:8], v[19:20], v[7:8], v[5:6]
	v_add_f64 v[5:6], v[15:16], v[3:4]
	v_fma_f64 v[3:4], v[9:10], v[11:12], v[7:8]
	ds_bpermute_b32 v7, v2, v41 offset:28
	ds_bpermute_b32 v8, v2, v42 offset:28
.LBB34_4:                               ;   in Loop: Header=BB34_5 Depth=1
	s_waitcnt lgkmcnt(0)
	v_add_f64 v[7:8], v[33:34], -v[7:8]
	v_add_f64 v[37:38], v[5:6], v[17:18]
	v_add_co_u32 v46, vcc_lo, v46, s22
	v_add_co_ci_u32_e64 v47, null, s23, v47, vcc_lo
	v_add_co_u32 v48, vcc_lo, v48, s22
	v_add_co_ci_u32_e64 v49, null, s23, v49, vcc_lo
	;; [unrolled: 2-line block ×5, first 2 shown]
	v_mul_f64 v[5:6], v[17:18], v[7:8]
	v_add_co_u32 v56, vcc_lo, v56, s22
	v_add_co_ci_u32_e64 v57, null, s23, v57, vcc_lo
	v_add_co_u32 v58, vcc_lo, v58, s22
	v_add_co_ci_u32_e64 v59, null, s23, v59, vcc_lo
	;; [unrolled: 2-line block ×5, first 2 shown]
	v_add_co_u32 v66, vcc_lo, v66, s22
	v_fma_f64 v[35:36], v[5:6], v[43:44], v[3:4]
	v_add_co_ci_u32_e64 v67, null, s23, v67, vcc_lo
	v_add_co_u32 v68, vcc_lo, v68, s22
	v_add_co_ci_u32_e64 v69, null, s23, v69, vcc_lo
	v_add_co_u32 v70, vcc_lo, v70, s22
	s_add_u32 s26, s26, s29
	v_add_co_ci_u32_e64 v71, null, s23, v71, vcc_lo
	v_add_co_u32 v72, vcc_lo, v72, s22
	s_addc_u32 s27, s27, 0
	v_add_co_ci_u32_e64 v73, null, s23, v73, vcc_lo
	v_add_co_u32 v74, vcc_lo, v74, s22
	v_cmp_lt_i64_e64 s1, s[26:27], s[8:9]
	v_add_co_ci_u32_e64 v75, null, s23, v75, vcc_lo
	v_add_co_u32 v76, vcc_lo, v76, s22
	v_add_co_ci_u32_e64 v77, null, s23, v77, vcc_lo
	s_add_u32 s24, s24, s29
	s_addc_u32 s25, s25, 0
	s_and_b32 vcc_lo, exec_lo, s1
	s_cbranch_vccz .LBB34_49
.LBB34_5:                               ; =>This Inner Loop Header: Depth=1
	v_cmp_ge_i64_e64 s1, s[24:25], s[8:9]
	v_add_co_u32 v78, s30, v45, s24
	v_add_co_ci_u32_e64 v79, null, 0, s25, s30
                                        ; implicit-def: $vgpr3_vgpr4_vgpr5_vgpr6_vgpr7_vgpr8_vgpr9_vgpr10_vgpr11_vgpr12_vgpr13_vgpr14_vgpr15_vgpr16_vgpr17_vgpr18
                                        ; implicit-def: $vgpr43_vgpr44
                                        ; implicit-def: $vgpr19_vgpr20_vgpr21_vgpr22_vgpr23_vgpr24_vgpr25_vgpr26_vgpr27_vgpr28_vgpr29_vgpr30_vgpr31_vgpr32_vgpr33_vgpr34
                                        ; implicit-def: $vgpr7
	s_and_b32 vcc_lo, exec_lo, s1
	s_mov_b32 s1, -1
                                        ; implicit-def: $vgpr5_vgpr6
                                        ; implicit-def: $vgpr3_vgpr4
	s_cbranch_vccz .LBB34_27
; %bb.6:                                ;   in Loop: Header=BB34_5 Depth=1
	s_load_dword s1, s[20:21], 0xc
	v_mov_b32_e32 v43, 0
	v_mov_b32_e32 v41, 0
	;; [unrolled: 1-line block ×4, first 2 shown]
	s_waitcnt lgkmcnt(0)
	s_and_b32 s1, s1, 0xffff
	v_mad_u32_u24 v3, v1, s1, v0
	s_mov_b32 s1, exec_lo
	v_and_b32_e32 v3, 31, v3
	v_cmpx_gt_u32_e32 8, v3
	s_cbranch_execz .LBB34_10
; %bb.7:                                ;   in Loop: Header=BB34_5 Depth=1
	v_add_co_u32 v3, vcc_lo, v78, v3
	v_add_co_ci_u32_e64 v4, null, 0, v79, vcc_lo
	v_mov_b32_e32 v41, 0
	v_add_co_u32 v3, vcc_lo, 0xffffff81, v3
	v_mov_b32_e32 v43, 0
	v_add_co_ci_u32_e64 v4, null, -1, v4, vcc_lo
	v_mov_b32_e32 v42, 0
	v_mov_b32_e32 v44, 0
	s_mov_b32 s30, exec_lo
	v_cmpx_gt_i64_e64 s[8:9], v[3:4]
	s_cbranch_execz .LBB34_9
; %bb.8:                                ;   in Loop: Header=BB34_5 Depth=1
	v_lshlrev_b64 v[3:4], 3, v[3:4]
	v_add_co_u32 v5, vcc_lo, s16, v3
	v_add_co_ci_u32_e64 v6, null, s17, v4, vcc_lo
	v_add_co_u32 v3, vcc_lo, s18, v3
	v_add_co_ci_u32_e64 v4, null, s19, v4, vcc_lo
	global_load_dwordx2 v[41:42], v[5:6], off
	global_load_dwordx2 v[43:44], v[3:4], off
.LBB34_9:                               ;   in Loop: Header=BB34_5 Depth=1
	s_or_b32 exec_lo, exec_lo, s30
.LBB34_10:                              ;   in Loop: Header=BB34_5 Depth=1
	s_or_b32 exec_lo, exec_lo, s1
	v_add_co_u32 v18, vcc_lo, 0xffffff81, v78
	v_add_co_ci_u32_e64 v19, null, -1, v79, vcc_lo
	v_mov_b32_e32 v17, v2
	v_mov_b32_e32 v3, v2
	;; [unrolled: 1-line block ×15, first 2 shown]
	v_cmp_gt_i64_e32 vcc_lo, s[8:9], v[18:19]
	v_mov_b32_e32 v34, v17
	v_mov_b32_e32 v31, v14
	;; [unrolled: 1-line block ×32, first 2 shown]
	s_and_b32 s30, s0, vcc_lo
	s_and_saveexec_b32 s1, s30
	s_cbranch_execz .LBB34_12
; %bb.11:                               ;   in Loop: Header=BB34_5 Depth=1
	v_add_co_u32 v3, vcc_lo, v46, v39
	v_add_co_ci_u32_e64 v4, null, v47, v40, vcc_lo
	v_add_co_u32 v5, vcc_lo, v48, v39
	v_add_co_ci_u32_e64 v6, null, v49, v40, vcc_lo
	global_load_dwordx2 v[3:4], v[3:4], off
	global_load_dwordx2 v[19:20], v[5:6], off
	v_mov_b32_e32 v5, v2
	v_mov_b32_e32 v6, v2
	;; [unrolled: 1-line block ×28, first 2 shown]
.LBB34_12:                              ;   in Loop: Header=BB34_5 Depth=1
	s_or_b32 exec_lo, exec_lo, s1
	v_add_co_u32 v80, vcc_lo, 0xffffff82, v78
	v_add_co_ci_u32_e64 v81, null, -1, v79, vcc_lo
	v_cmp_gt_i64_e32 vcc_lo, s[8:9], v[80:81]
	s_and_b32 s30, s0, vcc_lo
	s_and_saveexec_b32 s1, s30
	s_cbranch_execz .LBB34_14
; %bb.13:                               ;   in Loop: Header=BB34_5 Depth=1
	v_add_co_u32 v5, vcc_lo, v74, v39
	v_add_co_ci_u32_e64 v6, null, v75, v40, vcc_lo
	v_add_co_u32 v21, vcc_lo, v76, v39
	v_add_co_ci_u32_e64 v22, null, v77, v40, vcc_lo
	global_load_dwordx2 v[5:6], v[5:6], off
	global_load_dwordx2 v[21:22], v[21:22], off
.LBB34_14:                              ;   in Loop: Header=BB34_5 Depth=1
	s_or_b32 exec_lo, exec_lo, s1
	v_add_co_u32 v80, vcc_lo, 0xffffff83, v78
	v_add_co_ci_u32_e64 v81, null, -1, v79, vcc_lo
	v_cmp_gt_i64_e32 vcc_lo, s[8:9], v[80:81]
	s_and_b32 s30, s0, vcc_lo
	s_and_saveexec_b32 s1, s30
	s_cbranch_execz .LBB34_16
; %bb.15:                               ;   in Loop: Header=BB34_5 Depth=1
	v_add_co_u32 v7, vcc_lo, v70, v39
	v_add_co_ci_u32_e64 v8, null, v71, v40, vcc_lo
	v_add_co_u32 v23, vcc_lo, v72, v39
	v_add_co_ci_u32_e64 v24, null, v73, v40, vcc_lo
	global_load_dwordx2 v[7:8], v[7:8], off
	global_load_dwordx2 v[23:24], v[23:24], off
.LBB34_16:                              ;   in Loop: Header=BB34_5 Depth=1
	;; [unrolled: 15-line block ×7, first 2 shown]
	s_or_b32 exec_lo, exec_lo, s1
	s_waitcnt vmcnt(1)
	ds_bpermute_b32 v80, v2, v41
	ds_bpermute_b32 v81, v2, v42
	ds_bpermute_b32 v82, v2, v41 offset:4
	ds_bpermute_b32 v83, v2, v42 offset:4
	;; [unrolled: 1-line block ×4, first 2 shown]
	s_mov_b32 s1, 0
	s_waitcnt vmcnt(0) lgkmcnt(4)
	v_add_f64 v[19:20], v[19:20], -v[80:81]
	ds_bpermute_b32 v80, v2, v41 offset:8
	s_waitcnt lgkmcnt(3)
	v_add_f64 v[21:22], v[21:22], -v[82:83]
	ds_bpermute_b32 v81, v2, v42 offset:8
	ds_bpermute_b32 v82, v2, v43
	ds_bpermute_b32 v83, v2, v44
	s_waitcnt lgkmcnt(4)
	v_add_f64 v[25:26], v[25:26], -v[84:85]
	v_mul_f64 v[19:20], v[3:4], v[19:20]
	v_add_f64 v[3:4], v[37:38], v[3:4]
	s_waitcnt lgkmcnt(2)
	v_add_f64 v[23:24], v[23:24], -v[80:81]
	v_mul_f64 v[21:22], v[5:6], v[21:22]
	ds_bpermute_b32 v80, v2, v43 offset:4
	ds_bpermute_b32 v81, v2, v44 offset:4
	v_mul_f64 v[25:26], v[9:10], v[25:26]
	s_waitcnt lgkmcnt(2)
	v_fma_f64 v[19:20], v[19:20], v[82:83], v[35:36]
	v_add_f64 v[3:4], v[5:6], v[3:4]
	v_mul_f64 v[5:6], v[7:8], v[23:24]
	ds_bpermute_b32 v82, v2, v41 offset:16
	ds_bpermute_b32 v83, v2, v42 offset:16
	;; [unrolled: 1-line block ×4, first 2 shown]
	s_waitcnt lgkmcnt(4)
	v_fma_f64 v[19:20], v[21:22], v[80:81], v[19:20]
	ds_bpermute_b32 v21, v2, v43 offset:8
	ds_bpermute_b32 v22, v2, v44 offset:8
	s_waitcnt lgkmcnt(4)
	v_add_f64 v[27:28], v[27:28], -v[82:83]
	v_add_f64 v[3:4], v[7:8], v[3:4]
	ds_bpermute_b32 v7, v2, v43 offset:12
	ds_bpermute_b32 v8, v2, v44 offset:12
	s_waitcnt lgkmcnt(2)
	v_fma_f64 v[5:6], v[5:6], v[21:22], v[19:20]
	v_add_f64 v[21:22], v[29:30], -v[23:24]
	ds_bpermute_b32 v19, v2, v41 offset:24
	v_mul_f64 v[23:24], v[11:12], v[27:28]
	v_add_f64 v[3:4], v[9:10], v[3:4]
	ds_bpermute_b32 v20, v2, v42 offset:24
	s_waitcnt lgkmcnt(2)
	v_fma_f64 v[5:6], v[25:26], v[7:8], v[5:6]
	ds_bpermute_b32 v7, v2, v43 offset:16
	ds_bpermute_b32 v8, v2, v44 offset:16
	s_waitcnt lgkmcnt(2)
	v_add_f64 v[9:10], v[31:32], -v[19:20]
	v_mul_f64 v[19:20], v[13:14], v[21:22]
	v_add_f64 v[3:4], v[11:12], v[3:4]
	ds_bpermute_b32 v11, v2, v43 offset:24
	ds_bpermute_b32 v12, v2, v44 offset:24
	s_waitcnt lgkmcnt(2)
	v_fma_f64 v[5:6], v[23:24], v[7:8], v[5:6]
	ds_bpermute_b32 v7, v2, v43 offset:20
	ds_bpermute_b32 v8, v2, v44 offset:20
	v_mul_f64 v[9:10], v[15:16], v[9:10]
	ds_bpermute_b32 v43, v2, v43 offset:28
	v_add_f64 v[3:4], v[13:14], v[3:4]
	ds_bpermute_b32 v44, v2, v44 offset:28
	s_waitcnt lgkmcnt(2)
	v_fma_f64 v[7:8], v[19:20], v[7:8], v[5:6]
	v_add_f64 v[5:6], v[15:16], v[3:4]
	v_fma_f64 v[3:4], v[9:10], v[11:12], v[7:8]
	ds_bpermute_b32 v7, v2, v41 offset:28
	ds_bpermute_b32 v8, v2, v42 offset:28
.LBB34_27:                              ;   in Loop: Header=BB34_5 Depth=1
	s_and_b32 vcc_lo, exec_lo, s1
	s_cbranch_vccz .LBB34_4
; %bb.28:                               ;   in Loop: Header=BB34_5 Depth=1
	s_load_dword s1, s[20:21], 0x0
	s_waitcnt lgkmcnt(0)
	v_mov_b32_e32 v43, 0
	v_mov_b32_e32 v41, 0
	;; [unrolled: 1-line block ×4, first 2 shown]
	s_cmp_lt_u32 s6, s1
	s_cselect_b32 s1, 12, 18
	s_add_u32 s30, s20, s1
	s_addc_u32 s31, s21, 0
	s_mov_b32 s1, exec_lo
	global_load_ushort v3, v2, s[30:31]
	s_waitcnt vmcnt(0)
	v_mad_u32_u24 v3, v1, v3, v0
	v_and_b32_e32 v3, 31, v3
	v_cmpx_gt_u32_e32 8, v3
	s_cbranch_execz .LBB34_32
; %bb.29:                               ;   in Loop: Header=BB34_5 Depth=1
	v_add_co_u32 v3, vcc_lo, v78, v3
	v_add_co_ci_u32_e64 v4, null, 0, v79, vcc_lo
	v_mov_b32_e32 v41, 0
	v_add_co_u32 v3, vcc_lo, 0xffffff81, v3
	v_mov_b32_e32 v43, 0
	v_add_co_ci_u32_e64 v4, null, -1, v4, vcc_lo
	v_mov_b32_e32 v42, 0
	v_mov_b32_e32 v44, 0
	s_mov_b32 s30, exec_lo
	v_cmpx_gt_i64_e64 s[8:9], v[3:4]
	s_cbranch_execz .LBB34_31
; %bb.30:                               ;   in Loop: Header=BB34_5 Depth=1
	v_lshlrev_b64 v[3:4], 3, v[3:4]
	v_add_co_u32 v5, vcc_lo, s16, v3
	v_add_co_ci_u32_e64 v6, null, s17, v4, vcc_lo
	v_add_co_u32 v3, vcc_lo, s18, v3
	v_add_co_ci_u32_e64 v4, null, s19, v4, vcc_lo
	global_load_dwordx2 v[41:42], v[5:6], off
	global_load_dwordx2 v[43:44], v[3:4], off
.LBB34_31:                              ;   in Loop: Header=BB34_5 Depth=1
	s_or_b32 exec_lo, exec_lo, s30
.LBB34_32:                              ;   in Loop: Header=BB34_5 Depth=1
	s_or_b32 exec_lo, exec_lo, s1
	v_mov_b32_e32 v17, v2
	v_mov_b32_e32 v3, v2
	;; [unrolled: 1-line block ×47, first 2 shown]
	s_and_saveexec_b32 s1, s0
	s_cbranch_execnz .LBB34_40
; %bb.33:                               ;   in Loop: Header=BB34_5 Depth=1
	s_or_b32 exec_lo, exec_lo, s1
	s_and_saveexec_b32 s1, s0
	s_cbranch_execnz .LBB34_41
.LBB34_34:                              ;   in Loop: Header=BB34_5 Depth=1
	s_or_b32 exec_lo, exec_lo, s1
	s_and_saveexec_b32 s1, s0
	s_cbranch_execnz .LBB34_42
.LBB34_35:                              ;   in Loop: Header=BB34_5 Depth=1
	s_or_b32 exec_lo, exec_lo, s1
	s_and_saveexec_b32 s1, s0
	s_cbranch_execnz .LBB34_43
.LBB34_36:                              ;   in Loop: Header=BB34_5 Depth=1
	s_or_b32 exec_lo, exec_lo, s1
	s_and_saveexec_b32 s1, s0
	s_cbranch_execnz .LBB34_44
.LBB34_37:                              ;   in Loop: Header=BB34_5 Depth=1
	s_or_b32 exec_lo, exec_lo, s1
	s_and_saveexec_b32 s1, s0
	s_cbranch_execnz .LBB34_45
.LBB34_38:                              ;   in Loop: Header=BB34_5 Depth=1
	s_or_b32 exec_lo, exec_lo, s1
	s_and_saveexec_b32 s1, s0
	s_cbranch_execnz .LBB34_46
.LBB34_39:                              ;   in Loop: Header=BB34_5 Depth=1
	s_or_b32 exec_lo, exec_lo, s1
	s_and_saveexec_b32 s1, s0
	s_cbranch_execz .LBB34_3
	s_branch .LBB34_47
.LBB34_40:                              ;   in Loop: Header=BB34_5 Depth=1
	v_add_co_u32 v3, vcc_lo, v46, v39
	v_add_co_ci_u32_e64 v4, null, v47, v40, vcc_lo
	v_add_co_u32 v5, vcc_lo, v48, v39
	v_add_co_ci_u32_e64 v6, null, v49, v40, vcc_lo
	global_load_dwordx2 v[3:4], v[3:4], off
	global_load_dwordx2 v[19:20], v[5:6], off
	v_mov_b32_e32 v5, v2
	v_mov_b32_e32 v6, v2
	;; [unrolled: 1-line block ×28, first 2 shown]
	s_or_b32 exec_lo, exec_lo, s1
	s_and_saveexec_b32 s1, s0
	s_cbranch_execz .LBB34_34
.LBB34_41:                              ;   in Loop: Header=BB34_5 Depth=1
	v_add_co_u32 v5, vcc_lo, v74, v39
	v_add_co_ci_u32_e64 v6, null, v75, v40, vcc_lo
	v_add_co_u32 v21, vcc_lo, v76, v39
	v_add_co_ci_u32_e64 v22, null, v77, v40, vcc_lo
	global_load_dwordx2 v[5:6], v[5:6], off
	global_load_dwordx2 v[21:22], v[21:22], off
	s_or_b32 exec_lo, exec_lo, s1
	s_and_saveexec_b32 s1, s0
	s_cbranch_execz .LBB34_35
.LBB34_42:                              ;   in Loop: Header=BB34_5 Depth=1
	v_add_co_u32 v7, vcc_lo, v70, v39
	v_add_co_ci_u32_e64 v8, null, v71, v40, vcc_lo
	v_add_co_u32 v23, vcc_lo, v72, v39
	v_add_co_ci_u32_e64 v24, null, v73, v40, vcc_lo
	global_load_dwordx2 v[7:8], v[7:8], off
	global_load_dwordx2 v[23:24], v[23:24], off
	s_or_b32 exec_lo, exec_lo, s1
	s_and_saveexec_b32 s1, s0
	s_cbranch_execz .LBB34_36
.LBB34_43:                              ;   in Loop: Header=BB34_5 Depth=1
	v_add_co_u32 v9, vcc_lo, v66, v39
	v_add_co_ci_u32_e64 v10, null, v67, v40, vcc_lo
	v_add_co_u32 v25, vcc_lo, v68, v39
	v_add_co_ci_u32_e64 v26, null, v69, v40, vcc_lo
	global_load_dwordx2 v[9:10], v[9:10], off
	global_load_dwordx2 v[25:26], v[25:26], off
	s_or_b32 exec_lo, exec_lo, s1
	s_and_saveexec_b32 s1, s0
	s_cbranch_execz .LBB34_37
.LBB34_44:                              ;   in Loop: Header=BB34_5 Depth=1
	v_add_co_u32 v11, vcc_lo, v62, v39
	v_add_co_ci_u32_e64 v12, null, v63, v40, vcc_lo
	v_add_co_u32 v27, vcc_lo, v64, v39
	v_add_co_ci_u32_e64 v28, null, v65, v40, vcc_lo
	global_load_dwordx2 v[11:12], v[11:12], off
	global_load_dwordx2 v[27:28], v[27:28], off
	s_or_b32 exec_lo, exec_lo, s1
	s_and_saveexec_b32 s1, s0
	s_cbranch_execz .LBB34_38
.LBB34_45:                              ;   in Loop: Header=BB34_5 Depth=1
	v_add_co_u32 v13, vcc_lo, v58, v39
	v_add_co_ci_u32_e64 v14, null, v59, v40, vcc_lo
	v_add_co_u32 v29, vcc_lo, v60, v39
	v_add_co_ci_u32_e64 v30, null, v61, v40, vcc_lo
	global_load_dwordx2 v[13:14], v[13:14], off
	global_load_dwordx2 v[29:30], v[29:30], off
	s_or_b32 exec_lo, exec_lo, s1
	s_and_saveexec_b32 s1, s0
	s_cbranch_execz .LBB34_39
.LBB34_46:                              ;   in Loop: Header=BB34_5 Depth=1
	v_add_co_u32 v15, vcc_lo, v54, v39
	v_add_co_ci_u32_e64 v16, null, v55, v40, vcc_lo
	v_add_co_u32 v31, vcc_lo, v56, v39
	v_add_co_ci_u32_e64 v32, null, v57, v40, vcc_lo
	global_load_dwordx2 v[15:16], v[15:16], off
	global_load_dwordx2 v[31:32], v[31:32], off
	s_or_b32 exec_lo, exec_lo, s1
	s_and_saveexec_b32 s1, s0
	s_cbranch_execz .LBB34_3
.LBB34_47:                              ;   in Loop: Header=BB34_5 Depth=1
	v_add_co_u32 v17, vcc_lo, v50, v39
	v_add_co_ci_u32_e64 v18, null, v51, v40, vcc_lo
	v_add_co_u32 v33, vcc_lo, v52, v39
	v_add_co_ci_u32_e64 v34, null, v53, v40, vcc_lo
	global_load_dwordx2 v[17:18], v[17:18], off
	global_load_dwordx2 v[33:34], v[33:34], off
	s_branch .LBB34_3
.LBB34_48:
                                        ; implicit-def: $vgpr37_vgpr38
                                        ; implicit-def: $vgpr35_vgpr36
	s_branch .LBB34_50
.LBB34_49:
	s_cbranch_execnz .LBB34_81
.LBB34_50:
	v_mov_b32_e32 v37, 0
	v_mov_b32_e32 v35, 0
	;; [unrolled: 1-line block ×4, first 2 shown]
	s_andn2_b32 vcc_lo, exec_lo, s7
	s_cbranch_vccnz .LBB34_81
; %bb.51:
	s_load_dword s7, s[4:5], 0x44
	v_lshlrev_b32_e32 v73, 3, v1
	v_lshlrev_b32_e32 v8, 6, v1
	v_mov_b32_e32 v35, 0
	v_mov_b32_e32 v37, 0
	;; [unrolled: 1-line block ×3, first 2 shown]
	v_add_co_u32 v4, s0, v73, s2
	v_add_co_ci_u32_e64 v5, null, 0, 0, s0
	s_add_u32 s0, s4, 64
	v_mul_lo_u32 v6, s11, v4
	v_mad_u64_u32 v[2:3], null, s10, v4, 0
	v_mul_lo_u32 v7, s10, v5
	s_addc_u32 s1, s5, 0
	v_mov_b32_e32 v38, 0
	s_waitcnt lgkmcnt(0)
	s_lshl_b32 s7, s7, 7
	v_add3_u32 v3, v3, v7, v6
	s_mul_i32 s21, s11, s7
	s_mul_hi_u32 s22, s10, s7
	s_mul_i32 s20, s10, s7
	s_add_i32 s21, s22, s21
	v_lshlrev_b64 v[6:7], 3, v[2:3]
	s_lshl_b64 s[20:21], s[20:21], 3
	s_add_u32 s22, s2, 0x7f
	s_addc_u32 s23, 0, 0
	s_lshl_b64 s[24:25], s[2:3], 3
	v_add_co_u32 v8, s24, v8, s24
	v_add_co_ci_u32_e64 v9, null, 0, s25, s24
	v_add_co_u32 v10, vcc_lo, v8, 8
	v_add_co_ci_u32_e64 v11, null, 0, v9, vcc_lo
	v_add_co_u32 v74, vcc_lo, s12, v6
	v_add_co_ci_u32_e64 v75, null, s13, v7, vcc_lo
	;; [unrolled: 2-line block ×6, first 2 shown]
	v_add_co_u32 v19, vcc_lo, v8, 40
	v_mad_u64_u32 v[41:42], null, s10, v6, s[12:13]
	v_mul_lo_u32 v7, s10, v7
	v_mul_lo_u32 v15, s11, v6
	v_mad_u64_u32 v[55:56], null, s10, v6, s[14:15]
	v_add_co_ci_u32_e64 v20, null, 0, v9, vcc_lo
	v_add_co_u32 v22, vcc_lo, v8, 48
	v_add_co_ci_u32_e64 v24, null, 0, v9, vcc_lo
	v_add_co_u32 v8, vcc_lo, v8, 56
	v_mad_u64_u32 v[39:40], null, s10, v10, s[12:13]
	v_mul_lo_u32 v11, s10, v11
	v_mul_lo_u32 v12, s11, v10
	v_mad_u64_u32 v[53:54], null, s10, v10, s[14:15]
	v_add_co_ci_u32_e64 v9, null, 0, v9, vcc_lo
	v_add_co_u32 v6, vcc_lo, v4, 7
	v_add3_u32 v42, v15, v42, v7
	v_add3_u32 v56, v15, v56, v7
	v_add_co_ci_u32_e64 v7, null, 0, v5, vcc_lo
	v_mul_lo_u32 v26, s10, v9
	v_add_co_u32 v9, vcc_lo, v4, 6
	v_add3_u32 v40, v12, v40, v11
	v_add3_u32 v54, v12, v54, v11
	v_add_co_ci_u32_e64 v12, null, 0, v5, vcc_lo
	v_mul_lo_u32 v10, s11, v6
	v_mul_lo_u32 v11, s10, v7
	v_mad_u64_u32 v[6:7], null, s10, v6, 0
	v_mad_u64_u32 v[43:44], null, s10, v13, s[12:13]
	v_mul_lo_u32 v17, s11, v13
	v_mad_u64_u32 v[51:52], null, s10, v8, s[12:13]
	v_mul_lo_u32 v27, s11, v8
	v_mad_u64_u32 v[57:58], null, s10, v13, s[14:15]
	v_mad_u64_u32 v[65:66], null, s10, v8, s[14:15]
	v_mul_lo_u32 v13, s11, v9
	v_mul_lo_u32 v12, s10, v12
	v_mad_u64_u32 v[8:9], null, s10, v9, 0
	v_add3_u32 v7, v7, v11, v10
	v_add_co_u32 v10, vcc_lo, v4, 5
	v_add_co_ci_u32_e64 v11, null, 0, v5, vcc_lo
	v_lshlrev_b64 v[6:7], 3, v[6:7]
	v_add3_u32 v9, v9, v12, v13
	v_mul_lo_u32 v12, s11, v10
	v_mul_lo_u32 v13, s10, v11
	v_mad_u64_u32 v[10:11], null, s10, v10, 0
	v_lshlrev_b64 v[8:9], 3, v[8:9]
	v_add_co_u32 v78, vcc_lo, s12, v6
	v_add_co_ci_u32_e64 v79, null, s13, v7, vcc_lo
	v_add_co_u32 v80, vcc_lo, s14, v6
	v_add_co_ci_u32_e64 v81, null, s15, v7, vcc_lo
	;; [unrolled: 2-line block ×3, first 2 shown]
	v_add3_u32 v11, v11, v13, v12
	v_add_co_u32 v12, vcc_lo, v4, 4
	v_add_co_ci_u32_e64 v13, null, 0, v5, vcc_lo
	v_add_co_u32 v84, vcc_lo, s14, v8
	v_mul_lo_u32 v14, s10, v14
	v_add_co_ci_u32_e64 v85, null, s15, v9, vcc_lo
	v_lshlrev_b64 v[6:7], 3, v[10:11]
	v_mul_lo_u32 v10, s11, v12
	v_mul_lo_u32 v11, s10, v13
	v_mad_u64_u32 v[8:9], null, s10, v12, 0
	v_add_co_u32 v12, vcc_lo, v4, 3
	v_add_co_ci_u32_e64 v13, null, 0, v5, vcc_lo
	v_add_co_u32 v86, vcc_lo, s12, v6
	v_add3_u32 v44, v17, v44, v14
	v_add3_u32 v58, v17, v58, v14
	v_add_co_ci_u32_e64 v87, null, s13, v7, vcc_lo
	v_add3_u32 v9, v9, v11, v10
	v_mul_lo_u32 v14, s11, v12
	v_mad_u64_u32 v[10:11], null, s10, v12, 0
	v_add_co_u32 v12, vcc_lo, v4, 2
	v_mul_lo_u32 v13, s10, v13
	v_add_co_ci_u32_e64 v15, null, 0, v5, vcc_lo
	v_add_co_u32 v88, vcc_lo, s14, v6
	v_lshlrev_b64 v[4:5], 3, v[8:9]
	v_add_co_ci_u32_e64 v89, null, s15, v7, vcc_lo
	v_mul_lo_u32 v8, s11, v12
	v_mul_lo_u32 v9, s10, v15
	v_mad_u64_u32 v[6:7], null, s10, v12, 0
	v_add3_u32 v11, v11, v13, v14
	v_add_co_u32 v90, vcc_lo, s12, v4
	v_add_co_ci_u32_e64 v91, null, s13, v5, vcc_lo
	v_add_co_u32 v92, vcc_lo, s14, v4
	v_add_co_ci_u32_e64 v93, null, s15, v5, vcc_lo
	v_lshlrev_b64 v[4:5], 3, v[10:11]
	v_add3_u32 v7, v7, v9, v8
	v_add_co_u32 v2, vcc_lo, v2, s10
	v_add_co_ci_u32_e64 v3, null, s11, v3, vcc_lo
	v_lshlrev_b64 v[6:7], 3, v[6:7]
	v_add_co_u32 v94, vcc_lo, s12, v4
	v_add_co_ci_u32_e64 v95, null, s13, v5, vcc_lo
	v_add_co_u32 v96, vcc_lo, s14, v4
	v_lshlrev_b64 v[3:4], 3, v[2:3]
	v_mov_b32_e32 v2, 0
	v_mad_u64_u32 v[45:46], null, s10, v16, s[12:13]
	v_mul_lo_u32 v18, s10, v18
	v_mul_lo_u32 v21, s11, v16
	v_mad_u64_u32 v[47:48], null, s10, v19, s[12:13]
	v_mul_lo_u32 v20, s10, v20
	v_mul_lo_u32 v23, s11, v19
	;; [unrolled: 3-line block ×3, first 2 shown]
	v_mad_u64_u32 v[59:60], null, s10, v16, s[14:15]
	v_mad_u64_u32 v[61:62], null, s10, v19, s[14:15]
	;; [unrolled: 1-line block ×3, first 2 shown]
	v_add_co_ci_u32_e64 v97, null, s15, v5, vcc_lo
	v_add_co_u32 v98, vcc_lo, s12, v6
	v_add_co_ci_u32_e64 v99, null, s13, v7, vcc_lo
	v_add_co_u32 v100, vcc_lo, s14, v6
	v_add_nc_u32_e32 v5, s28, v0
	v_mov_b32_e32 v6, v2
	v_add_co_ci_u32_e64 v101, null, s15, v7, vcc_lo
	v_add_co_u32 v102, vcc_lo, s12, v3
	v_add_co_ci_u32_e64 v103, null, s13, v4, vcc_lo
	v_add_co_u32 v104, vcc_lo, s14, v3
	v_lshlrev_b64 v[67:68], 3, v[5:6]
	v_add3_u32 v46, v21, v46, v18
	v_add3_u32 v48, v23, v48, v20
	;; [unrolled: 1-line block ×8, first 2 shown]
	v_add_co_ci_u32_e64 v105, null, s15, v4, vcc_lo
	s_branch .LBB34_55
.LBB34_52:                              ;   in Loop: Header=BB34_55 Depth=1
	s_or_b32 exec_lo, exec_lo, s13
.LBB34_53:                              ;   in Loop: Header=BB34_55 Depth=1
	s_or_b32 exec_lo, exec_lo, s12
	v_add_co_u32 v7, vcc_lo, v76, v67
	v_add_co_ci_u32_e64 v8, null, v77, v68, vcc_lo
	v_add_co_u32 v9, vcc_lo, v53, v67
	v_add_co_ci_u32_e64 v10, null, v54, v68, vcc_lo
	global_load_dwordx2 v[7:8], v[7:8], off
	v_add_co_u32 v11, vcc_lo, v74, v67
	v_add_co_ci_u32_e64 v12, null, v75, v68, vcc_lo
	global_load_dwordx2 v[13:14], v[9:10], off
	global_load_dwordx2 v[9:10], v[11:12], off
	v_add_co_u32 v11, vcc_lo, v55, v67
	v_add_co_ci_u32_e64 v12, null, v56, v68, vcc_lo
	v_add_co_u32 v15, vcc_lo, v39, v67
	v_add_co_ci_u32_e64 v16, null, v40, v68, vcc_lo
	global_load_dwordx2 v[11:12], v[11:12], off
	global_load_dwordx2 v[15:16], v[15:16], off
	v_add_co_u32 v17, vcc_lo, v57, v67
	v_add_co_ci_u32_e64 v18, null, v58, v68, vcc_lo
	;; [unrolled: 6-line block ×5, first 2 shown]
	v_add_co_u32 v31, vcc_lo, v47, v67
	v_add_co_ci_u32_e64 v32, null, v48, v68, vcc_lo
	v_add_co_u32 v33, vcc_lo, v65, v67
	v_add_co_ci_u32_e64 v34, null, v66, v68, vcc_lo
	global_load_dwordx2 v[69:70], v[17:18], off
	global_load_dwordx2 v[31:32], v[31:32], off
	;; [unrolled: 1-line block ×3, first 2 shown]
	v_add_co_u32 v17, vcc_lo, v49, v67
	v_add_co_ci_u32_e64 v18, null, v50, v68, vcc_lo
	v_add_co_u32 v71, vcc_lo, v51, v67
	v_add_co_ci_u32_e64 v72, null, v52, v68, vcc_lo
	global_load_dwordx2 v[106:107], v[17:18], off
	global_load_dwordx2 v[17:18], v[71:72], off
	s_waitcnt vmcnt(17)
	ds_bpermute_b32 v71, v2, v5
	ds_bpermute_b32 v72, v2, v6
	ds_bpermute_b32 v108, v2, v5 offset:4
	ds_bpermute_b32 v109, v2, v6 offset:4
	;; [unrolled: 1-line block ×4, first 2 shown]
	s_waitcnt vmcnt(15) lgkmcnt(4)
	v_add_f64 v[7:8], v[7:8], -v[71:72]
	ds_bpermute_b32 v71, v2, v5 offset:8
	ds_bpermute_b32 v72, v2, v6 offset:8
	s_waitcnt vmcnt(14) lgkmcnt(4)
	v_add_f64 v[13:14], v[13:14], -v[108:109]
	ds_bpermute_b32 v108, v2, v3
	ds_bpermute_b32 v109, v2, v4
	s_waitcnt vmcnt(12) lgkmcnt(2)
	v_add_f64 v[11:12], v[11:12], -v[71:72]
	v_mul_f64 v[7:8], v[9:10], v[7:8]
	v_add_f64 v[9:10], v[37:38], v[9:10]
	ds_bpermute_b32 v37, v2, v5 offset:16
	ds_bpermute_b32 v38, v2, v6 offset:16
	s_waitcnt vmcnt(11)
	v_mul_f64 v[13:14], v[15:16], v[13:14]
	s_waitcnt vmcnt(10)
	v_add_f64 v[21:22], v[21:22], -v[110:111]
	s_waitcnt vmcnt(9)
	v_mul_f64 v[11:12], v[19:20], v[11:12]
	s_waitcnt lgkmcnt(2)
	v_fma_f64 v[7:8], v[7:8], v[108:109], v[35:36]
	ds_bpermute_b32 v35, v2, v3 offset:4
	ds_bpermute_b32 v36, v2, v4 offset:4
	v_add_f64 v[9:10], v[9:10], v[15:16]
	s_waitcnt vmcnt(8) lgkmcnt(2)
	v_add_f64 v[25:26], v[25:26], -v[37:38]
	ds_bpermute_b32 v15, v2, v5 offset:20
	s_waitcnt vmcnt(7)
	v_mul_f64 v[21:22], v[23:24], v[21:22]
	ds_bpermute_b32 v16, v2, v6 offset:20
	s_waitcnt lgkmcnt(2)
	v_fma_f64 v[7:8], v[13:14], v[35:36], v[7:8]
	ds_bpermute_b32 v13, v2, v3 offset:8
	ds_bpermute_b32 v14, v2, v4 offset:8
	v_add_f64 v[9:10], v[9:10], v[19:20]
	s_waitcnt vmcnt(5)
	v_mul_f64 v[25:26], v[27:28], v[25:26]
	s_waitcnt lgkmcnt(2)
	v_add_f64 v[15:16], v[29:30], -v[15:16]
	ds_bpermute_b32 v19, v2, v3 offset:16
	ds_bpermute_b32 v20, v2, v4 offset:16
	s_waitcnt lgkmcnt(2)
	v_fma_f64 v[7:8], v[11:12], v[13:14], v[7:8]
	ds_bpermute_b32 v11, v2, v3 offset:12
	ds_bpermute_b32 v12, v2, v4 offset:12
	v_add_f64 v[9:10], v[9:10], v[23:24]
	ds_bpermute_b32 v13, v2, v5 offset:24
	ds_bpermute_b32 v14, v2, v6 offset:24
	;; [unrolled: 1-line block ×4, first 2 shown]
	s_waitcnt vmcnt(3)
	v_mul_f64 v[15:16], v[31:32], v[15:16]
	s_waitcnt lgkmcnt(4)
	v_fma_f64 v[7:8], v[21:22], v[11:12], v[7:8]
	ds_bpermute_b32 v11, v2, v3 offset:20
	ds_bpermute_b32 v12, v2, v4 offset:20
	s_waitcnt lgkmcnt(4)
	v_add_f64 v[13:14], v[69:70], -v[13:14]
	v_add_f64 v[9:10], v[9:10], v[27:28]
	s_waitcnt vmcnt(2) lgkmcnt(2)
	v_add_f64 v[5:6], v[33:34], -v[5:6]
	v_fma_f64 v[7:8], v[25:26], v[19:20], v[7:8]
	ds_bpermute_b32 v19, v2, v3 offset:24
	ds_bpermute_b32 v20, v2, v4 offset:24
	s_waitcnt vmcnt(1)
	v_mul_f64 v[13:14], v[106:107], v[13:14]
	v_add_f64 v[9:10], v[9:10], v[31:32]
	s_waitcnt vmcnt(0)
	v_mul_f64 v[5:6], v[17:18], v[5:6]
	s_waitcnt lgkmcnt(2)
	v_fma_f64 v[7:8], v[15:16], v[11:12], v[7:8]
	ds_bpermute_b32 v11, v2, v3 offset:28
	ds_bpermute_b32 v12, v2, v4 offset:28
	v_add_f64 v[3:4], v[9:10], v[106:107]
	s_waitcnt lgkmcnt(0)
	v_mul_f64 v[5:6], v[5:6], v[11:12]
	v_fma_f64 v[7:8], v[13:14], v[19:20], v[7:8]
.LBB34_54:                              ;   in Loop: Header=BB34_55 Depth=1
	v_add_co_u32 v74, vcc_lo, v74, s20
	v_add_co_ci_u32_e64 v75, null, s21, v75, vcc_lo
	v_add_co_u32 v76, vcc_lo, v76, s20
	v_add_co_ci_u32_e64 v77, null, s21, v77, vcc_lo
	;; [unrolled: 2-line block ×21, first 2 shown]
	v_add_co_u32 v88, vcc_lo, v88, s20
	v_add_f64 v[35:36], v[7:8], v[5:6]
	v_add_f64 v[37:38], v[3:4], v[17:18]
	v_add_co_ci_u32_e64 v89, null, s21, v89, vcc_lo
	v_add_co_u32 v90, vcc_lo, v90, s20
	v_add_co_ci_u32_e64 v91, null, s21, v91, vcc_lo
	v_add_co_u32 v92, vcc_lo, v92, s20
	;; [unrolled: 2-line block ×5, first 2 shown]
	s_add_u32 s2, s2, s7
	v_add_co_ci_u32_e64 v99, null, s21, v99, vcc_lo
	v_add_co_u32 v100, vcc_lo, v100, s20
	s_addc_u32 s3, s3, 0
	v_add_co_ci_u32_e64 v101, null, s21, v101, vcc_lo
	v_add_co_u32 v102, vcc_lo, v102, s20
	v_cmp_ge_i64_e64 s12, s[2:3], s[8:9]
	v_add_co_ci_u32_e64 v103, null, s21, v103, vcc_lo
	v_add_co_u32 v104, vcc_lo, v104, s20
	v_add_co_ci_u32_e64 v105, null, s21, v105, vcc_lo
	s_add_u32 s22, s22, s7
	s_addc_u32 s23, s23, 0
	s_and_b32 vcc_lo, exec_lo, s12
	s_cbranch_vccnz .LBB34_81
.LBB34_55:                              ; =>This Inner Loop Header: Depth=1
	v_cmp_ge_i64_e64 s12, s[22:23], s[8:9]
	v_add_co_u32 v106, s13, v73, s22
	v_add_co_ci_u32_e64 v107, null, 0, s23, s13
                                        ; implicit-def: $vgpr17_vgpr18
                                        ; implicit-def: $vgpr5_vgpr6
                                        ; implicit-def: $vgpr3_vgpr4
                                        ; implicit-def: $vgpr7_vgpr8
	s_and_b32 vcc_lo, exec_lo, s12
	s_mov_b32 s12, -1
	s_cbranch_vccz .LBB34_77
; %bb.56:                               ;   in Loop: Header=BB34_55 Depth=1
	s_load_dword s12, s[0:1], 0xc
	v_mov_b32_e32 v69, 0
	v_mov_b32_e32 v71, 0
	;; [unrolled: 1-line block ×4, first 2 shown]
	s_waitcnt lgkmcnt(0)
	s_and_b32 s12, s12, 0xffff
	v_mad_u32_u24 v3, v1, s12, v0
	s_mov_b32 s12, exec_lo
	v_and_b32_e32 v3, 31, v3
	v_cmpx_gt_u32_e32 8, v3
	s_cbranch_execz .LBB34_60
; %bb.57:                               ;   in Loop: Header=BB34_55 Depth=1
	v_add_co_u32 v3, vcc_lo, v106, v3
	v_add_co_ci_u32_e64 v4, null, 0, v107, vcc_lo
	v_mov_b32_e32 v71, 0
	v_add_co_u32 v3, vcc_lo, 0xffffff81, v3
	v_mov_b32_e32 v69, 0
	v_add_co_ci_u32_e64 v4, null, -1, v4, vcc_lo
	v_mov_b32_e32 v72, 0
	v_mov_b32_e32 v70, 0
	s_mov_b32 s13, exec_lo
	v_cmpx_gt_i64_e64 s[8:9], v[3:4]
	s_cbranch_execz .LBB34_59
; %bb.58:                               ;   in Loop: Header=BB34_55 Depth=1
	v_lshlrev_b64 v[3:4], 3, v[3:4]
	v_add_co_u32 v5, vcc_lo, s16, v3
	v_add_co_ci_u32_e64 v6, null, s17, v4, vcc_lo
	v_add_co_u32 v3, vcc_lo, s18, v3
	v_add_co_ci_u32_e64 v4, null, s19, v4, vcc_lo
	global_load_dwordx2 v[71:72], v[5:6], off
	global_load_dwordx2 v[69:70], v[3:4], off
.LBB34_59:                              ;   in Loop: Header=BB34_55 Depth=1
	s_or_b32 exec_lo, exec_lo, s13
.LBB34_60:                              ;   in Loop: Header=BB34_55 Depth=1
	s_or_b32 exec_lo, exec_lo, s12
	v_add_co_u32 v18, vcc_lo, 0xffffff81, v106
	v_add_co_ci_u32_e64 v19, null, -1, v107, vcc_lo
	v_mov_b32_e32 v17, v2
	v_mov_b32_e32 v3, v2
	;; [unrolled: 1-line block ×15, first 2 shown]
	v_cmp_gt_i64_e32 vcc_lo, s[8:9], v[18:19]
	v_mov_b32_e32 v34, v17
	v_mov_b32_e32 v31, v14
	v_mov_b32_e32 v32, v15
	v_mov_b32_e32 v33, v16
	v_mov_b32_e32 v30, v13
	v_mov_b32_e32 v29, v12
	v_mov_b32_e32 v28, v11
	v_mov_b32_e32 v27, v10
	v_mov_b32_e32 v26, v9
	v_mov_b32_e32 v25, v8
	v_mov_b32_e32 v24, v7
	v_mov_b32_e32 v23, v6
	v_mov_b32_e32 v22, v5
	v_mov_b32_e32 v21, v4
	v_mov_b32_e32 v20, v3
	v_mov_b32_e32 v19, v2
	v_mov_b32_e32 v18, v17
	v_mov_b32_e32 v17, v16
	v_mov_b32_e32 v16, v15
	v_mov_b32_e32 v15, v14
	v_mov_b32_e32 v14, v13
	v_mov_b32_e32 v13, v12
	v_mov_b32_e32 v12, v11
	v_mov_b32_e32 v11, v10
	v_mov_b32_e32 v10, v9
	v_mov_b32_e32 v9, v8
	v_mov_b32_e32 v8, v7
	v_mov_b32_e32 v7, v6
	v_mov_b32_e32 v6, v5
	v_mov_b32_e32 v5, v4
	v_mov_b32_e32 v4, v3
	v_mov_b32_e32 v3, v2
	s_and_saveexec_b32 s12, vcc_lo
	s_cbranch_execz .LBB34_62
; %bb.61:                               ;   in Loop: Header=BB34_55 Depth=1
	v_add_co_u32 v3, vcc_lo, v74, v67
	v_add_co_ci_u32_e64 v4, null, v75, v68, vcc_lo
	v_add_co_u32 v5, vcc_lo, v76, v67
	v_add_co_ci_u32_e64 v6, null, v77, v68, vcc_lo
	global_load_dwordx2 v[3:4], v[3:4], off
	global_load_dwordx2 v[19:20], v[5:6], off
	v_mov_b32_e32 v5, v2
	v_mov_b32_e32 v6, v2
	;; [unrolled: 1-line block ×28, first 2 shown]
.LBB34_62:                              ;   in Loop: Header=BB34_55 Depth=1
	s_or_b32 exec_lo, exec_lo, s12
	v_add_co_u32 v108, vcc_lo, 0xffffff82, v106
	v_add_co_ci_u32_e64 v109, null, -1, v107, vcc_lo
	s_mov_b32 s12, exec_lo
	v_cmpx_gt_i64_e64 s[8:9], v[108:109]
	s_cbranch_execz .LBB34_64
; %bb.63:                               ;   in Loop: Header=BB34_55 Depth=1
	v_add_co_u32 v5, vcc_lo, v102, v67
	v_add_co_ci_u32_e64 v6, null, v103, v68, vcc_lo
	v_add_co_u32 v21, vcc_lo, v104, v67
	v_add_co_ci_u32_e64 v22, null, v105, v68, vcc_lo
	global_load_dwordx2 v[5:6], v[5:6], off
	global_load_dwordx2 v[21:22], v[21:22], off
.LBB34_64:                              ;   in Loop: Header=BB34_55 Depth=1
	s_or_b32 exec_lo, exec_lo, s12
	v_add_co_u32 v108, vcc_lo, 0xffffff83, v106
	v_add_co_ci_u32_e64 v109, null, -1, v107, vcc_lo
	s_mov_b32 s12, exec_lo
	v_cmpx_gt_i64_e64 s[8:9], v[108:109]
	s_cbranch_execz .LBB34_66
; %bb.65:                               ;   in Loop: Header=BB34_55 Depth=1
	v_add_co_u32 v7, vcc_lo, v98, v67
	v_add_co_ci_u32_e64 v8, null, v99, v68, vcc_lo
	v_add_co_u32 v23, vcc_lo, v100, v67
	v_add_co_ci_u32_e64 v24, null, v101, v68, vcc_lo
	global_load_dwordx2 v[7:8], v[7:8], off
	global_load_dwordx2 v[23:24], v[23:24], off
.LBB34_66:                              ;   in Loop: Header=BB34_55 Depth=1
	;; [unrolled: 14-line block ×7, first 2 shown]
	s_or_b32 exec_lo, exec_lo, s12
	s_waitcnt vmcnt(1)
	ds_bpermute_b32 v108, v2, v71
	ds_bpermute_b32 v109, v2, v72
	ds_bpermute_b32 v110, v2, v71 offset:4
	ds_bpermute_b32 v111, v2, v72 offset:4
	ds_bpermute_b32 v112, v2, v71 offset:12
	ds_bpermute_b32 v113, v2, v72 offset:12
	s_mov_b32 s12, 0
	s_waitcnt vmcnt(0) lgkmcnt(4)
	v_add_f64 v[19:20], v[19:20], -v[108:109]
	ds_bpermute_b32 v108, v2, v71 offset:8
	s_waitcnt lgkmcnt(3)
	v_add_f64 v[21:22], v[21:22], -v[110:111]
	ds_bpermute_b32 v109, v2, v72 offset:8
	ds_bpermute_b32 v110, v2, v69
	ds_bpermute_b32 v111, v2, v70
	s_waitcnt lgkmcnt(4)
	v_add_f64 v[25:26], v[25:26], -v[112:113]
	v_mul_f64 v[19:20], v[3:4], v[19:20]
	v_add_f64 v[3:4], v[37:38], v[3:4]
	s_waitcnt lgkmcnt(2)
	v_add_f64 v[23:24], v[23:24], -v[108:109]
	v_mul_f64 v[21:22], v[5:6], v[21:22]
	ds_bpermute_b32 v108, v2, v69 offset:4
	ds_bpermute_b32 v109, v2, v70 offset:4
	v_mul_f64 v[25:26], v[9:10], v[25:26]
	s_waitcnt lgkmcnt(2)
	v_fma_f64 v[19:20], v[19:20], v[110:111], v[35:36]
	v_add_f64 v[3:4], v[5:6], v[3:4]
	v_mul_f64 v[5:6], v[7:8], v[23:24]
	ds_bpermute_b32 v110, v2, v71 offset:16
	ds_bpermute_b32 v111, v2, v72 offset:16
	;; [unrolled: 1-line block ×4, first 2 shown]
	s_waitcnt lgkmcnt(4)
	v_fma_f64 v[19:20], v[21:22], v[108:109], v[19:20]
	ds_bpermute_b32 v21, v2, v69 offset:8
	ds_bpermute_b32 v22, v2, v70 offset:8
	s_waitcnt lgkmcnt(4)
	v_add_f64 v[27:28], v[27:28], -v[110:111]
	v_add_f64 v[3:4], v[7:8], v[3:4]
	ds_bpermute_b32 v7, v2, v69 offset:12
	ds_bpermute_b32 v8, v2, v70 offset:12
	s_waitcnt lgkmcnt(4)
	v_add_f64 v[23:24], v[29:30], -v[23:24]
	s_waitcnt lgkmcnt(2)
	v_fma_f64 v[5:6], v[5:6], v[21:22], v[19:20]
	ds_bpermute_b32 v19, v2, v69 offset:16
	ds_bpermute_b32 v21, v2, v71 offset:24
	v_mul_f64 v[27:28], v[11:12], v[27:28]
	v_add_f64 v[3:4], v[9:10], v[3:4]
	ds_bpermute_b32 v22, v2, v72 offset:24
	ds_bpermute_b32 v20, v2, v70 offset:16
	v_mul_f64 v[23:24], v[13:14], v[23:24]
	ds_bpermute_b32 v9, v2, v69 offset:20
	ds_bpermute_b32 v10, v2, v70 offset:20
	s_waitcnt lgkmcnt(6)
	v_fma_f64 v[5:6], v[25:26], v[7:8], v[5:6]
	ds_bpermute_b32 v7, v2, v71 offset:28
	ds_bpermute_b32 v8, v2, v72 offset:28
	s_waitcnt lgkmcnt(5)
	v_add_f64 v[21:22], v[31:32], -v[21:22]
	v_add_f64 v[3:4], v[11:12], v[3:4]
	ds_bpermute_b32 v11, v2, v69 offset:24
	ds_bpermute_b32 v12, v2, v70 offset:24
	s_waitcnt lgkmcnt(2)
	v_add_f64 v[7:8], v[33:34], -v[7:8]
	v_fma_f64 v[5:6], v[27:28], v[19:20], v[5:6]
	v_mul_f64 v[19:20], v[15:16], v[21:22]
	v_add_f64 v[3:4], v[13:14], v[3:4]
	ds_bpermute_b32 v13, v2, v69 offset:28
	ds_bpermute_b32 v14, v2, v70 offset:28
	v_fma_f64 v[5:6], v[23:24], v[9:10], v[5:6]
	v_mul_f64 v[9:10], v[17:18], v[7:8]
	v_add_f64 v[3:4], v[15:16], v[3:4]
	s_waitcnt lgkmcnt(2)
	v_fma_f64 v[7:8], v[19:20], v[11:12], v[5:6]
	s_waitcnt lgkmcnt(0)
	v_mul_f64 v[5:6], v[9:10], v[13:14]
.LBB34_77:                              ;   in Loop: Header=BB34_55 Depth=1
	s_and_b32 vcc_lo, exec_lo, s12
	s_cbranch_vccz .LBB34_54
; %bb.78:                               ;   in Loop: Header=BB34_55 Depth=1
	s_load_dword s12, s[0:1], 0x0
	v_mov_b32_e32 v5, 0
	v_mov_b32_e32 v6, 0
	s_waitcnt lgkmcnt(0)
	s_cmp_lt_u32 s6, s12
	s_cselect_b32 s12, 12, 18
	s_add_u32 s12, s0, s12
	s_addc_u32 s13, s1, 0
	global_load_ushort v3, v2, s[12:13]
	s_mov_b32 s12, exec_lo
	s_waitcnt vmcnt(0)
	v_mad_u32_u24 v3, v1, v3, v0
	v_and_b32_e32 v7, 31, v3
	v_mov_b32_e32 v3, 0
	v_mov_b32_e32 v4, 0
	v_cmpx_gt_u32_e32 8, v7
	s_cbranch_execz .LBB34_53
; %bb.79:                               ;   in Loop: Header=BB34_55 Depth=1
	v_add_co_u32 v3, vcc_lo, v106, v7
	v_add_co_ci_u32_e64 v4, null, 0, v107, vcc_lo
	v_mov_b32_e32 v5, 0
	v_add_co_u32 v7, vcc_lo, 0xffffff81, v3
	v_add_co_ci_u32_e64 v8, null, -1, v4, vcc_lo
	v_mov_b32_e32 v3, 0
	v_mov_b32_e32 v6, 0
	;; [unrolled: 1-line block ×3, first 2 shown]
	s_mov_b32 s13, exec_lo
	v_cmpx_gt_i64_e64 s[8:9], v[7:8]
	s_cbranch_execz .LBB34_52
; %bb.80:                               ;   in Loop: Header=BB34_55 Depth=1
	v_lshlrev_b64 v[3:4], 3, v[7:8]
	v_add_co_u32 v5, vcc_lo, s16, v3
	v_add_co_ci_u32_e64 v6, null, s17, v4, vcc_lo
	v_add_co_u32 v3, vcc_lo, s18, v3
	v_add_co_ci_u32_e64 v4, null, s19, v4, vcc_lo
	global_load_dwordx2 v[5:6], v[5:6], off
	global_load_dwordx2 v[3:4], v[3:4], off
	s_branch .LBB34_52
.LBB34_81:
	v_mad_u32_u24 v2, 0x41, v1, v0
	s_mov_b32 s0, exec_lo
	v_lshl_add_u32 v3, v2, 3, 0
	v_sub_nc_u32_e32 v7, v2, v1
	ds_write_b64 v3, v[35:36]
	ds_write_b64 v3, v[37:38] offset:8320
	s_waitcnt lgkmcnt(0)
	s_barrier
	buffer_gl0_inv
	v_cmpx_gt_u32_e32 0x800, v7
	s_cbranch_execz .LBB34_97
; %bb.82:
	s_load_dwordx4 s[12:15], s[4:5], 0x30
	v_and_b32_e32 v1, 31, v0
	v_lshrrev_b32_e32 v8, 5, v7
                                        ; implicit-def: $vgpr3_vgpr4
	v_cmp_gt_u32_e64 s0, 16, v1
	v_mul_u32_u24_e32 v9, 0x41, v1
                                        ; implicit-def: $vgpr1_vgpr2
	s_and_saveexec_b32 s1, s0
	s_cbranch_execz .LBB34_84
; %bb.83:
	v_add_nc_u32_e32 v1, v8, v9
	v_lshl_add_u32 v1, v1, 3, 0
	ds_read_b64 v[3:4], v1
	ds_read_b64 v[1:2], v1 offset:8320
.LBB34_84:
	s_or_b32 exec_lo, exec_lo, s1
	v_mbcnt_lo_u32_b32 v15, -1, 0
	s_mov_b32 s7, 0
	v_cmp_eq_u32_e64 s1, 0, v0
	s_lshl_b64 s[2:3], s[6:7], 6
	s_waitcnt lgkmcnt(0)
	s_cmp_lg_u64 s[12:13], 0
	v_xor_b32_e32 v5, 8, v15
	s_cselect_b32 s5, -1, 0
	s_cmp_lg_u64 s[14:15], 0
	s_cselect_b32 s4, -1, 0
	v_cmp_gt_i32_e32 vcc_lo, 32, v5
	v_cndmask_b32_e32 v5, v15, v5, vcc_lo
	v_lshlrev_b32_e32 v10, 2, v5
	ds_bpermute_b32 v5, v10, v3
	ds_bpermute_b32 v6, v10, v4
	;; [unrolled: 1-line block ×4, first 2 shown]
	s_waitcnt lgkmcnt(2)
	v_add_f64 v[3:4], v[3:4], v[5:6]
	v_xor_b32_e32 v5, 4, v15
	s_waitcnt lgkmcnt(0)
	v_add_f64 v[1:2], v[1:2], v[11:12]
	v_cmp_gt_i32_e32 vcc_lo, 32, v5
	v_cndmask_b32_e32 v5, v15, v5, vcc_lo
	v_lshlrev_b32_e32 v11, 2, v5
	ds_bpermute_b32 v5, v11, v3
	ds_bpermute_b32 v6, v11, v4
	;; [unrolled: 1-line block ×4, first 2 shown]
	s_waitcnt lgkmcnt(2)
	v_add_f64 v[3:4], v[3:4], v[5:6]
	v_xor_b32_e32 v5, 2, v15
	s_waitcnt lgkmcnt(0)
	v_add_f64 v[1:2], v[1:2], v[12:13]
	v_cmp_gt_i32_e32 vcc_lo, 32, v5
	v_cndmask_b32_e32 v5, v15, v5, vcc_lo
	v_lshlrev_b32_e32 v12, 2, v5
	ds_bpermute_b32 v5, v12, v3
	ds_bpermute_b32 v6, v12, v4
	;; [unrolled: 1-line block ×4, first 2 shown]
	s_waitcnt lgkmcnt(2)
	v_add_f64 v[3:4], v[3:4], v[5:6]
	s_waitcnt lgkmcnt(0)
	v_add_f64 v[5:6], v[1:2], v[13:14]
	v_xor_b32_e32 v1, 1, v15
	v_cmp_gt_i32_e32 vcc_lo, 32, v1
	v_cndmask_b32_e32 v1, v15, v1, vcc_lo
	v_lshlrev_b32_e32 v13, 2, v1
	ds_bpermute_b32 v1, v13, v3
	ds_bpermute_b32 v2, v13, v4
	;; [unrolled: 1-line block ×4, first 2 shown]
	s_waitcnt lgkmcnt(2)
	v_add_f64 v[1:2], v[3:4], v[1:2]
	s_waitcnt lgkmcnt(0)
	v_add_f64 v[3:4], v[5:6], v[14:15]
	v_or_b32_e32 v5, s2, v8
	v_mov_b32_e32 v6, s3
	v_cmp_gt_i64_e32 vcc_lo, s[10:11], v[5:6]
	s_and_b32 s7, s1, vcc_lo
	s_and_saveexec_b32 s6, s7
	s_cbranch_execz .LBB34_89
; %bb.85:
	v_lshlrev_b64 v[5:6], 3, v[5:6]
	s_andn2_b32 vcc_lo, exec_lo, s5
	s_cbranch_vccnz .LBB34_87
; %bb.86:
	v_add_co_u32 v14, vcc_lo, s12, v5
	v_add_co_ci_u32_e64 v15, null, s13, v6, vcc_lo
	global_store_dwordx2 v[14:15], v[1:2], off
.LBB34_87:
	s_andn2_b32 vcc_lo, exec_lo, s4
	s_cbranch_vccnz .LBB34_89
; %bb.88:
	v_add_co_u32 v5, vcc_lo, s14, v5
	v_add_co_ci_u32_e64 v6, null, s15, v6, vcc_lo
	global_store_dwordx2 v[5:6], v[3:4], off
.LBB34_89:
	s_or_b32 exec_lo, exec_lo, s6
	v_cmp_gt_u32_e32 vcc_lo, 0x400, v7
	s_and_b32 exec_lo, exec_lo, vcc_lo
	s_cbranch_execz .LBB34_97
; %bb.90:
	s_and_saveexec_b32 s6, s0
	s_cbranch_execz .LBB34_92
; %bb.91:
	v_add_nc_u32_e32 v0, v8, v9
	v_lshl_add_u32 v0, v0, 3, 0
	ds_read_b64 v[1:2], v0 offset:256
	ds_read_b64 v[3:4], v0 offset:8576
.LBB34_92:
	s_or_b32 exec_lo, exec_lo, s6
	s_waitcnt lgkmcnt(1)
	ds_bpermute_b32 v5, v10, v1
	ds_bpermute_b32 v6, v10, v2
	s_waitcnt lgkmcnt(2)
	ds_bpermute_b32 v9, v10, v3
	ds_bpermute_b32 v10, v10, v4
	s_waitcnt lgkmcnt(2)
	v_add_f64 v[0:1], v[1:2], v[5:6]
	s_waitcnt lgkmcnt(0)
	v_add_f64 v[2:3], v[3:4], v[9:10]
	v_add_nc_u32_e32 v9, 32, v8
	v_mov_b32_e32 v10, s3
	v_or_b32_e32 v9, s2, v9
	v_cmp_gt_i64_e32 vcc_lo, s[10:11], v[9:10]
	s_and_b32 s0, s1, vcc_lo
	ds_bpermute_b32 v4, v11, v0
	ds_bpermute_b32 v5, v11, v1
	;; [unrolled: 1-line block ×4, first 2 shown]
	s_waitcnt lgkmcnt(2)
	v_add_f64 v[0:1], v[0:1], v[4:5]
	s_waitcnt lgkmcnt(0)
	v_add_f64 v[2:3], v[2:3], v[6:7]
	ds_bpermute_b32 v4, v12, v0
	ds_bpermute_b32 v5, v12, v1
	;; [unrolled: 1-line block ×4, first 2 shown]
	s_waitcnt lgkmcnt(2)
	v_add_f64 v[4:5], v[0:1], v[4:5]
	s_waitcnt lgkmcnt(0)
	v_add_f64 v[0:1], v[2:3], v[6:7]
	ds_bpermute_b32 v6, v13, v4
	ds_bpermute_b32 v7, v13, v5
	;; [unrolled: 1-line block ×4, first 2 shown]
	s_and_b32 exec_lo, exec_lo, s0
	s_cbranch_execz .LBB34_97
; %bb.93:
	s_andn2_b32 vcc_lo, exec_lo, s5
	s_cbranch_vccnz .LBB34_95
; %bb.94:
	s_waitcnt lgkmcnt(2)
	v_add_f64 v[4:5], v[4:5], v[6:7]
	v_add_co_u32 v6, s0, s2, v8
	v_add_co_ci_u32_e64 v7, null, s3, 0, s0
	v_lshlrev_b64 v[6:7], 3, v[6:7]
	v_add_co_u32 v6, vcc_lo, s12, v6
	v_add_co_ci_u32_e64 v7, null, s13, v7, vcc_lo
	global_store_dwordx2 v[6:7], v[4:5], off offset:256
.LBB34_95:
	s_andn2_b32 vcc_lo, exec_lo, s4
	s_cbranch_vccnz .LBB34_97
; %bb.96:
	s_waitcnt lgkmcnt(0)
	v_add_f64 v[0:1], v[0:1], v[2:3]
	v_add_co_u32 v2, s0, s2, v8
	v_add_co_ci_u32_e64 v3, null, s3, 0, s0
	v_lshlrev_b64 v[2:3], 3, v[2:3]
	v_add_co_u32 v2, vcc_lo, s14, v2
	v_add_co_ci_u32_e64 v3, null, s15, v3, vcc_lo
	global_store_dwordx2 v[2:3], v[0:1], off offset:256
.LBB34_97:
	s_endpgm
	.section	.rodata,"a",@progbits
	.p2align	6, 0x0
	.amdhsa_kernel _ZN2at6native12_GLOBAL__N_135GammaBetaBackwardCUDAKernelTemplateIddLj64ELj16ELj128ELb0ELb0ELb0EEEvllPKT_S5_PKT0_S8_PS3_S9_
		.amdhsa_group_segment_fixed_size 0
		.amdhsa_private_segment_fixed_size 0
		.amdhsa_kernarg_size 320
		.amdhsa_user_sgpr_count 6
		.amdhsa_user_sgpr_private_segment_buffer 1
		.amdhsa_user_sgpr_dispatch_ptr 0
		.amdhsa_user_sgpr_queue_ptr 0
		.amdhsa_user_sgpr_kernarg_segment_ptr 1
		.amdhsa_user_sgpr_dispatch_id 0
		.amdhsa_user_sgpr_flat_scratch_init 0
		.amdhsa_user_sgpr_private_segment_size 0
		.amdhsa_wavefront_size32 1
		.amdhsa_uses_dynamic_stack 0
		.amdhsa_system_sgpr_private_segment_wavefront_offset 0
		.amdhsa_system_sgpr_workgroup_id_x 1
		.amdhsa_system_sgpr_workgroup_id_y 1
		.amdhsa_system_sgpr_workgroup_id_z 0
		.amdhsa_system_sgpr_workgroup_info 0
		.amdhsa_system_vgpr_workitem_id 1
		.amdhsa_next_free_vgpr 114
		.amdhsa_next_free_sgpr 32
		.amdhsa_reserve_vcc 1
		.amdhsa_reserve_flat_scratch 0
		.amdhsa_float_round_mode_32 0
		.amdhsa_float_round_mode_16_64 0
		.amdhsa_float_denorm_mode_32 3
		.amdhsa_float_denorm_mode_16_64 3
		.amdhsa_dx10_clamp 1
		.amdhsa_ieee_mode 1
		.amdhsa_fp16_overflow 0
		.amdhsa_workgroup_processor_mode 1
		.amdhsa_memory_ordered 1
		.amdhsa_forward_progress 1
		.amdhsa_shared_vgpr_count 0
		.amdhsa_exception_fp_ieee_invalid_op 0
		.amdhsa_exception_fp_denorm_src 0
		.amdhsa_exception_fp_ieee_div_zero 0
		.amdhsa_exception_fp_ieee_overflow 0
		.amdhsa_exception_fp_ieee_underflow 0
		.amdhsa_exception_fp_ieee_inexact 0
		.amdhsa_exception_int_div_zero 0
	.end_amdhsa_kernel
	.section	.text._ZN2at6native12_GLOBAL__N_135GammaBetaBackwardCUDAKernelTemplateIddLj64ELj16ELj128ELb0ELb0ELb0EEEvllPKT_S5_PKT0_S8_PS3_S9_,"axG",@progbits,_ZN2at6native12_GLOBAL__N_135GammaBetaBackwardCUDAKernelTemplateIddLj64ELj16ELj128ELb0ELb0ELb0EEEvllPKT_S5_PKT0_S8_PS3_S9_,comdat
.Lfunc_end34:
	.size	_ZN2at6native12_GLOBAL__N_135GammaBetaBackwardCUDAKernelTemplateIddLj64ELj16ELj128ELb0ELb0ELb0EEEvllPKT_S5_PKT0_S8_PS3_S9_, .Lfunc_end34-_ZN2at6native12_GLOBAL__N_135GammaBetaBackwardCUDAKernelTemplateIddLj64ELj16ELj128ELb0ELb0ELb0EEEvllPKT_S5_PKT0_S8_PS3_S9_
                                        ; -- End function
	.set _ZN2at6native12_GLOBAL__N_135GammaBetaBackwardCUDAKernelTemplateIddLj64ELj16ELj128ELb0ELb0ELb0EEEvllPKT_S5_PKT0_S8_PS3_S9_.num_vgpr, 114
	.set _ZN2at6native12_GLOBAL__N_135GammaBetaBackwardCUDAKernelTemplateIddLj64ELj16ELj128ELb0ELb0ELb0EEEvllPKT_S5_PKT0_S8_PS3_S9_.num_agpr, 0
	.set _ZN2at6native12_GLOBAL__N_135GammaBetaBackwardCUDAKernelTemplateIddLj64ELj16ELj128ELb0ELb0ELb0EEEvllPKT_S5_PKT0_S8_PS3_S9_.numbered_sgpr, 32
	.set _ZN2at6native12_GLOBAL__N_135GammaBetaBackwardCUDAKernelTemplateIddLj64ELj16ELj128ELb0ELb0ELb0EEEvllPKT_S5_PKT0_S8_PS3_S9_.num_named_barrier, 0
	.set _ZN2at6native12_GLOBAL__N_135GammaBetaBackwardCUDAKernelTemplateIddLj64ELj16ELj128ELb0ELb0ELb0EEEvllPKT_S5_PKT0_S8_PS3_S9_.private_seg_size, 0
	.set _ZN2at6native12_GLOBAL__N_135GammaBetaBackwardCUDAKernelTemplateIddLj64ELj16ELj128ELb0ELb0ELb0EEEvllPKT_S5_PKT0_S8_PS3_S9_.uses_vcc, 1
	.set _ZN2at6native12_GLOBAL__N_135GammaBetaBackwardCUDAKernelTemplateIddLj64ELj16ELj128ELb0ELb0ELb0EEEvllPKT_S5_PKT0_S8_PS3_S9_.uses_flat_scratch, 0
	.set _ZN2at6native12_GLOBAL__N_135GammaBetaBackwardCUDAKernelTemplateIddLj64ELj16ELj128ELb0ELb0ELb0EEEvllPKT_S5_PKT0_S8_PS3_S9_.has_dyn_sized_stack, 0
	.set _ZN2at6native12_GLOBAL__N_135GammaBetaBackwardCUDAKernelTemplateIddLj64ELj16ELj128ELb0ELb0ELb0EEEvllPKT_S5_PKT0_S8_PS3_S9_.has_recursion, 0
	.set _ZN2at6native12_GLOBAL__N_135GammaBetaBackwardCUDAKernelTemplateIddLj64ELj16ELj128ELb0ELb0ELb0EEEvllPKT_S5_PKT0_S8_PS3_S9_.has_indirect_call, 0
	.section	.AMDGPU.csdata,"",@progbits
; Kernel info:
; codeLenInByte = 10412
; TotalNumSgprs: 34
; NumVgprs: 114
; ScratchSize: 0
; MemoryBound: 1
; FloatMode: 240
; IeeeMode: 1
; LDSByteSize: 0 bytes/workgroup (compile time only)
; SGPRBlocks: 0
; VGPRBlocks: 14
; NumSGPRsForWavesPerEU: 34
; NumVGPRsForWavesPerEU: 114
; Occupancy: 8
; WaveLimiterHint : 0
; COMPUTE_PGM_RSRC2:SCRATCH_EN: 0
; COMPUTE_PGM_RSRC2:USER_SGPR: 6
; COMPUTE_PGM_RSRC2:TRAP_HANDLER: 0
; COMPUTE_PGM_RSRC2:TGID_X_EN: 1
; COMPUTE_PGM_RSRC2:TGID_Y_EN: 1
; COMPUTE_PGM_RSRC2:TGID_Z_EN: 0
; COMPUTE_PGM_RSRC2:TIDIG_COMP_CNT: 1
	.section	.text._ZN2at6native12_GLOBAL__N_135GammaBetaBackwardCUDAKernelTemplateIddLj64ELj16ELj256ELb0ELb1ELb0EEEvllPKT_S5_PKT0_S8_PS3_S9_,"axG",@progbits,_ZN2at6native12_GLOBAL__N_135GammaBetaBackwardCUDAKernelTemplateIddLj64ELj16ELj256ELb0ELb1ELb0EEEvllPKT_S5_PKT0_S8_PS3_S9_,comdat
	.globl	_ZN2at6native12_GLOBAL__N_135GammaBetaBackwardCUDAKernelTemplateIddLj64ELj16ELj256ELb0ELb1ELb0EEEvllPKT_S5_PKT0_S8_PS3_S9_ ; -- Begin function _ZN2at6native12_GLOBAL__N_135GammaBetaBackwardCUDAKernelTemplateIddLj64ELj16ELj256ELb0ELb1ELb0EEEvllPKT_S5_PKT0_S8_PS3_S9_
	.p2align	8
	.type	_ZN2at6native12_GLOBAL__N_135GammaBetaBackwardCUDAKernelTemplateIddLj64ELj16ELj256ELb0ELb1ELb0EEEvllPKT_S5_PKT0_S8_PS3_S9_,@function
_ZN2at6native12_GLOBAL__N_135GammaBetaBackwardCUDAKernelTemplateIddLj64ELj16ELj256ELb0ELb1ELb0EEEvllPKT_S5_PKT0_S8_PS3_S9_: ; @_ZN2at6native12_GLOBAL__N_135GammaBetaBackwardCUDAKernelTemplateIddLj64ELj16ELj256ELb0ELb1ELb0EEEvllPKT_S5_PKT0_S8_PS3_S9_
; %bb.0:
	s_load_dwordx4 s[20:23], s[4:5], 0x0
	s_lshl_b32 s2, s7, 8
	s_mov_b32 s3, 0
	s_waitcnt lgkmcnt(0)
	v_cmp_gt_i64_e64 s0, s[20:21], s[2:3]
	s_and_b32 vcc_lo, exec_lo, s0
	s_cbranch_vccnz .LBB35_2
; %bb.1:
	s_mov_b32 s0, s3
	s_branch .LBB35_3
.LBB35_2:
	s_mov_b32 s0, -1
.LBB35_3:
	s_load_dwordx4 s[16:19], s[4:5], 0x30
	v_mov_b32_e32 v12, 0
	v_mov_b32_e32 v14, 0
	v_mov_b32_e32 v13, 0
	v_mov_b32_e32 v15, 0
	s_andn2_b32 vcc_lo, exec_lo, s0
	s_cbranch_vccnz .LBB35_10
; %bb.4:
	s_clause 0x2
	s_load_dword s0, s[4:5], 0x4c
	s_load_dword s1, s[4:5], 0x44
	s_load_dwordx8 s[8:15], s[4:5], 0x10
	v_lshlrev_b32_e32 v4, 4, v1
	v_mov_b32_e32 v3, 0
	v_lshl_add_u32 v2, s6, 6, v0
	v_mov_b32_e32 v14, 0
	v_mov_b32_e32 v12, 0
	v_add_co_u32 v4, s4, v4, s2
	v_add_co_ci_u32_e64 v5, null, 0, 0, s4
	v_mov_b32_e32 v26, 16
	v_mul_lo_u32 v8, s23, v4
	v_mad_u64_u32 v[6:7], null, s22, v4, 0
	v_mul_lo_u32 v10, s22, v5
	v_mov_b32_e32 v27, 4
	v_mov_b32_e32 v28, 8
	;; [unrolled: 1-line block ×3, first 2 shown]
	s_waitcnt lgkmcnt(0)
	s_and_b32 s0, s0, 0xffff
	s_lshl_b32 s4, s1, 8
	v_mad_u32_u24 v9, v1, s0, v0
	s_mul_i32 s1, s23, s4
	v_add3_u32 v7, v7, v10, v8
	v_lshlrev_b64 v[10:11], 3, v[2:3]
	s_mul_hi_u32 s7, s22, s4
	v_and_b32_e32 v9, 31, v9
	v_mov_b32_e32 v30, 20
	v_mov_b32_e32 v31, 24
	;; [unrolled: 1-line block ×4, first 2 shown]
	v_cmp_gt_u32_e64 s0, 16, v9
	v_add_co_u32 v4, vcc_lo, v4, v9
	v_lshlrev_b64 v[8:9], 3, v[6:7]
	v_add_co_ci_u32_e64 v5, null, 0, v5, vcc_lo
	v_mov_b32_e32 v34, 36
	v_mov_b32_e32 v35, 40
	;; [unrolled: 1-line block ×3, first 2 shown]
	v_add_co_u32 v2, vcc_lo, v8, v10
	v_lshlrev_b64 v[6:7], 3, v[4:5]
	v_mov_b32_e32 v37, 48
	v_mov_b32_e32 v38, 52
	;; [unrolled: 1-line block ×4, first 2 shown]
	v_add_co_ci_u32_e64 v41, null, v9, v11, vcc_lo
	v_mov_b32_e32 v15, 0
	v_mov_b32_e32 v13, 0
	s_mov_b32 s5, 0
	s_add_i32 s27, s7, s1
	s_mul_i32 s26, s22, s4
	s_lshl_b64 s[24:25], s[4:5], 3
	s_lshl_b64 s[26:27], s[26:27], 3
	;; [unrolled: 1-line block ×3, first 2 shown]
	s_branch .LBB35_7
.LBB35_5:                               ;   in Loop: Header=BB35_7 Depth=1
	s_or_b32 exec_lo, exec_lo, s5
.LBB35_6:                               ;   in Loop: Header=BB35_7 Depth=1
	s_or_b32 exec_lo, exec_lo, s1
	v_add_co_u32 v16, vcc_lo, s10, v2
	v_add_co_ci_u32_e64 v17, null, s11, v41, vcc_lo
	v_add_co_u32 v18, vcc_lo, s8, v2
	v_add_co_ci_u32_e64 v19, null, s9, v41, vcc_lo
	global_load_dwordx2 v[42:43], v[16:17], off
	v_add_co_u32 v16, vcc_lo, v16, s22
	v_add_co_ci_u32_e64 v17, null, s23, v17, vcc_lo
	global_load_dwordx2 v[22:23], v[18:19], off
	global_load_dwordx2 v[44:45], v[16:17], off
	v_add_co_u32 v18, vcc_lo, v18, s22
	v_add_co_ci_u32_e64 v19, null, s23, v19, vcc_lo
	v_add_co_u32 v16, vcc_lo, v16, s22
	v_add_co_ci_u32_e64 v17, null, s23, v17, vcc_lo
	global_load_dwordx2 v[24:25], v[18:19], off
	v_add_co_u32 v18, vcc_lo, v18, s22
	global_load_dwordx2 v[46:47], v[16:17], off
	v_add_co_ci_u32_e64 v19, null, s23, v19, vcc_lo
	v_add_co_u32 v16, vcc_lo, v16, s22
	v_add_co_ci_u32_e64 v17, null, s23, v17, vcc_lo
	global_load_dwordx2 v[20:21], v[18:19], off
	v_add_co_u32 v50, vcc_lo, v16, s22
	global_load_dwordx2 v[48:49], v[16:17], off
	v_add_co_ci_u32_e64 v51, null, s23, v17, vcc_lo
	v_add_co_u32 v16, vcc_lo, v18, s22
	v_add_co_ci_u32_e64 v17, null, s23, v19, vcc_lo
	global_load_dwordx2 v[52:53], v[50:51], off
	global_load_dwordx2 v[18:19], v[16:17], off
	v_add_co_u32 v54, vcc_lo, v16, s22
	v_add_co_ci_u32_e64 v55, null, s23, v17, vcc_lo
	s_waitcnt vmcnt(10)
	ds_bpermute_b32 v56, v3, v10
	ds_bpermute_b32 v57, v3, v11
	s_waitcnt vmcnt(9)
	ds_bpermute_b32 v58, v3, v8
	global_load_dwordx2 v[16:17], v[54:55], off
	ds_bpermute_b32 v59, v3, v9
	v_add_co_u32 v50, vcc_lo, v50, s22
	v_add_co_ci_u32_e64 v51, null, s23, v51, vcc_lo
	v_add_co_u32 v54, vcc_lo, v54, s22
	v_add_co_ci_u32_e64 v55, null, s23, v55, vcc_lo
	s_add_u32 s2, s2, s4
	s_addc_u32 s3, s3, 0
	v_cmp_lt_i64_e64 s1, s[2:3], s[20:21]
	s_waitcnt vmcnt(9) lgkmcnt(2)
	v_add_f64 v[42:43], v[42:43], -v[56:57]
	ds_bpermute_b32 v56, v27, v10
	ds_bpermute_b32 v57, v27, v11
	s_waitcnt vmcnt(8)
	v_add_f64 v[12:13], v[12:13], v[22:23]
	s_waitcnt vmcnt(7) lgkmcnt(0)
	v_add_f64 v[44:45], v[44:45], -v[56:57]
	v_mul_f64 v[42:43], v[22:23], v[42:43]
	ds_bpermute_b32 v56, v28, v10
	ds_bpermute_b32 v57, v28, v11
	s_waitcnt vmcnt(6)
	v_add_f64 v[12:13], v[12:13], v[24:25]
	v_mul_f64 v[44:45], v[24:25], v[44:45]
	v_fma_f64 v[14:15], v[42:43], v[58:59], v[14:15]
	ds_bpermute_b32 v42, v27, v8
	ds_bpermute_b32 v43, v27, v9
	s_waitcnt vmcnt(5) lgkmcnt(2)
	v_add_f64 v[46:47], v[46:47], -v[56:57]
	global_load_dwordx2 v[56:57], v[50:51], off
	v_add_co_u32 v50, vcc_lo, v50, s22
	v_add_co_ci_u32_e64 v51, null, s23, v51, vcc_lo
	ds_bpermute_b32 v58, v28, v8
	ds_bpermute_b32 v59, v28, v9
	;; [unrolled: 1-line block ×4, first 2 shown]
	s_waitcnt vmcnt(5)
	v_add_f64 v[12:13], v[12:13], v[20:21]
	s_waitcnt lgkmcnt(4)
	v_fma_f64 v[14:15], v[44:45], v[42:43], v[14:15]
	v_add_co_u32 v42, vcc_lo, v54, s22
	v_add_co_ci_u32_e64 v43, null, s23, v55, vcc_lo
	v_mul_f64 v[44:45], v[20:21], v[46:47]
	global_load_dwordx2 v[46:47], v[50:51], off
	global_load_dwordx2 v[54:55], v[54:55], off
	v_add_co_u32 v50, vcc_lo, v50, s22
	v_add_co_ci_u32_e64 v51, null, s23, v51, vcc_lo
	ds_bpermute_b32 v20, v34, v10
	ds_bpermute_b32 v21, v34, v11
	s_waitcnt vmcnt(4)
	v_add_f64 v[12:13], v[12:13], v[18:19]
	s_waitcnt lgkmcnt(4)
	v_fma_f64 v[14:15], v[44:45], v[58:59], v[14:15]
	global_load_dwordx2 v[44:45], v[42:43], off
	ds_bpermute_b32 v58, v29, v10
	ds_bpermute_b32 v59, v29, v11
	s_waitcnt vmcnt(4)
	v_add_f64 v[12:13], v[12:13], v[16:17]
	s_waitcnt lgkmcnt(0)
	v_add_f64 v[48:49], v[48:49], -v[58:59]
	ds_bpermute_b32 v58, v26, v10
	ds_bpermute_b32 v59, v26, v11
	s_waitcnt lgkmcnt(0)
	v_add_f64 v[52:53], v[52:53], -v[58:59]
	v_mul_f64 v[48:49], v[18:19], v[48:49]
	ds_bpermute_b32 v58, v29, v8
	ds_bpermute_b32 v59, v29, v9
	v_mul_f64 v[52:53], v[16:17], v[52:53]
	s_waitcnt lgkmcnt(0)
	v_fma_f64 v[14:15], v[48:49], v[58:59], v[14:15]
	v_add_co_u32 v58, vcc_lo, v50, s22
	ds_bpermute_b32 v48, v26, v8
	v_add_co_ci_u32_e64 v59, null, s23, v51, vcc_lo
	global_load_dwordx2 v[50:51], v[50:51], off
	ds_bpermute_b32 v49, v26, v9
	s_waitcnt lgkmcnt(0)
	v_fma_f64 v[14:15], v[52:53], v[48:49], v[14:15]
	global_load_dwordx2 v[48:49], v[58:59], off
	ds_bpermute_b32 v52, v30, v10
	ds_bpermute_b32 v53, v30, v11
	s_waitcnt vmcnt(5) lgkmcnt(0)
	v_add_f64 v[52:53], v[56:57], -v[52:53]
	ds_bpermute_b32 v56, v31, v10
	ds_bpermute_b32 v57, v31, v11
	s_waitcnt vmcnt(4) lgkmcnt(0)
	v_add_f64 v[46:47], v[46:47], -v[56:57]
	s_waitcnt vmcnt(3)
	v_mul_f64 v[52:53], v[54:55], v[52:53]
	ds_bpermute_b32 v56, v30, v8
	ds_bpermute_b32 v57, v30, v9
	v_add_f64 v[12:13], v[12:13], v[54:55]
	s_waitcnt vmcnt(2)
	v_mul_f64 v[46:47], v[44:45], v[46:47]
	s_waitcnt lgkmcnt(0)
	v_fma_f64 v[14:15], v[52:53], v[56:57], v[14:15]
	ds_bpermute_b32 v52, v31, v8
	ds_bpermute_b32 v53, v31, v9
	v_add_co_u32 v56, vcc_lo, v58, s22
	v_add_co_ci_u32_e64 v57, null, s23, v59, vcc_lo
	v_add_co_u32 v42, vcc_lo, v42, s22
	v_add_co_ci_u32_e64 v43, null, s23, v43, vcc_lo
	global_load_dwordx2 v[58:59], v[56:57], off
	v_add_f64 v[12:13], v[12:13], v[44:45]
	s_waitcnt lgkmcnt(0)
	v_fma_f64 v[14:15], v[46:47], v[52:53], v[14:15]
	global_load_dwordx2 v[46:47], v[42:43], off
	v_add_co_u32 v42, vcc_lo, v42, s22
	v_add_co_ci_u32_e64 v43, null, s23, v43, vcc_lo
	v_add_co_u32 v22, vcc_lo, v42, s22
	global_load_dwordx2 v[52:53], v[42:43], off
	v_add_co_ci_u32_e64 v23, null, s23, v43, vcc_lo
	v_add_co_u32 v42, vcc_lo, v56, s22
	v_add_co_ci_u32_e64 v43, null, s23, v57, vcc_lo
	global_load_dwordx2 v[56:57], v[22:23], off
	v_add_co_u32 v22, vcc_lo, v22, s22
	v_add_co_ci_u32_e64 v23, null, s23, v23, vcc_lo
	s_waitcnt vmcnt(5)
	v_add_f64 v[24:25], v[50:51], -v[24:25]
	ds_bpermute_b32 v50, v33, v10
	ds_bpermute_b32 v51, v33, v11
	s_waitcnt vmcnt(4) lgkmcnt(0)
	v_add_f64 v[48:49], v[48:49], -v[50:51]
	global_load_dwordx2 v[50:51], v[42:43], off
	v_add_co_u32 v42, vcc_lo, v42, s22
	v_add_co_ci_u32_e64 v43, null, s23, v43, vcc_lo
	s_waitcnt vmcnt(4)
	v_add_f64 v[20:21], v[58:59], -v[20:21]
	ds_bpermute_b32 v58, v32, v8
	ds_bpermute_b32 v59, v32, v9
	s_waitcnt vmcnt(3)
	v_mul_f64 v[24:25], v[46:47], v[24:25]
	v_add_f64 v[12:13], v[12:13], v[46:47]
	s_waitcnt vmcnt(2)
	v_mul_f64 v[48:49], v[52:53], v[48:49]
	s_waitcnt vmcnt(1)
	v_mul_f64 v[20:21], v[56:57], v[20:21]
	s_waitcnt lgkmcnt(0)
	v_fma_f64 v[14:15], v[24:25], v[58:59], v[14:15]
	ds_bpermute_b32 v24, v33, v8
	ds_bpermute_b32 v25, v33, v9
	global_load_dwordx2 v[18:19], v[42:43], off
	global_load_dwordx2 v[58:59], v[22:23], off
	v_add_co_u32 v22, vcc_lo, v22, s22
	v_add_co_ci_u32_e64 v23, null, s23, v23, vcc_lo
	v_add_co_u32 v16, vcc_lo, v42, s22
	v_add_co_ci_u32_e64 v17, null, s23, v43, vcc_lo
	v_add_f64 v[12:13], v[12:13], v[52:53]
	ds_bpermute_b32 v52, v36, v10
	ds_bpermute_b32 v53, v36, v11
	s_waitcnt lgkmcnt(2)
	v_fma_f64 v[14:15], v[48:49], v[24:25], v[14:15]
	ds_bpermute_b32 v24, v34, v8
	ds_bpermute_b32 v25, v34, v9
	global_load_dwordx2 v[42:43], v[22:23], off
	global_load_dwordx2 v[48:49], v[16:17], off
	v_add_co_u32 v22, vcc_lo, v22, s22
	v_add_co_ci_u32_e64 v23, null, s23, v23, vcc_lo
	v_add_co_u32 v16, vcc_lo, v16, s22
	v_add_co_ci_u32_e64 v17, null, s23, v17, vcc_lo
	v_add_f64 v[12:13], v[12:13], v[56:57]
	ds_bpermute_b32 v56, v37, v10
	ds_bpermute_b32 v57, v37, v11
	s_waitcnt lgkmcnt(2)
	v_fma_f64 v[14:15], v[20:21], v[24:25], v[14:15]
	v_add_co_u32 v24, vcc_lo, v22, s22
	ds_bpermute_b32 v20, v35, v10
	ds_bpermute_b32 v21, v35, v11
	v_add_co_ci_u32_e64 v25, null, s23, v23, vcc_lo
	v_add_co_u32 v54, vcc_lo, v16, s22
	v_add_co_ci_u32_e64 v55, null, s23, v17, vcc_lo
	global_load_dwordx2 v[16:17], v[16:17], off
	global_load_dwordx2 v[22:23], v[22:23], off
	s_waitcnt vmcnt(6) lgkmcnt(0)
	v_add_f64 v[20:21], v[50:51], -v[20:21]
	v_add_co_u32 v50, vcc_lo, v24, s22
	v_add_co_ci_u32_e64 v51, null, s23, v25, vcc_lo
	v_add_co_u32 v44, vcc_lo, v54, s22
	v_add_co_ci_u32_e64 v45, null, s23, v55, vcc_lo
	global_load_dwordx2 v[54:55], v[54:55], off
	global_load_dwordx2 v[24:25], v[24:25], off
	v_add_co_u32 v46, vcc_lo, v50, s22
	v_add_co_ci_u32_e64 v47, null, s23, v51, vcc_lo
	global_load_dwordx2 v[44:45], v[44:45], off
	global_load_dwordx2 v[50:51], v[50:51], off
	;; [unrolled: 1-line block ×3, first 2 shown]
	v_add_co_u32 v6, vcc_lo, v6, s24
	v_add_co_ci_u32_e64 v7, null, s25, v7, vcc_lo
	v_add_co_u32 v4, vcc_lo, v4, s4
	v_add_co_ci_u32_e64 v5, null, 0, v5, vcc_lo
	;; [unrolled: 2-line block ×3, first 2 shown]
	s_and_b32 vcc_lo, exec_lo, s1
	s_waitcnt vmcnt(10)
	v_add_f64 v[18:19], v[18:19], -v[52:53]
	s_waitcnt vmcnt(9)
	v_mul_f64 v[20:21], v[58:59], v[20:21]
	ds_bpermute_b32 v52, v35, v8
	ds_bpermute_b32 v53, v35, v9
	v_add_f64 v[12:13], v[12:13], v[58:59]
	ds_bpermute_b32 v58, v39, v10
	ds_bpermute_b32 v59, v39, v11
	s_waitcnt vmcnt(8)
	v_mul_f64 v[18:19], v[42:43], v[18:19]
	s_waitcnt lgkmcnt(2)
	v_fma_f64 v[14:15], v[20:21], v[52:53], v[14:15]
	s_waitcnt vmcnt(7)
	v_add_f64 v[48:49], v[48:49], -v[56:57]
	ds_bpermute_b32 v20, v36, v8
	ds_bpermute_b32 v52, v38, v10
	;; [unrolled: 1-line block ×4, first 2 shown]
	v_add_f64 v[12:13], v[12:13], v[42:43]
	ds_bpermute_b32 v56, v37, v8
	ds_bpermute_b32 v57, v37, v9
	;; [unrolled: 1-line block ×4, first 2 shown]
	s_waitcnt lgkmcnt(4)
	v_fma_f64 v[14:15], v[18:19], v[20:21], v[14:15]
	ds_bpermute_b32 v18, v38, v8
	ds_bpermute_b32 v19, v38, v9
	s_waitcnt vmcnt(6)
	v_add_f64 v[16:17], v[16:17], -v[52:53]
	s_waitcnt vmcnt(5)
	v_mul_f64 v[48:49], v[22:23], v[48:49]
	v_add_f64 v[12:13], v[12:13], v[22:23]
	ds_bpermute_b32 v22, v39, v8
	ds_bpermute_b32 v23, v39, v9
	;; [unrolled: 1-line block ×4, first 2 shown]
	s_waitcnt vmcnt(4)
	v_add_f64 v[20:21], v[54:55], -v[58:59]
	s_waitcnt vmcnt(3)
	v_mul_f64 v[16:17], v[24:25], v[16:17]
	s_waitcnt lgkmcnt(8)
	v_fma_f64 v[14:15], v[48:49], v[56:57], v[14:15]
	v_add_f64 v[12:13], v[12:13], v[24:25]
	s_waitcnt vmcnt(2) lgkmcnt(6)
	v_add_f64 v[10:11], v[44:45], -v[10:11]
	s_waitcnt vmcnt(1)
	v_mul_f64 v[20:21], v[50:51], v[20:21]
	s_waitcnt lgkmcnt(4)
	v_fma_f64 v[14:15], v[16:17], v[18:19], v[14:15]
	v_add_f64 v[12:13], v[12:13], v[50:51]
	s_waitcnt vmcnt(0)
	v_mul_f64 v[10:11], v[46:47], v[10:11]
	s_waitcnt lgkmcnt(2)
	v_fma_f64 v[14:15], v[20:21], v[22:23], v[14:15]
	v_add_f64 v[12:13], v[12:13], v[46:47]
	s_waitcnt lgkmcnt(0)
	v_fma_f64 v[14:15], v[10:11], v[8:9], v[14:15]
	s_cbranch_vccz .LBB35_10
.LBB35_7:                               ; =>This Inner Loop Header: Depth=1
	v_mov_b32_e32 v8, 0
	v_mov_b32_e32 v10, 0
	;; [unrolled: 1-line block ×4, first 2 shown]
	s_and_saveexec_b32 s1, s0
	s_cbranch_execz .LBB35_6
; %bb.8:                                ;   in Loop: Header=BB35_7 Depth=1
	v_mov_b32_e32 v10, 0
	v_mov_b32_e32 v8, 0
	v_mov_b32_e32 v11, 0
	v_mov_b32_e32 v9, 0
	s_mov_b32 s5, exec_lo
	v_cmpx_gt_i64_e64 s[20:21], v[4:5]
	s_cbranch_execz .LBB35_5
; %bb.9:                                ;   in Loop: Header=BB35_7 Depth=1
	v_add_co_u32 v8, vcc_lo, s12, v6
	v_add_co_ci_u32_e64 v9, null, s13, v7, vcc_lo
	v_add_co_u32 v16, vcc_lo, s14, v6
	v_add_co_ci_u32_e64 v17, null, s15, v7, vcc_lo
	global_load_dwordx2 v[10:11], v[8:9], off
	global_load_dwordx2 v[8:9], v[16:17], off
	s_branch .LBB35_5
.LBB35_10:
	v_mad_u32_u24 v2, 0x41, v1, v0
	s_mov_b32 s0, exec_lo
	v_lshl_add_u32 v3, v2, 3, 0
	v_sub_nc_u32_e32 v7, v2, v1
	ds_write_b64 v3, v[14:15]
	ds_write_b64 v3, v[12:13] offset:8320
	s_waitcnt lgkmcnt(0)
	s_barrier
	buffer_gl0_inv
	v_cmpx_gt_u32_e32 0x800, v7
	s_cbranch_execz .LBB35_26
; %bb.11:
	v_and_b32_e32 v1, 31, v0
	v_lshrrev_b32_e32 v8, 5, v7
                                        ; implicit-def: $vgpr3_vgpr4
	v_cmp_gt_u32_e64 s0, 16, v1
	v_mul_u32_u24_e32 v9, 0x41, v1
                                        ; implicit-def: $vgpr1_vgpr2
	s_and_saveexec_b32 s1, s0
	s_cbranch_execz .LBB35_13
; %bb.12:
	v_add_nc_u32_e32 v1, v8, v9
	v_lshl_add_u32 v1, v1, 3, 0
	ds_read_b64 v[3:4], v1
	ds_read_b64 v[1:2], v1 offset:8320
.LBB35_13:
	s_or_b32 exec_lo, exec_lo, s1
	v_mbcnt_lo_u32_b32 v15, -1, 0
	s_mov_b32 s7, 0
	v_cmp_eq_u32_e64 s1, 0, v0
	s_lshl_b64 s[2:3], s[6:7], 6
	s_cmp_lg_u64 s[16:17], 0
	v_xor_b32_e32 v5, 8, v15
	s_cselect_b32 s5, -1, 0
	s_cmp_lg_u64 s[18:19], 0
	s_cselect_b32 s4, -1, 0
	v_cmp_gt_i32_e32 vcc_lo, 32, v5
	v_cndmask_b32_e32 v5, v15, v5, vcc_lo
	v_lshlrev_b32_e32 v10, 2, v5
	s_waitcnt lgkmcnt(1)
	ds_bpermute_b32 v5, v10, v3
	ds_bpermute_b32 v6, v10, v4
	s_waitcnt lgkmcnt(2)
	ds_bpermute_b32 v11, v10, v1
	ds_bpermute_b32 v12, v10, v2
	s_waitcnt lgkmcnt(2)
	v_add_f64 v[3:4], v[3:4], v[5:6]
	v_xor_b32_e32 v5, 4, v15
	s_waitcnt lgkmcnt(0)
	v_add_f64 v[1:2], v[1:2], v[11:12]
	v_cmp_gt_i32_e32 vcc_lo, 32, v5
	v_cndmask_b32_e32 v5, v15, v5, vcc_lo
	v_lshlrev_b32_e32 v11, 2, v5
	ds_bpermute_b32 v5, v11, v3
	ds_bpermute_b32 v6, v11, v4
	ds_bpermute_b32 v12, v11, v1
	ds_bpermute_b32 v13, v11, v2
	s_waitcnt lgkmcnt(2)
	v_add_f64 v[3:4], v[3:4], v[5:6]
	v_xor_b32_e32 v5, 2, v15
	s_waitcnt lgkmcnt(0)
	v_add_f64 v[1:2], v[1:2], v[12:13]
	v_cmp_gt_i32_e32 vcc_lo, 32, v5
	v_cndmask_b32_e32 v5, v15, v5, vcc_lo
	v_lshlrev_b32_e32 v12, 2, v5
	ds_bpermute_b32 v5, v12, v3
	ds_bpermute_b32 v6, v12, v4
	;; [unrolled: 1-line block ×4, first 2 shown]
	s_waitcnt lgkmcnt(2)
	v_add_f64 v[3:4], v[3:4], v[5:6]
	s_waitcnt lgkmcnt(0)
	v_add_f64 v[5:6], v[1:2], v[13:14]
	v_xor_b32_e32 v1, 1, v15
	v_cmp_gt_i32_e32 vcc_lo, 32, v1
	v_cndmask_b32_e32 v1, v15, v1, vcc_lo
	v_lshlrev_b32_e32 v13, 2, v1
	ds_bpermute_b32 v1, v13, v3
	ds_bpermute_b32 v2, v13, v4
	;; [unrolled: 1-line block ×4, first 2 shown]
	s_waitcnt lgkmcnt(2)
	v_add_f64 v[1:2], v[3:4], v[1:2]
	s_waitcnt lgkmcnt(0)
	v_add_f64 v[3:4], v[5:6], v[14:15]
	s_and_saveexec_b32 s6, s1
	s_cbranch_execz .LBB35_18
; %bb.14:
	v_mov_b32_e32 v6, s3
	v_or_b32_e32 v5, s2, v8
	s_andn2_b32 vcc_lo, exec_lo, s5
	v_lshlrev_b64 v[5:6], 3, v[5:6]
	s_cbranch_vccnz .LBB35_16
; %bb.15:
	v_add_co_u32 v14, vcc_lo, s16, v5
	v_add_co_ci_u32_e64 v15, null, s17, v6, vcc_lo
	global_store_dwordx2 v[14:15], v[1:2], off
.LBB35_16:
	s_andn2_b32 vcc_lo, exec_lo, s4
	s_cbranch_vccnz .LBB35_18
; %bb.17:
	v_add_co_u32 v5, vcc_lo, s18, v5
	v_add_co_ci_u32_e64 v6, null, s19, v6, vcc_lo
	global_store_dwordx2 v[5:6], v[3:4], off
.LBB35_18:
	s_or_b32 exec_lo, exec_lo, s6
	v_cmp_gt_u32_e32 vcc_lo, 0x400, v7
	s_and_b32 exec_lo, exec_lo, vcc_lo
	s_cbranch_execz .LBB35_26
; %bb.19:
	s_and_saveexec_b32 s6, s0
	s_cbranch_execz .LBB35_21
; %bb.20:
	v_add_nc_u32_e32 v0, v8, v9
	v_lshl_add_u32 v0, v0, 3, 0
	ds_read_b64 v[1:2], v0 offset:256
	ds_read_b64 v[3:4], v0 offset:8576
.LBB35_21:
	s_or_b32 exec_lo, exec_lo, s6
	s_waitcnt lgkmcnt(1)
	ds_bpermute_b32 v5, v10, v1
	ds_bpermute_b32 v6, v10, v2
	s_waitcnt lgkmcnt(2)
	ds_bpermute_b32 v9, v10, v3
	ds_bpermute_b32 v10, v10, v4
	s_waitcnt lgkmcnt(2)
	v_add_f64 v[0:1], v[1:2], v[5:6]
	s_waitcnt lgkmcnt(0)
	v_add_f64 v[2:3], v[3:4], v[9:10]
	ds_bpermute_b32 v4, v11, v0
	ds_bpermute_b32 v5, v11, v1
	ds_bpermute_b32 v6, v11, v2
	ds_bpermute_b32 v7, v11, v3
	s_waitcnt lgkmcnt(2)
	v_add_f64 v[0:1], v[0:1], v[4:5]
	s_waitcnt lgkmcnt(0)
	v_add_f64 v[2:3], v[2:3], v[6:7]
	ds_bpermute_b32 v4, v12, v0
	ds_bpermute_b32 v5, v12, v1
	ds_bpermute_b32 v6, v12, v2
	ds_bpermute_b32 v7, v12, v3
	s_waitcnt lgkmcnt(2)
	v_add_f64 v[4:5], v[0:1], v[4:5]
	s_waitcnt lgkmcnt(0)
	v_add_f64 v[0:1], v[2:3], v[6:7]
	ds_bpermute_b32 v6, v13, v4
	ds_bpermute_b32 v7, v13, v5
	ds_bpermute_b32 v2, v13, v0
	ds_bpermute_b32 v3, v13, v1
	s_and_b32 exec_lo, exec_lo, s1
	s_cbranch_execz .LBB35_26
; %bb.22:
	s_andn2_b32 vcc_lo, exec_lo, s5
	s_cbranch_vccnz .LBB35_24
; %bb.23:
	s_waitcnt lgkmcnt(2)
	v_add_f64 v[4:5], v[4:5], v[6:7]
	v_add_co_u32 v6, s0, s2, v8
	v_add_co_ci_u32_e64 v7, null, s3, 0, s0
	v_lshlrev_b64 v[6:7], 3, v[6:7]
	v_add_co_u32 v6, vcc_lo, s16, v6
	v_add_co_ci_u32_e64 v7, null, s17, v7, vcc_lo
	global_store_dwordx2 v[6:7], v[4:5], off offset:256
.LBB35_24:
	s_andn2_b32 vcc_lo, exec_lo, s4
	s_cbranch_vccnz .LBB35_26
; %bb.25:
	s_waitcnt lgkmcnt(0)
	v_add_f64 v[0:1], v[0:1], v[2:3]
	v_add_co_u32 v2, s0, s2, v8
	v_add_co_ci_u32_e64 v3, null, s3, 0, s0
	v_lshlrev_b64 v[2:3], 3, v[2:3]
	v_add_co_u32 v2, vcc_lo, s18, v2
	v_add_co_ci_u32_e64 v3, null, s19, v3, vcc_lo
	global_store_dwordx2 v[2:3], v[0:1], off offset:256
.LBB35_26:
	s_endpgm
	.section	.rodata,"a",@progbits
	.p2align	6, 0x0
	.amdhsa_kernel _ZN2at6native12_GLOBAL__N_135GammaBetaBackwardCUDAKernelTemplateIddLj64ELj16ELj256ELb0ELb1ELb0EEEvllPKT_S5_PKT0_S8_PS3_S9_
		.amdhsa_group_segment_fixed_size 0
		.amdhsa_private_segment_fixed_size 0
		.amdhsa_kernarg_size 320
		.amdhsa_user_sgpr_count 6
		.amdhsa_user_sgpr_private_segment_buffer 1
		.amdhsa_user_sgpr_dispatch_ptr 0
		.amdhsa_user_sgpr_queue_ptr 0
		.amdhsa_user_sgpr_kernarg_segment_ptr 1
		.amdhsa_user_sgpr_dispatch_id 0
		.amdhsa_user_sgpr_flat_scratch_init 0
		.amdhsa_user_sgpr_private_segment_size 0
		.amdhsa_wavefront_size32 1
		.amdhsa_uses_dynamic_stack 0
		.amdhsa_system_sgpr_private_segment_wavefront_offset 0
		.amdhsa_system_sgpr_workgroup_id_x 1
		.amdhsa_system_sgpr_workgroup_id_y 1
		.amdhsa_system_sgpr_workgroup_id_z 0
		.amdhsa_system_sgpr_workgroup_info 0
		.amdhsa_system_vgpr_workitem_id 1
		.amdhsa_next_free_vgpr 60
		.amdhsa_next_free_sgpr 28
		.amdhsa_reserve_vcc 1
		.amdhsa_reserve_flat_scratch 0
		.amdhsa_float_round_mode_32 0
		.amdhsa_float_round_mode_16_64 0
		.amdhsa_float_denorm_mode_32 3
		.amdhsa_float_denorm_mode_16_64 3
		.amdhsa_dx10_clamp 1
		.amdhsa_ieee_mode 1
		.amdhsa_fp16_overflow 0
		.amdhsa_workgroup_processor_mode 1
		.amdhsa_memory_ordered 1
		.amdhsa_forward_progress 1
		.amdhsa_shared_vgpr_count 0
		.amdhsa_exception_fp_ieee_invalid_op 0
		.amdhsa_exception_fp_denorm_src 0
		.amdhsa_exception_fp_ieee_div_zero 0
		.amdhsa_exception_fp_ieee_overflow 0
		.amdhsa_exception_fp_ieee_underflow 0
		.amdhsa_exception_fp_ieee_inexact 0
		.amdhsa_exception_int_div_zero 0
	.end_amdhsa_kernel
	.section	.text._ZN2at6native12_GLOBAL__N_135GammaBetaBackwardCUDAKernelTemplateIddLj64ELj16ELj256ELb0ELb1ELb0EEEvllPKT_S5_PKT0_S8_PS3_S9_,"axG",@progbits,_ZN2at6native12_GLOBAL__N_135GammaBetaBackwardCUDAKernelTemplateIddLj64ELj16ELj256ELb0ELb1ELb0EEEvllPKT_S5_PKT0_S8_PS3_S9_,comdat
.Lfunc_end35:
	.size	_ZN2at6native12_GLOBAL__N_135GammaBetaBackwardCUDAKernelTemplateIddLj64ELj16ELj256ELb0ELb1ELb0EEEvllPKT_S5_PKT0_S8_PS3_S9_, .Lfunc_end35-_ZN2at6native12_GLOBAL__N_135GammaBetaBackwardCUDAKernelTemplateIddLj64ELj16ELj256ELb0ELb1ELb0EEEvllPKT_S5_PKT0_S8_PS3_S9_
                                        ; -- End function
	.set _ZN2at6native12_GLOBAL__N_135GammaBetaBackwardCUDAKernelTemplateIddLj64ELj16ELj256ELb0ELb1ELb0EEEvllPKT_S5_PKT0_S8_PS3_S9_.num_vgpr, 60
	.set _ZN2at6native12_GLOBAL__N_135GammaBetaBackwardCUDAKernelTemplateIddLj64ELj16ELj256ELb0ELb1ELb0EEEvllPKT_S5_PKT0_S8_PS3_S9_.num_agpr, 0
	.set _ZN2at6native12_GLOBAL__N_135GammaBetaBackwardCUDAKernelTemplateIddLj64ELj16ELj256ELb0ELb1ELb0EEEvllPKT_S5_PKT0_S8_PS3_S9_.numbered_sgpr, 28
	.set _ZN2at6native12_GLOBAL__N_135GammaBetaBackwardCUDAKernelTemplateIddLj64ELj16ELj256ELb0ELb1ELb0EEEvllPKT_S5_PKT0_S8_PS3_S9_.num_named_barrier, 0
	.set _ZN2at6native12_GLOBAL__N_135GammaBetaBackwardCUDAKernelTemplateIddLj64ELj16ELj256ELb0ELb1ELb0EEEvllPKT_S5_PKT0_S8_PS3_S9_.private_seg_size, 0
	.set _ZN2at6native12_GLOBAL__N_135GammaBetaBackwardCUDAKernelTemplateIddLj64ELj16ELj256ELb0ELb1ELb0EEEvllPKT_S5_PKT0_S8_PS3_S9_.uses_vcc, 1
	.set _ZN2at6native12_GLOBAL__N_135GammaBetaBackwardCUDAKernelTemplateIddLj64ELj16ELj256ELb0ELb1ELb0EEEvllPKT_S5_PKT0_S8_PS3_S9_.uses_flat_scratch, 0
	.set _ZN2at6native12_GLOBAL__N_135GammaBetaBackwardCUDAKernelTemplateIddLj64ELj16ELj256ELb0ELb1ELb0EEEvllPKT_S5_PKT0_S8_PS3_S9_.has_dyn_sized_stack, 0
	.set _ZN2at6native12_GLOBAL__N_135GammaBetaBackwardCUDAKernelTemplateIddLj64ELj16ELj256ELb0ELb1ELb0EEEvllPKT_S5_PKT0_S8_PS3_S9_.has_recursion, 0
	.set _ZN2at6native12_GLOBAL__N_135GammaBetaBackwardCUDAKernelTemplateIddLj64ELj16ELj256ELb0ELb1ELb0EEEvllPKT_S5_PKT0_S8_PS3_S9_.has_indirect_call, 0
	.section	.AMDGPU.csdata,"",@progbits
; Kernel info:
; codeLenInByte = 3528
; TotalNumSgprs: 30
; NumVgprs: 60
; ScratchSize: 0
; MemoryBound: 0
; FloatMode: 240
; IeeeMode: 1
; LDSByteSize: 0 bytes/workgroup (compile time only)
; SGPRBlocks: 0
; VGPRBlocks: 7
; NumSGPRsForWavesPerEU: 30
; NumVGPRsForWavesPerEU: 60
; Occupancy: 16
; WaveLimiterHint : 0
; COMPUTE_PGM_RSRC2:SCRATCH_EN: 0
; COMPUTE_PGM_RSRC2:USER_SGPR: 6
; COMPUTE_PGM_RSRC2:TRAP_HANDLER: 0
; COMPUTE_PGM_RSRC2:TGID_X_EN: 1
; COMPUTE_PGM_RSRC2:TGID_Y_EN: 1
; COMPUTE_PGM_RSRC2:TGID_Z_EN: 0
; COMPUTE_PGM_RSRC2:TIDIG_COMP_CNT: 1
	.section	.text._ZN2at6native12_GLOBAL__N_135GammaBetaBackwardCUDAKernelTemplateIddLj64ELj16ELj256ELb0ELb0ELb0EEEvllPKT_S5_PKT0_S8_PS3_S9_,"axG",@progbits,_ZN2at6native12_GLOBAL__N_135GammaBetaBackwardCUDAKernelTemplateIddLj64ELj16ELj256ELb0ELb0ELb0EEEvllPKT_S5_PKT0_S8_PS3_S9_,comdat
	.globl	_ZN2at6native12_GLOBAL__N_135GammaBetaBackwardCUDAKernelTemplateIddLj64ELj16ELj256ELb0ELb0ELb0EEEvllPKT_S5_PKT0_S8_PS3_S9_ ; -- Begin function _ZN2at6native12_GLOBAL__N_135GammaBetaBackwardCUDAKernelTemplateIddLj64ELj16ELj256ELb0ELb0ELb0EEEvllPKT_S5_PKT0_S8_PS3_S9_
	.p2align	8
	.type	_ZN2at6native12_GLOBAL__N_135GammaBetaBackwardCUDAKernelTemplateIddLj64ELj16ELj256ELb0ELb0ELb0EEEvllPKT_S5_PKT0_S8_PS3_S9_,@function
_ZN2at6native12_GLOBAL__N_135GammaBetaBackwardCUDAKernelTemplateIddLj64ELj16ELj256ELb0ELb0ELb0EEEvllPKT_S5_PKT0_S8_PS3_S9_: ; @_ZN2at6native12_GLOBAL__N_135GammaBetaBackwardCUDAKernelTemplateIddLj64ELj16ELj256ELb0ELb0ELb0EEEvllPKT_S5_PKT0_S8_PS3_S9_
; %bb.0:
	s_mov_b64 s[38:39], s[2:3]
	s_mov_b64 s[36:37], s[0:1]
	s_mov_b32 s3, 0
	s_add_u32 s36, s36, s8
	s_addc_u32 s37, s37, 0
	s_lshl_b32 s28, s6, 6
	buffer_store_dword v1, off, s[36:39], 0 offset:60 ; 4-byte Folded Spill
	s_clause 0x1
	s_load_dwordx8 s[8:15], s[4:5], 0x0
	s_load_dwordx4 s[16:19], s[4:5], 0x20
	s_or_b32 s2, s28, 63
	v_mov_b32_e32 v35, v0
	s_waitcnt lgkmcnt(0)
	v_cmp_le_i64_e64 s0, s[10:11], s[2:3]
	s_lshl_b32 s2, s7, 8
	v_cmp_gt_i64_e64 s7, s[8:9], s[2:3]
	s_and_b32 vcc_lo, exec_lo, s0
	v_cndmask_b32_e64 v0, 0, 1, s7
	v_cmp_ne_u32_e64 s0, 1, v0
	s_cbranch_vccz .LBB36_80
; %bb.1:
	v_mov_b32_e32 v37, 0
	v_mov_b32_e32 v0, 0
	;; [unrolled: 1-line block ×4, first 2 shown]
	s_and_b32 vcc_lo, exec_lo, s0
	buffer_store_dword v0, off, s[36:39], 0 ; 4-byte Folded Spill
	buffer_store_dword v1, off, s[36:39], 0 offset:4 ; 4-byte Folded Spill
	s_cbranch_vccnz .LBB36_82
; %bb.2:
	buffer_load_dword v0, off, s[36:39], 0 offset:60 ; 4-byte Folded Reload
	v_mov_b32_e32 v2, 0
	v_add_nc_u32_e32 v5, s28, v35
	s_load_dword s1, s[4:5], 0x44
	s_add_u32 s20, s4, 64
	s_addc_u32 s21, s5, 0
	v_mov_b32_e32 v6, v2
	buffer_store_dword v35, off, s[36:39], 0 offset:276 ; 4-byte Folded Spill
	s_mov_b64 s[26:27], s[2:3]
	v_lshlrev_b64 v[39:40], 3, v[5:6]
	s_waitcnt lgkmcnt(0)
	s_lshl_b32 s29, s1, 8
	s_mul_i32 s1, s11, s29
	s_mul_hi_u32 s22, s10, s29
	s_add_i32 s23, s22, s1
	s_mul_i32 s22, s10, s29
	s_lshl_b64 s[22:23], s[22:23], 3
	s_add_u32 s24, s2, 0xff
	s_addc_u32 s25, 0, 0
	s_waitcnt vmcnt(0)
	v_lshlrev_b32_e32 v0, 4, v0
	v_add_co_u32 v3, s0, v0, s2
	v_add_co_ci_u32_e64 v4, null, 0, 0, s0
	buffer_store_dword v0, off, s[36:39], 0 offset:72 ; 4-byte Folded Spill
	v_mul_lo_u32 v7, s11, v3
	v_mad_u64_u32 v[0:1], null, s10, v3, 0
	v_mul_lo_u32 v8, s10, v4
	v_add_co_u32 v9, vcc_lo, v3, 15
	v_add_co_ci_u32_e64 v10, null, 0, v4, vcc_lo
	v_cmp_gt_i64_e64 s0, s[10:11], v[5:6]
	v_mul_lo_u32 v11, s11, v9
	v_add3_u32 v1, v1, v8, v7
	v_mul_lo_u32 v10, s10, v10
	v_mad_u64_u32 v[7:8], null, s10, v9, 0
	v_add_co_u32 v9, vcc_lo, v3, 14
	v_lshlrev_b64 v[5:6], 3, v[0:1]
	v_add3_u32 v8, v8, v10, v11
	v_add_co_ci_u32_e64 v10, null, 0, v4, vcc_lo
	v_add_co_u32 v11, vcc_lo, s12, v5
	v_lshlrev_b64 v[7:8], 3, v[7:8]
	v_mul_lo_u32 v12, s10, v10
	buffer_store_dword v11, off, s[36:39], 0 offset:16 ; 4-byte Folded Spill
	v_add_co_ci_u32_e64 v11, null, s13, v6, vcc_lo
	v_add_co_u32 v5, vcc_lo, s14, v5
	buffer_store_dword v11, off, s[36:39], 0 offset:20 ; 4-byte Folded Spill
	v_mul_lo_u32 v11, s11, v9
	buffer_store_dword v5, off, s[36:39], 0 offset:24 ; 4-byte Folded Spill
	v_add_co_ci_u32_e64 v5, null, s15, v6, vcc_lo
	v_mad_u64_u32 v[9:10], null, s10, v9, 0
	buffer_store_dword v5, off, s[36:39], 0 offset:28 ; 4-byte Folded Spill
	v_add_co_u32 v5, vcc_lo, s12, v7
	v_add3_u32 v10, v10, v12, v11
	buffer_store_dword v5, off, s[36:39], 0 offset:32 ; 4-byte Folded Spill
	v_add_co_ci_u32_e64 v5, null, s13, v8, vcc_lo
	v_add_co_u32 v11, vcc_lo, v3, 13
	buffer_store_dword v5, off, s[36:39], 0 offset:36 ; 4-byte Folded Spill
	v_add_co_u32 v5, s1, s14, v7
	v_add_co_ci_u32_e64 v7, null, 0, v4, vcc_lo
	v_mul_lo_u32 v12, s11, v11
	buffer_store_dword v5, off, s[36:39], 0 offset:40 ; 4-byte Folded Spill
	v_add_co_ci_u32_e64 v5, null, s15, v8, s1
	v_mul_lo_u32 v13, s10, v7
	v_mad_u64_u32 v[7:8], null, s10, v11, 0
	buffer_store_dword v5, off, s[36:39], 0 offset:44 ; 4-byte Folded Spill
	v_lshlrev_b64 v[5:6], 3, v[9:10]
	v_add_co_u32 v9, vcc_lo, v3, 12
	v_add_co_ci_u32_e64 v10, null, 0, v4, vcc_lo
	v_add3_u32 v8, v8, v13, v12
	v_mul_lo_u32 v11, s11, v9
	v_add_co_u32 v15, vcc_lo, s12, v5
	v_mul_lo_u32 v14, s10, v10
	v_mad_u64_u32 v[9:10], null, s10, v9, 0
	buffer_store_dword v15, off, s[36:39], 0 offset:48 ; 4-byte Folded Spill
	v_add_co_ci_u32_e64 v15, null, s13, v6, vcc_lo
	v_add_co_u32 v5, vcc_lo, s14, v5
	v_add_co_ci_u32_e64 v85, null, s15, v6, vcc_lo
	v_add3_u32 v10, v10, v14, v11
	v_add_co_u32 v11, vcc_lo, v3, 11
	v_add_co_ci_u32_e64 v12, null, 0, v4, vcc_lo
	buffer_store_dword v5, off, s[36:39], 0 offset:56 ; 4-byte Folded Spill
	v_lshlrev_b64 v[5:6], 3, v[7:8]
	v_lshlrev_b64 v[7:8], 3, v[9:10]
	v_mul_lo_u32 v13, s11, v11
	v_mul_lo_u32 v12, s10, v12
	v_mad_u64_u32 v[9:10], null, s10, v11, 0
	v_add_co_u32 v86, vcc_lo, s12, v5
	v_add_co_ci_u32_e64 v87, null, s13, v6, vcc_lo
	v_add_co_u32 v88, vcc_lo, s14, v5
	v_add3_u32 v10, v10, v12, v13
	v_add_co_ci_u32_e64 v89, null, s15, v6, vcc_lo
	v_add_co_u32 v90, vcc_lo, s12, v7
	v_add_co_ci_u32_e64 v91, null, s13, v8, vcc_lo
	v_add_co_u32 v11, vcc_lo, v3, 10
	v_add_co_u32 v92, s1, s14, v7
	v_lshlrev_b64 v[5:6], 3, v[9:10]
	v_add_co_ci_u32_e64 v7, null, 0, v4, vcc_lo
	v_add_co_u32 v9, vcc_lo, v3, 9
	v_add_co_ci_u32_e64 v10, null, 0, v4, vcc_lo
	v_add_co_ci_u32_e64 v93, null, s15, v8, s1
	v_mul_lo_u32 v12, s11, v11
	v_mul_lo_u32 v13, s10, v7
	v_mad_u64_u32 v[7:8], null, s10, v11, 0
	v_mul_lo_u32 v11, s11, v9
	v_mul_lo_u32 v14, s10, v10
	v_mad_u64_u32 v[9:10], null, s10, v9, 0
	v_add_co_u32 v94, vcc_lo, s12, v5
	v_add_co_ci_u32_e64 v95, null, s13, v6, vcc_lo
	v_add_co_u32 v96, vcc_lo, s14, v5
	v_add3_u32 v8, v8, v13, v12
	v_add_co_ci_u32_e64 v97, null, s15, v6, vcc_lo
	v_add3_u32 v10, v10, v14, v11
	v_add_co_u32 v11, vcc_lo, v3, 8
	v_add_co_ci_u32_e64 v12, null, 0, v4, vcc_lo
	v_lshlrev_b64 v[5:6], 3, v[7:8]
	v_lshlrev_b64 v[7:8], 3, v[9:10]
	v_mul_lo_u32 v13, s11, v11
	v_mul_lo_u32 v12, s10, v12
	v_mad_u64_u32 v[9:10], null, s10, v11, 0
	v_add_co_u32 v98, vcc_lo, s12, v5
	v_add_co_ci_u32_e64 v99, null, s13, v6, vcc_lo
	v_add_co_u32 v100, vcc_lo, s14, v5
	v_add_co_ci_u32_e64 v101, null, s15, v6, vcc_lo
	v_add_co_u32 v102, vcc_lo, s12, v7
	v_add3_u32 v10, v10, v12, v13
	v_add_co_ci_u32_e64 v103, null, s13, v8, vcc_lo
	v_add_co_u32 v11, vcc_lo, v3, 7
	v_add_co_u32 v104, s1, s14, v7
	v_add_co_ci_u32_e64 v7, null, 0, v4, vcc_lo
	v_lshlrev_b64 v[5:6], 3, v[9:10]
	v_add_co_u32 v9, vcc_lo, v3, 6
	v_add_co_ci_u32_e64 v10, null, 0, v4, vcc_lo
	v_add_co_ci_u32_e64 v105, null, s15, v8, s1
	v_mul_lo_u32 v12, s11, v11
	v_mul_lo_u32 v13, s10, v7
	v_mad_u64_u32 v[7:8], null, s10, v11, 0
	v_mul_lo_u32 v11, s11, v9
	v_mul_lo_u32 v14, s10, v10
	v_mad_u64_u32 v[9:10], null, s10, v9, 0
	v_add_co_u32 v106, vcc_lo, s12, v5
	v_add3_u32 v8, v8, v13, v12
	v_add_co_ci_u32_e64 v107, null, s13, v6, vcc_lo
	v_add_co_u32 v108, vcc_lo, s14, v5
	v_add_co_ci_u32_e64 v109, null, s15, v6, vcc_lo
	v_add3_u32 v10, v10, v14, v11
	v_add_co_u32 v11, vcc_lo, v3, 5
	v_lshlrev_b64 v[5:6], 3, v[7:8]
	v_add_co_ci_u32_e64 v12, null, 0, v4, vcc_lo
	v_lshlrev_b64 v[7:8], 3, v[9:10]
	v_mul_lo_u32 v13, s11, v11
	v_mad_u64_u32 v[9:10], null, s10, v11, 0
	v_add_co_u32 v110, vcc_lo, s12, v5
	v_mul_lo_u32 v12, s10, v12
	v_add_co_ci_u32_e64 v111, null, s13, v6, vcc_lo
	v_add_co_u32 v112, vcc_lo, s14, v5
	v_add_co_ci_u32_e64 v113, null, s15, v6, vcc_lo
	v_add_co_u32 v114, vcc_lo, s12, v7
	;; [unrolled: 2-line block ×3, first 2 shown]
	v_add3_u32 v10, v10, v12, v13
	v_add_co_u32 v116, s1, s14, v7
	v_add_co_ci_u32_e64 v7, null, 0, v4, vcc_lo
	v_add_co_ci_u32_e64 v117, null, s15, v8, s1
	v_lshlrev_b64 v[5:6], 3, v[9:10]
	v_mul_lo_u32 v12, s11, v11
	v_add_co_u32 v9, vcc_lo, v3, 3
	v_mul_lo_u32 v13, s10, v7
	v_mad_u64_u32 v[7:8], null, s10, v11, 0
	v_add_co_ci_u32_e64 v10, null, 0, v4, vcc_lo
	v_mul_lo_u32 v11, s11, v9
	v_add_co_u32 v118, vcc_lo, s12, v5
	v_mul_lo_u32 v14, s10, v10
	v_mad_u64_u32 v[9:10], null, s10, v9, 0
	v_add3_u32 v8, v8, v13, v12
	v_add_co_ci_u32_e64 v119, null, s13, v6, vcc_lo
	v_add_co_u32 v120, vcc_lo, s14, v5
	v_add_co_ci_u32_e64 v121, null, s15, v6, vcc_lo
	v_lshlrev_b64 v[5:6], 3, v[7:8]
	v_add_co_u32 v7, vcc_lo, v3, 2
	v_add3_u32 v10, v10, v14, v11
	v_add_co_ci_u32_e64 v8, null, 0, v4, vcc_lo
	v_add_co_u32 v122, vcc_lo, s12, v5
	v_lshlrev_b64 v[3:4], 3, v[9:10]
	v_mul_lo_u32 v9, s11, v7
	v_mul_lo_u32 v10, s10, v8
	v_mad_u64_u32 v[7:8], null, s10, v7, 0
	v_add_co_ci_u32_e64 v123, null, s13, v6, vcc_lo
	v_add_co_u32 v124, vcc_lo, s14, v5
	v_add_co_ci_u32_e64 v125, null, s15, v6, vcc_lo
	v_add3_u32 v8, v8, v10, v9
	v_add_co_u32 v126, vcc_lo, s12, v3
	v_add_co_ci_u32_e64 v127, null, s13, v4, vcc_lo
	v_add_co_u32 v73, vcc_lo, s14, v3
	v_add_co_ci_u32_e64 v47, null, s15, v4, vcc_lo
	v_lshlrev_b64 v[3:4], 3, v[7:8]
	v_add_co_u32 v0, vcc_lo, v0, s10
	v_add_co_ci_u32_e64 v1, null, s11, v1, vcc_lo
	buffer_store_dword v15, off, s[36:39], 0 offset:52 ; 4-byte Folded Spill
	v_add_co_u32 v48, vcc_lo, s12, v3
	v_add_co_ci_u32_e64 v74, null, s13, v4, vcc_lo
	v_lshlrev_b64 v[0:1], 3, v[0:1]
	v_add_co_u32 v75, vcc_lo, s14, v3
	v_add_co_ci_u32_e64 v76, null, s15, v4, vcc_lo
	v_mov_b32_e32 v3, 0
	v_mov_b32_e32 v4, 0
	v_add_co_u32 v77, vcc_lo, s12, v0
	v_add_co_ci_u32_e64 v78, null, s13, v1, vcc_lo
	buffer_store_dword v3, off, s[36:39], 0 ; 4-byte Folded Spill
	buffer_store_dword v4, off, s[36:39], 0 offset:4 ; 4-byte Folded Spill
	v_add_co_u32 v79, vcc_lo, s14, v0
	v_mov_b32_e32 v3, 0
	v_mov_b32_e32 v4, 0
	v_add_co_ci_u32_e64 v80, null, s15, v1, vcc_lo
	buffer_store_dword v3, off, s[36:39], 0 offset:8 ; 4-byte Folded Spill
	buffer_store_dword v4, off, s[36:39], 0 offset:12 ; 4-byte Folded Spill
	s_branch .LBB36_5
.LBB36_3:                               ;   in Loop: Header=BB36_5 Depth=1
	s_or_b32 exec_lo, exec_lo, s1
	s_clause 0x1
	buffer_load_dword v83, off, s[36:39], 0
	buffer_load_dword v84, off, s[36:39], 0 offset:4
	s_waitcnt vmcnt(3)
	ds_bpermute_b32 v71, v2, v41
	ds_bpermute_b32 v72, v2, v42
	s_waitcnt vmcnt(2) lgkmcnt(0)
	v_add_f64 v[71:72], v[81:82], -v[71:72]
	ds_bpermute_b32 v81, v2, v43
	ds_bpermute_b32 v82, v2, v44
	v_mul_f64 v[71:72], v[3:4], v[71:72]
	s_waitcnt vmcnt(0) lgkmcnt(0)
	v_fma_f64 v[71:72], v[71:72], v[81:82], v[83:84]
	ds_bpermute_b32 v81, v2, v41 offset:4
	ds_bpermute_b32 v82, v2, v42 offset:4
	s_waitcnt lgkmcnt(0)
	v_add_f64 v[59:60], v[59:60], -v[81:82]
	ds_bpermute_b32 v81, v2, v43 offset:4
	ds_bpermute_b32 v82, v2, v44 offset:4
	v_mul_f64 v[59:60], v[5:6], v[59:60]
	s_waitcnt lgkmcnt(0)
	v_fma_f64 v[59:60], v[59:60], v[81:82], v[71:72]
	ds_bpermute_b32 v71, v2, v41 offset:8
	ds_bpermute_b32 v72, v2, v42 offset:8
	s_waitcnt lgkmcnt(0)
	v_add_f64 v[49:50], v[49:50], -v[71:72]
	ds_bpermute_b32 v71, v2, v43 offset:8
	ds_bpermute_b32 v72, v2, v44 offset:8
	v_mul_f64 v[49:50], v[7:8], v[49:50]
	s_waitcnt lgkmcnt(0)
	;; [unrolled: 9-line block ×6, first 2 shown]
	v_fma_f64 v[35:36], v[35:36], v[49:50], v[37:38]
	ds_bpermute_b32 v37, v2, v41 offset:28
	ds_bpermute_b32 v38, v2, v42 offset:28
	ds_bpermute_b32 v49, v2, v43 offset:28
	ds_bpermute_b32 v50, v2, v44 offset:28
	s_waitcnt lgkmcnt(2)
	v_add_f64 v[37:38], v[63:64], -v[37:38]
	v_mul_f64 v[37:38], v[17:18], v[37:38]
	s_waitcnt lgkmcnt(0)
	v_fma_f64 v[35:36], v[37:38], v[49:50], v[35:36]
	ds_bpermute_b32 v37, v2, v41 offset:32
	ds_bpermute_b32 v38, v2, v42 offset:32
	ds_bpermute_b32 v49, v2, v43 offset:32
	ds_bpermute_b32 v50, v2, v44 offset:32
	s_waitcnt lgkmcnt(2)
	v_add_f64 v[37:38], v[53:54], -v[37:38]
	v_mul_f64 v[37:38], v[19:20], v[37:38]
	s_waitcnt lgkmcnt(0)
	;; [unrolled: 9-line block ×7, first 2 shown]
	v_fma_f64 v[35:36], v[37:38], v[49:50], v[35:36]
	ds_bpermute_b32 v37, v2, v41 offset:56
	ds_bpermute_b32 v38, v2, v42 offset:56
	s_waitcnt lgkmcnt(0)
	v_add_f64 v[0:1], v[0:1], -v[37:38]
	ds_bpermute_b32 v37, v2, v43 offset:56
	ds_bpermute_b32 v38, v2, v44 offset:56
	v_mul_f64 v[0:1], v[31:32], v[0:1]
	s_waitcnt lgkmcnt(0)
	v_fma_f64 v[0:1], v[0:1], v[37:38], v[35:36]
	ds_bpermute_b32 v37, v2, v41 offset:60
	ds_bpermute_b32 v38, v2, v42 offset:60
	s_clause 0x1
	buffer_load_dword v41, off, s[36:39], 0 offset:8
	buffer_load_dword v42, off, s[36:39], 0 offset:12
	ds_bpermute_b32 v35, v2, v43 offset:60
	ds_bpermute_b32 v36, v2, v44 offset:60
	s_waitcnt vmcnt(0)
	v_add_f64 v[3:4], v[41:42], v[3:4]
	v_add_f64 v[3:4], v[5:6], v[3:4]
	;; [unrolled: 1-line block ×15, first 2 shown]
.LBB36_4:                               ;   in Loop: Header=BB36_5 Depth=1
	v_add_f64 v[3:4], v[3:4], v[33:34]
	s_waitcnt lgkmcnt(2)
	v_add_f64 v[5:6], v[45:46], -v[37:38]
	s_add_u32 s26, s26, s29
	s_addc_u32 s27, s27, 0
	s_add_u32 s24, s24, s29
	v_cmp_lt_i64_e64 s1, s[26:27], s[8:9]
	s_addc_u32 s25, s25, 0
	buffer_store_dword v3, off, s[36:39], 0 offset:8 ; 4-byte Folded Spill
	buffer_store_dword v4, off, s[36:39], 0 offset:12 ; 4-byte Folded Spill
	buffer_load_dword v3, off, s[36:39], 0 offset:16 ; 4-byte Folded Reload
	s_waitcnt vmcnt(0)
	v_add_co_u32 v3, vcc_lo, v3, s22
	buffer_store_dword v3, off, s[36:39], 0 offset:16 ; 4-byte Folded Spill
	buffer_load_dword v3, off, s[36:39], 0 offset:20 ; 4-byte Folded Reload
	s_waitcnt vmcnt(0)
	v_add_co_ci_u32_e64 v3, null, s23, v3, vcc_lo
	buffer_store_dword v3, off, s[36:39], 0 offset:20 ; 4-byte Folded Spill
	buffer_load_dword v3, off, s[36:39], 0 offset:24 ; 4-byte Folded Reload
	s_waitcnt vmcnt(0)
	v_add_co_u32 v3, vcc_lo, v3, s22
	buffer_store_dword v3, off, s[36:39], 0 offset:24 ; 4-byte Folded Spill
	buffer_load_dword v3, off, s[36:39], 0 offset:28 ; 4-byte Folded Reload
	s_waitcnt vmcnt(0)
	v_add_co_ci_u32_e64 v3, null, s23, v3, vcc_lo
	;; [unrolled: 8-line block ×4, first 2 shown]
	buffer_store_dword v3, off, s[36:39], 0 offset:44 ; 4-byte Folded Spill
	v_mul_f64 v[3:4], v[33:34], v[5:6]
	buffer_load_dword v5, off, s[36:39], 0 offset:48 ; 4-byte Folded Reload
	s_waitcnt lgkmcnt(0)
	v_fma_f64 v[0:1], v[3:4], v[35:36], v[0:1]
	s_waitcnt vmcnt(0)
	v_add_co_u32 v5, vcc_lo, v5, s22
	buffer_store_dword v5, off, s[36:39], 0 offset:48 ; 4-byte Folded Spill
	buffer_load_dword v5, off, s[36:39], 0 offset:52 ; 4-byte Folded Reload
	s_waitcnt vmcnt(0)
	v_add_co_ci_u32_e64 v5, null, s23, v5, vcc_lo
	buffer_store_dword v5, off, s[36:39], 0 offset:52 ; 4-byte Folded Spill
	buffer_load_dword v5, off, s[36:39], 0 offset:56 ; 4-byte Folded Reload
	s_waitcnt vmcnt(0)
	v_add_co_u32 v5, vcc_lo, v5, s22
	v_add_co_ci_u32_e64 v85, null, s23, v85, vcc_lo
	v_add_co_u32 v86, vcc_lo, v86, s22
	v_add_co_ci_u32_e64 v87, null, s23, v87, vcc_lo
	;; [unrolled: 2-line block ×27, first 2 shown]
	s_and_b32 vcc_lo, exec_lo, s1
	buffer_store_dword v5, off, s[36:39], 0 offset:56 ; 4-byte Folded Spill
	buffer_store_dword v0, off, s[36:39], 0 ; 4-byte Folded Spill
	buffer_store_dword v1, off, s[36:39], 0 offset:4 ; 4-byte Folded Spill
	s_cbranch_vccz .LBB36_81
.LBB36_5:                               ; =>This Inner Loop Header: Depth=1
	buffer_load_dword v0, off, s[36:39], 0 offset:72 ; 4-byte Folded Reload
	v_cmp_ge_i64_e64 s1, s[24:25], s[8:9]
                                        ; implicit-def: $vgpr3_vgpr4_vgpr5_vgpr6_vgpr7_vgpr8_vgpr9_vgpr10_vgpr11_vgpr12_vgpr13_vgpr14_vgpr15_vgpr16_vgpr17_vgpr18_vgpr19_vgpr20_vgpr21_vgpr22_vgpr23_vgpr24_vgpr25_vgpr26_vgpr27_vgpr28_vgpr29_vgpr30_vgpr31_vgpr32_vgpr33_vgpr34
                                        ; implicit-def: $vgpr35_vgpr36
                                        ; implicit-def: $vgpr45_vgpr46
                                        ; implicit-def: $vgpr37
                                        ; implicit-def: $vgpr3_vgpr4
	s_and_b32 vcc_lo, exec_lo, s1
	s_mov_b32 s1, -1
	s_waitcnt vmcnt(0)
	v_add_co_u32 v49, s30, v0, s24
	v_add_co_ci_u32_e64 v50, null, 0, s25, s30
                                        ; implicit-def: $vgpr0_vgpr1
	s_cbranch_vccz .LBB36_43
; %bb.6:                                ;   in Loop: Header=BB36_5 Depth=1
	s_load_dword s1, s[20:21], 0xc
	s_clause 0x1
	buffer_load_dword v0, off, s[36:39], 0 offset:276
	buffer_load_dword v1, off, s[36:39], 0 offset:60
	v_mov_b32_e32 v51, 0
	v_mov_b32_e32 v43, 0
	;; [unrolled: 1-line block ×6, first 2 shown]
	s_waitcnt lgkmcnt(0)
	s_and_b32 s1, s1, 0xffff
	s_waitcnt vmcnt(0)
	v_mad_u32_u24 v0, v1, s1, v0
	s_mov_b32 s1, exec_lo
	v_and_b32_e32 v0, 31, v0
	v_cmpx_gt_u32_e32 16, v0
	s_cbranch_execz .LBB36_10
; %bb.7:                                ;   in Loop: Header=BB36_5 Depth=1
	v_add_co_u32 v0, vcc_lo, v49, v0
	v_add_co_ci_u32_e64 v1, null, 0, v50, vcc_lo
	v_mov_b32_e32 v41, 0
	v_add_co_u32 v0, vcc_lo, 0xffffff01, v0
	v_mov_b32_e32 v43, 0
	v_add_co_ci_u32_e64 v1, null, -1, v1, vcc_lo
	v_mov_b32_e32 v42, 0
	v_mov_b32_e32 v44, 0
	s_mov_b32 s30, exec_lo
	v_cmpx_gt_i64_e64 s[8:9], v[0:1]
	s_cbranch_execz .LBB36_9
; %bb.8:                                ;   in Loop: Header=BB36_5 Depth=1
	v_lshlrev_b64 v[0:1], 3, v[0:1]
	v_add_co_u32 v3, vcc_lo, s16, v0
	v_add_co_ci_u32_e64 v4, null, s17, v1, vcc_lo
	v_add_co_u32 v0, vcc_lo, s18, v0
	v_add_co_ci_u32_e64 v1, null, s19, v1, vcc_lo
	global_load_dwordx2 v[41:42], v[3:4], off
	global_load_dwordx2 v[43:44], v[0:1], off
.LBB36_9:                               ;   in Loop: Header=BB36_5 Depth=1
	s_or_b32 exec_lo, exec_lo, s30
.LBB36_10:                              ;   in Loop: Header=BB36_5 Depth=1
	s_or_b32 exec_lo, exec_lo, s1
	v_add_co_u32 v0, vcc_lo, 0xffffff01, v49
	v_add_co_ci_u32_e64 v1, null, -1, v50, vcc_lo
	v_mov_b32_e32 v33, v2
	v_mov_b32_e32 v3, v2
	;; [unrolled: 1-line block ×3, first 2 shown]
	v_cmp_gt_i64_e32 vcc_lo, s[8:9], v[0:1]
	v_mov_b32_e32 v5, v2
	v_mov_b32_e32 v6, v2
	;; [unrolled: 1-line block ×60, first 2 shown]
	s_and_b32 s30, s0, vcc_lo
	s_and_saveexec_b32 s1, s30
	s_cbranch_execz .LBB36_12
; %bb.11:                               ;   in Loop: Header=BB36_5 Depth=1
	s_clause 0x2
	buffer_load_dword v0, off, s[36:39], 0 offset:16
	buffer_load_dword v1, off, s[36:39], 0 offset:20
	;; [unrolled: 1-line block ×3, first 2 shown]
	v_mov_b32_e32 v7, v2
	v_mov_b32_e32 v8, v2
	;; [unrolled: 1-line block ×28, first 2 shown]
	s_waitcnt vmcnt(2)
	v_add_co_u32 v0, vcc_lo, v0, v39
	s_waitcnt vmcnt(1)
	v_add_co_ci_u32_e64 v1, null, v1, v40, vcc_lo
	s_waitcnt vmcnt(0)
	v_add_co_u32 v5, vcc_lo, v3, v39
	buffer_load_dword v3, off, s[36:39], 0 offset:28 ; 4-byte Folded Reload
	s_waitcnt vmcnt(0)
	v_add_co_ci_u32_e64 v6, null, v3, v40, vcc_lo
	global_load_dwordx2 v[3:4], v[0:1], off
	global_load_dwordx2 v[51:52], v[5:6], off
	v_mov_b32_e32 v5, v2
	v_mov_b32_e32 v6, v2
.LBB36_12:                              ;   in Loop: Header=BB36_5 Depth=1
	s_or_b32 exec_lo, exec_lo, s1
	v_add_co_u32 v0, vcc_lo, 0xffffff02, v49
	v_add_co_ci_u32_e64 v1, null, -1, v50, vcc_lo
	v_mov_b32_e32 v55, 0
	v_mov_b32_e32 v53, 0
	;; [unrolled: 1-line block ×3, first 2 shown]
	v_cmp_gt_i64_e32 vcc_lo, s[8:9], v[0:1]
	v_mov_b32_e32 v54, 0
	s_and_b32 s30, s0, vcc_lo
	s_and_saveexec_b32 s1, s30
	s_cbranch_execz .LBB36_14
; %bb.13:                               ;   in Loop: Header=BB36_5 Depth=1
	v_add_co_u32 v0, vcc_lo, v77, v39
	v_add_co_ci_u32_e64 v1, null, v78, v40, vcc_lo
	v_add_co_u32 v35, vcc_lo, v79, v39
	v_add_co_ci_u32_e64 v36, null, v80, v40, vcc_lo
	global_load_dwordx2 v[5:6], v[0:1], off
	global_load_dwordx2 v[53:54], v[35:36], off
.LBB36_14:                              ;   in Loop: Header=BB36_5 Depth=1
	s_or_b32 exec_lo, exec_lo, s1
	v_add_co_u32 v0, vcc_lo, 0xffffff03, v49
	v_add_co_ci_u32_e64 v1, null, -1, v50, vcc_lo
	v_cmp_gt_i64_e32 vcc_lo, s[8:9], v[0:1]
	s_and_b32 s30, s0, vcc_lo
	s_and_saveexec_b32 s1, s30
	s_cbranch_execz .LBB36_16
; %bb.15:                               ;   in Loop: Header=BB36_5 Depth=1
	v_add_co_u32 v0, vcc_lo, v48, v39
	v_add_co_ci_u32_e64 v1, null, v74, v40, vcc_lo
	v_add_co_u32 v35, vcc_lo, v75, v39
	v_add_co_ci_u32_e64 v36, null, v76, v40, vcc_lo
	global_load_dwordx2 v[7:8], v[0:1], off
	global_load_dwordx2 v[55:56], v[35:36], off
.LBB36_16:                              ;   in Loop: Header=BB36_5 Depth=1
	s_or_b32 exec_lo, exec_lo, s1
	v_add_co_u32 v0, vcc_lo, 0xffffff04, v49
	v_add_co_ci_u32_e64 v1, null, -1, v50, vcc_lo
	v_mov_b32_e32 v83, 0
	v_mov_b32_e32 v57, 0
	;; [unrolled: 1-line block ×3, first 2 shown]
	v_cmp_gt_i64_e32 vcc_lo, s[8:9], v[0:1]
	v_mov_b32_e32 v58, 0
	s_and_b32 s30, s0, vcc_lo
	s_and_saveexec_b32 s1, s30
	s_cbranch_execz .LBB36_18
; %bb.17:                               ;   in Loop: Header=BB36_5 Depth=1
	v_add_co_u32 v0, vcc_lo, v126, v39
	v_add_co_ci_u32_e64 v1, null, v127, v40, vcc_lo
	v_add_co_u32 v35, vcc_lo, v73, v39
	v_add_co_ci_u32_e64 v36, null, v47, v40, vcc_lo
	global_load_dwordx2 v[9:10], v[0:1], off
	global_load_dwordx2 v[57:58], v[35:36], off
.LBB36_18:                              ;   in Loop: Header=BB36_5 Depth=1
	s_or_b32 exec_lo, exec_lo, s1
	v_add_co_u32 v0, vcc_lo, 0xffffff05, v49
	v_add_co_ci_u32_e64 v1, null, -1, v50, vcc_lo
	v_cmp_gt_i64_e32 vcc_lo, s[8:9], v[0:1]
	s_and_b32 s30, s0, vcc_lo
	s_and_saveexec_b32 s1, s30
	s_cbranch_execz .LBB36_20
; %bb.19:                               ;   in Loop: Header=BB36_5 Depth=1
	v_add_co_u32 v0, vcc_lo, v122, v39
	v_add_co_ci_u32_e64 v1, null, v123, v40, vcc_lo
	v_add_co_u32 v35, vcc_lo, v124, v39
	v_add_co_ci_u32_e64 v36, null, v125, v40, vcc_lo
	global_load_dwordx2 v[11:12], v[0:1], off
	global_load_dwordx2 v[83:84], v[35:36], off
.LBB36_20:                              ;   in Loop: Header=BB36_5 Depth=1
	s_or_b32 exec_lo, exec_lo, s1
	v_add_co_u32 v0, vcc_lo, 0xffffff06, v49
	v_add_co_ci_u32_e64 v1, null, -1, v50, vcc_lo
	v_mov_b32_e32 v61, 0
	v_mov_b32_e32 v62, 0
	v_cmp_gt_i64_e32 vcc_lo, s[8:9], v[0:1]
	v_mov_b32_e32 v0, 0
	v_mov_b32_e32 v1, 0
	buffer_store_dword v0, off, s[36:39], 0 offset:64 ; 4-byte Folded Spill
	buffer_store_dword v1, off, s[36:39], 0 offset:68 ; 4-byte Folded Spill
	s_and_b32 s30, s0, vcc_lo
	s_and_saveexec_b32 s1, s30
	s_cbranch_execz .LBB36_22
; %bb.21:                               ;   in Loop: Header=BB36_5 Depth=1
	v_add_co_u32 v0, vcc_lo, v118, v39
	v_add_co_ci_u32_e64 v1, null, v119, v40, vcc_lo
	v_add_co_u32 v35, vcc_lo, v120, v39
	v_add_co_ci_u32_e64 v36, null, v121, v40, vcc_lo
	global_load_dwordx2 v[13:14], v[0:1], off
	global_load_dwordx2 v[61:62], v[35:36], off
.LBB36_22:                              ;   in Loop: Header=BB36_5 Depth=1
	s_or_b32 exec_lo, exec_lo, s1
	v_add_co_u32 v0, vcc_lo, 0xffffff07, v49
	v_add_co_ci_u32_e64 v1, null, -1, v50, vcc_lo
	v_cmp_gt_i64_e32 vcc_lo, s[8:9], v[0:1]
	s_and_b32 s30, s0, vcc_lo
	s_and_saveexec_b32 s1, s30
	s_cbranch_execz .LBB36_24
; %bb.23:                               ;   in Loop: Header=BB36_5 Depth=1
	v_add_co_u32 v0, vcc_lo, v114, v39
	v_add_co_ci_u32_e64 v1, null, v115, v40, vcc_lo
	v_add_co_u32 v35, vcc_lo, v116, v39
	v_add_co_ci_u32_e64 v36, null, v117, v40, vcc_lo
	global_load_dwordx2 v[15:16], v[0:1], off
	global_load_dwordx2 v[0:1], v[35:36], off
	s_waitcnt vmcnt(0)
	buffer_store_dword v0, off, s[36:39], 0 offset:64 ; 4-byte Folded Spill
	buffer_store_dword v1, off, s[36:39], 0 offset:68 ; 4-byte Folded Spill
.LBB36_24:                              ;   in Loop: Header=BB36_5 Depth=1
	s_or_b32 exec_lo, exec_lo, s1
	v_add_co_u32 v0, vcc_lo, 0xffffff08, v49
	v_add_co_ci_u32_e64 v1, null, -1, v50, vcc_lo
	v_mov_b32_e32 v59, 0
	v_mov_b32_e32 v65, 0
	;; [unrolled: 1-line block ×3, first 2 shown]
	v_cmp_gt_i64_e32 vcc_lo, s[8:9], v[0:1]
	v_mov_b32_e32 v66, 0
	s_and_b32 s30, s0, vcc_lo
	s_and_saveexec_b32 s1, s30
	s_cbranch_execz .LBB36_26
; %bb.25:                               ;   in Loop: Header=BB36_5 Depth=1
	v_add_co_u32 v0, vcc_lo, v110, v39
	v_add_co_ci_u32_e64 v1, null, v111, v40, vcc_lo
	v_add_co_u32 v35, vcc_lo, v112, v39
	v_add_co_ci_u32_e64 v36, null, v113, v40, vcc_lo
	global_load_dwordx2 v[17:18], v[0:1], off
	global_load_dwordx2 v[65:66], v[35:36], off
.LBB36_26:                              ;   in Loop: Header=BB36_5 Depth=1
	s_or_b32 exec_lo, exec_lo, s1
	v_add_co_u32 v0, vcc_lo, 0xffffff09, v49
	v_add_co_ci_u32_e64 v1, null, -1, v50, vcc_lo
	v_cmp_gt_i64_e32 vcc_lo, s[8:9], v[0:1]
	s_and_b32 s30, s0, vcc_lo
	s_and_saveexec_b32 s1, s30
	s_cbranch_execz .LBB36_28
; %bb.27:                               ;   in Loop: Header=BB36_5 Depth=1
	v_add_co_u32 v0, vcc_lo, v106, v39
	v_add_co_ci_u32_e64 v1, null, v107, v40, vcc_lo
	v_add_co_u32 v35, vcc_lo, v108, v39
	v_add_co_ci_u32_e64 v36, null, v109, v40, vcc_lo
	global_load_dwordx2 v[19:20], v[0:1], off
	global_load_dwordx2 v[59:60], v[35:36], off
.LBB36_28:                              ;   in Loop: Header=BB36_5 Depth=1
	s_or_b32 exec_lo, exec_lo, s1
	v_add_co_u32 v0, vcc_lo, 0xffffff0a, v49
	v_add_co_ci_u32_e64 v1, null, -1, v50, vcc_lo
	v_mov_b32_e32 v63, 0
	v_mov_b32_e32 v71, 0
	;; [unrolled: 1-line block ×3, first 2 shown]
	v_cmp_gt_i64_e32 vcc_lo, s[8:9], v[0:1]
	v_mov_b32_e32 v72, 0
	s_and_b32 s30, s0, vcc_lo
	s_and_saveexec_b32 s1, s30
	s_cbranch_execz .LBB36_30
; %bb.29:                               ;   in Loop: Header=BB36_5 Depth=1
	v_add_co_u32 v0, vcc_lo, v102, v39
	v_add_co_ci_u32_e64 v1, null, v103, v40, vcc_lo
	v_add_co_u32 v35, vcc_lo, v104, v39
	v_add_co_ci_u32_e64 v36, null, v105, v40, vcc_lo
	global_load_dwordx2 v[21:22], v[0:1], off
	global_load_dwordx2 v[71:72], v[35:36], off
.LBB36_30:                              ;   in Loop: Header=BB36_5 Depth=1
	s_or_b32 exec_lo, exec_lo, s1
	v_add_co_u32 v0, vcc_lo, 0xffffff0b, v49
	v_add_co_ci_u32_e64 v1, null, -1, v50, vcc_lo
	v_cmp_gt_i64_e32 vcc_lo, s[8:9], v[0:1]
	s_and_b32 s30, s0, vcc_lo
	s_and_saveexec_b32 s1, s30
	s_cbranch_execz .LBB36_32
; %bb.31:                               ;   in Loop: Header=BB36_5 Depth=1
	v_add_co_u32 v0, vcc_lo, v98, v39
	v_add_co_ci_u32_e64 v1, null, v99, v40, vcc_lo
	v_add_co_u32 v35, vcc_lo, v100, v39
	v_add_co_ci_u32_e64 v36, null, v101, v40, vcc_lo
	global_load_dwordx2 v[23:24], v[0:1], off
	global_load_dwordx2 v[63:64], v[35:36], off
.LBB36_32:                              ;   in Loop: Header=BB36_5 Depth=1
	s_or_b32 exec_lo, exec_lo, s1
	v_add_co_u32 v0, vcc_lo, 0xffffff0c, v49
	v_add_co_ci_u32_e64 v1, null, -1, v50, vcc_lo
	v_mov_b32_e32 v67, 0
	v_mov_b32_e32 v68, 0
	v_cmp_gt_i64_e32 vcc_lo, s[8:9], v[0:1]
	v_mov_b32_e32 v0, 0
	v_mov_b32_e32 v1, 0
	s_and_b32 s30, s0, vcc_lo
	s_and_saveexec_b32 s1, s30
	s_cbranch_execz .LBB36_34
; %bb.33:                               ;   in Loop: Header=BB36_5 Depth=1
	v_add_co_u32 v0, vcc_lo, v94, v39
	v_add_co_ci_u32_e64 v1, null, v95, v40, vcc_lo
	v_add_co_u32 v35, vcc_lo, v96, v39
	v_add_co_ci_u32_e64 v36, null, v97, v40, vcc_lo
	global_load_dwordx2 v[25:26], v[0:1], off
	global_load_dwordx2 v[0:1], v[35:36], off
.LBB36_34:                              ;   in Loop: Header=BB36_5 Depth=1
	s_or_b32 exec_lo, exec_lo, s1
	v_add_co_u32 v35, vcc_lo, 0xffffff0d, v49
	v_add_co_ci_u32_e64 v36, null, -1, v50, vcc_lo
	v_cmp_gt_i64_e32 vcc_lo, s[8:9], v[35:36]
	s_and_b32 s30, s0, vcc_lo
	s_and_saveexec_b32 s1, s30
	s_cbranch_execz .LBB36_36
; %bb.35:                               ;   in Loop: Header=BB36_5 Depth=1
	v_add_co_u32 v27, vcc_lo, v90, v39
	v_add_co_ci_u32_e64 v28, null, v91, v40, vcc_lo
	v_add_co_u32 v35, vcc_lo, v92, v39
	v_add_co_ci_u32_e64 v36, null, v93, v40, vcc_lo
	global_load_dwordx2 v[27:28], v[27:28], off
	global_load_dwordx2 v[67:68], v[35:36], off
.LBB36_36:                              ;   in Loop: Header=BB36_5 Depth=1
	s_or_b32 exec_lo, exec_lo, s1
	v_add_co_u32 v35, vcc_lo, 0xffffff0e, v49
	v_add_co_ci_u32_e64 v36, null, -1, v50, vcc_lo
	v_mov_b32_e32 v69, 0
	v_mov_b32_e32 v70, 0
	v_cmp_gt_i64_e32 vcc_lo, s[8:9], v[35:36]
	v_mov_b32_e32 v35, 0
	v_mov_b32_e32 v36, 0
	s_and_b32 s30, s0, vcc_lo
	s_and_saveexec_b32 s1, s30
	s_cbranch_execz .LBB36_38
; %bb.37:                               ;   in Loop: Header=BB36_5 Depth=1
	v_add_co_u32 v29, vcc_lo, v86, v39
	v_add_co_ci_u32_e64 v30, null, v87, v40, vcc_lo
	v_add_co_u32 v35, vcc_lo, v88, v39
	v_add_co_ci_u32_e64 v36, null, v89, v40, vcc_lo
	global_load_dwordx2 v[29:30], v[29:30], off
	global_load_dwordx2 v[35:36], v[35:36], off
.LBB36_38:                              ;   in Loop: Header=BB36_5 Depth=1
	s_or_b32 exec_lo, exec_lo, s1
	v_add_co_u32 v45, vcc_lo, 0xffffff0f, v49
	v_add_co_ci_u32_e64 v46, null, -1, v50, vcc_lo
	v_cmp_gt_i64_e32 vcc_lo, s[8:9], v[45:46]
	s_and_b32 s30, s0, vcc_lo
	s_and_saveexec_b32 s1, s30
	s_cbranch_execz .LBB36_40
; %bb.39:                               ;   in Loop: Header=BB36_5 Depth=1
	s_clause 0x2
	buffer_load_dword v31, off, s[36:39], 0 offset:48
	buffer_load_dword v32, off, s[36:39], 0 offset:52
	;; [unrolled: 1-line block ×3, first 2 shown]
	s_waitcnt vmcnt(2)
	v_add_co_u32 v31, vcc_lo, v31, v39
	s_waitcnt vmcnt(1)
	v_add_co_ci_u32_e64 v32, null, v32, v40, vcc_lo
	s_waitcnt vmcnt(0)
	v_add_co_u32 v45, vcc_lo, v37, v39
	v_add_co_ci_u32_e64 v46, null, v85, v40, vcc_lo
	global_load_dwordx2 v[31:32], v[31:32], off
	global_load_dwordx2 v[69:70], v[45:46], off
.LBB36_40:                              ;   in Loop: Header=BB36_5 Depth=1
	s_or_b32 exec_lo, exec_lo, s1
	v_add_co_u32 v45, vcc_lo, 0xffffff10, v49
	v_add_co_ci_u32_e64 v46, null, -1, v50, vcc_lo
	v_cmp_gt_i64_e32 vcc_lo, s[8:9], v[45:46]
	v_mov_b32_e32 v45, 0
	v_mov_b32_e32 v46, 0
	s_and_b32 s30, s0, vcc_lo
	s_and_saveexec_b32 s1, s30
	s_cbranch_execz .LBB36_42
; %bb.41:                               ;   in Loop: Header=BB36_5 Depth=1
	s_clause 0x2
	buffer_load_dword v33, off, s[36:39], 0 offset:32
	buffer_load_dword v34, off, s[36:39], 0 offset:36
	buffer_load_dword v37, off, s[36:39], 0 offset:40
	s_waitcnt vmcnt(2)
	v_add_co_u32 v33, vcc_lo, v33, v39
	s_waitcnt vmcnt(1)
	v_add_co_ci_u32_e64 v34, null, v34, v40, vcc_lo
	s_waitcnt vmcnt(0)
	v_add_co_u32 v45, vcc_lo, v37, v39
	buffer_load_dword v37, off, s[36:39], 0 offset:44 ; 4-byte Folded Reload
	s_waitcnt vmcnt(0)
	v_add_co_ci_u32_e64 v46, null, v37, v40, vcc_lo
	global_load_dwordx2 v[33:34], v[33:34], off
	global_load_dwordx2 v[45:46], v[45:46], off
.LBB36_42:                              ;   in Loop: Header=BB36_5 Depth=1
	s_or_b32 exec_lo, exec_lo, s1
	s_waitcnt vmcnt(1)
	ds_bpermute_b32 v81, v2, v41
	ds_bpermute_b32 v82, v2, v42
	ds_bpermute_b32 v37, v2, v41 offset:4
	ds_bpermute_b32 v38, v2, v42 offset:4
	s_mov_b32 s1, 0
	s_waitcnt vmcnt(0) lgkmcnt(2)
	v_add_f64 v[81:82], v[51:52], -v[81:82]
	s_clause 0x1
	buffer_load_dword v51, off, s[36:39], 0
	buffer_load_dword v52, off, s[36:39], 0 offset:4
	s_waitcnt lgkmcnt(0)
	v_add_f64 v[37:38], v[53:54], -v[37:38]
	v_mul_f64 v[53:54], v[3:4], v[81:82]
	ds_bpermute_b32 v81, v2, v43
	ds_bpermute_b32 v82, v2, v44
	v_mul_f64 v[37:38], v[5:6], v[37:38]
	s_waitcnt vmcnt(0) lgkmcnt(0)
	v_fma_f64 v[53:54], v[53:54], v[81:82], v[51:52]
	ds_bpermute_b32 v81, v2, v43 offset:4
	ds_bpermute_b32 v82, v2, v44 offset:4
	s_waitcnt lgkmcnt(0)
	v_fma_f64 v[37:38], v[37:38], v[81:82], v[53:54]
	ds_bpermute_b32 v53, v2, v41 offset:8
	ds_bpermute_b32 v54, v2, v42 offset:8
	;; [unrolled: 1-line block ×4, first 2 shown]
	s_waitcnt lgkmcnt(2)
	v_add_f64 v[53:54], v[55:56], -v[53:54]
	v_mul_f64 v[53:54], v[7:8], v[53:54]
	s_waitcnt lgkmcnt(0)
	v_fma_f64 v[37:38], v[53:54], v[81:82], v[37:38]
	ds_bpermute_b32 v53, v2, v41 offset:12
	ds_bpermute_b32 v54, v2, v42 offset:12
	s_waitcnt lgkmcnt(0)
	v_add_f64 v[53:54], v[57:58], -v[53:54]
	ds_bpermute_b32 v57, v2, v43 offset:12
	ds_bpermute_b32 v58, v2, v44 offset:12
	v_mul_f64 v[53:54], v[9:10], v[53:54]
	s_waitcnt lgkmcnt(0)
	v_fma_f64 v[37:38], v[53:54], v[57:58], v[37:38]
	ds_bpermute_b32 v53, v2, v41 offset:16
	ds_bpermute_b32 v54, v2, v42 offset:16
	s_waitcnt lgkmcnt(0)
	v_add_f64 v[51:52], v[83:84], -v[53:54]
	ds_bpermute_b32 v53, v2, v43 offset:16
	ds_bpermute_b32 v54, v2, v44 offset:16
	v_mul_f64 v[51:52], v[11:12], v[51:52]
	s_waitcnt lgkmcnt(0)
	v_fma_f64 v[37:38], v[51:52], v[53:54], v[37:38]
	ds_bpermute_b32 v51, v2, v41 offset:20
	ds_bpermute_b32 v52, v2, v42 offset:20
	;; [unrolled: 1-line block ×4, first 2 shown]
	s_waitcnt lgkmcnt(2)
	v_add_f64 v[51:52], v[61:62], -v[51:52]
	v_mul_f64 v[51:52], v[13:14], v[51:52]
	s_waitcnt lgkmcnt(0)
	v_fma_f64 v[37:38], v[51:52], v[53:54], v[37:38]
	s_clause 0x1
	buffer_load_dword v53, off, s[36:39], 0 offset:64
	buffer_load_dword v54, off, s[36:39], 0 offset:68
	ds_bpermute_b32 v51, v2, v41 offset:24
	ds_bpermute_b32 v52, v2, v42 offset:24
	s_waitcnt vmcnt(0) lgkmcnt(0)
	v_add_f64 v[51:52], v[53:54], -v[51:52]
	ds_bpermute_b32 v53, v2, v43 offset:24
	ds_bpermute_b32 v54, v2, v44 offset:24
	v_mul_f64 v[51:52], v[15:16], v[51:52]
	s_waitcnt lgkmcnt(0)
	v_fma_f64 v[37:38], v[51:52], v[53:54], v[37:38]
	ds_bpermute_b32 v51, v2, v41 offset:28
	ds_bpermute_b32 v52, v2, v42 offset:28
	ds_bpermute_b32 v53, v2, v43 offset:28
	ds_bpermute_b32 v54, v2, v44 offset:28
	s_waitcnt lgkmcnt(2)
	v_add_f64 v[51:52], v[65:66], -v[51:52]
	v_mul_f64 v[51:52], v[17:18], v[51:52]
	s_waitcnt lgkmcnt(0)
	v_fma_f64 v[37:38], v[51:52], v[53:54], v[37:38]
	ds_bpermute_b32 v51, v2, v41 offset:32
	ds_bpermute_b32 v52, v2, v42 offset:32
	ds_bpermute_b32 v53, v2, v43 offset:32
	ds_bpermute_b32 v54, v2, v44 offset:32
	s_waitcnt lgkmcnt(2)
	v_add_f64 v[51:52], v[59:60], -v[51:52]
	;; [unrolled: 9-line block ×4, first 2 shown]
	v_mul_f64 v[51:52], v[23:24], v[51:52]
	s_waitcnt lgkmcnt(0)
	v_fma_f64 v[37:38], v[51:52], v[53:54], v[37:38]
	ds_bpermute_b32 v51, v2, v41 offset:44
	ds_bpermute_b32 v52, v2, v42 offset:44
	s_waitcnt lgkmcnt(0)
	v_add_f64 v[0:1], v[0:1], -v[51:52]
	ds_bpermute_b32 v51, v2, v43 offset:44
	ds_bpermute_b32 v52, v2, v44 offset:44
	v_mul_f64 v[0:1], v[25:26], v[0:1]
	s_waitcnt lgkmcnt(0)
	v_fma_f64 v[0:1], v[0:1], v[51:52], v[37:38]
	ds_bpermute_b32 v37, v2, v41 offset:48
	ds_bpermute_b32 v38, v2, v42 offset:48
	;; [unrolled: 1-line block ×4, first 2 shown]
	s_waitcnt lgkmcnt(2)
	v_add_f64 v[37:38], v[67:68], -v[37:38]
	v_mul_f64 v[37:38], v[27:28], v[37:38]
	s_waitcnt lgkmcnt(0)
	v_fma_f64 v[0:1], v[37:38], v[51:52], v[0:1]
	ds_bpermute_b32 v37, v2, v41 offset:52
	ds_bpermute_b32 v38, v2, v42 offset:52
	s_waitcnt lgkmcnt(0)
	v_add_f64 v[35:36], v[35:36], -v[37:38]
	ds_bpermute_b32 v37, v2, v43 offset:52
	ds_bpermute_b32 v38, v2, v44 offset:52
	v_mul_f64 v[35:36], v[29:30], v[35:36]
	s_waitcnt lgkmcnt(0)
	v_fma_f64 v[0:1], v[35:36], v[37:38], v[0:1]
	ds_bpermute_b32 v35, v2, v41 offset:56
	ds_bpermute_b32 v36, v2, v42 offset:56
	;; [unrolled: 1-line block ×4, first 2 shown]
	s_waitcnt lgkmcnt(2)
	v_add_f64 v[35:36], v[69:70], -v[35:36]
	v_mul_f64 v[35:36], v[31:32], v[35:36]
	s_waitcnt lgkmcnt(0)
	v_fma_f64 v[0:1], v[35:36], v[37:38], v[0:1]
	ds_bpermute_b32 v37, v2, v41 offset:60
	ds_bpermute_b32 v38, v2, v42 offset:60
	s_clause 0x1
	buffer_load_dword v41, off, s[36:39], 0 offset:8
	buffer_load_dword v42, off, s[36:39], 0 offset:12
	ds_bpermute_b32 v35, v2, v43 offset:60
	ds_bpermute_b32 v36, v2, v44 offset:60
	s_waitcnt vmcnt(0)
	v_add_f64 v[3:4], v[41:42], v[3:4]
	v_add_f64 v[3:4], v[5:6], v[3:4]
	;; [unrolled: 1-line block ×15, first 2 shown]
.LBB36_43:                              ;   in Loop: Header=BB36_5 Depth=1
	s_and_b32 vcc_lo, exec_lo, s1
	s_cbranch_vccz .LBB36_4
; %bb.44:                               ;   in Loop: Header=BB36_5 Depth=1
	s_load_dword s1, s[20:21], 0x0
	v_mov_b32_e32 v81, 0
	v_mov_b32_e32 v43, 0
	;; [unrolled: 1-line block ×6, first 2 shown]
	s_waitcnt lgkmcnt(0)
	s_cmp_lt_u32 s6, s1
	s_cselect_b32 s1, 12, 18
	s_add_u32 s30, s20, s1
	s_addc_u32 s31, s21, 0
	s_mov_b32 s1, exec_lo
	global_load_ushort v0, v2, s[30:31]
	s_clause 0x1
	buffer_load_dword v1, off, s[36:39], 0 offset:276
	buffer_load_dword v3, off, s[36:39], 0 offset:60
	s_waitcnt vmcnt(0)
	v_mad_u32_u24 v0, v3, v0, v1
	v_and_b32_e32 v0, 31, v0
	v_cmpx_gt_u32_e32 16, v0
	s_cbranch_execz .LBB36_48
; %bb.45:                               ;   in Loop: Header=BB36_5 Depth=1
	v_add_co_u32 v0, vcc_lo, v49, v0
	v_add_co_ci_u32_e64 v1, null, 0, v50, vcc_lo
	v_mov_b32_e32 v41, 0
	v_add_co_u32 v0, vcc_lo, 0xffffff01, v0
	v_mov_b32_e32 v43, 0
	v_add_co_ci_u32_e64 v1, null, -1, v1, vcc_lo
	v_mov_b32_e32 v42, 0
	v_mov_b32_e32 v44, 0
	s_mov_b32 s30, exec_lo
	v_cmpx_gt_i64_e64 s[8:9], v[0:1]
	s_cbranch_execz .LBB36_47
; %bb.46:                               ;   in Loop: Header=BB36_5 Depth=1
	v_lshlrev_b64 v[0:1], 3, v[0:1]
	v_add_co_u32 v3, vcc_lo, s16, v0
	v_add_co_ci_u32_e64 v4, null, s17, v1, vcc_lo
	v_add_co_u32 v0, vcc_lo, s18, v0
	v_add_co_ci_u32_e64 v1, null, s19, v1, vcc_lo
	global_load_dwordx2 v[41:42], v[3:4], off
	global_load_dwordx2 v[43:44], v[0:1], off
.LBB36_47:                              ;   in Loop: Header=BB36_5 Depth=1
	s_or_b32 exec_lo, exec_lo, s30
.LBB36_48:                              ;   in Loop: Header=BB36_5 Depth=1
	s_or_b32 exec_lo, exec_lo, s1
	v_mov_b32_e32 v33, v2
	v_mov_b32_e32 v3, v2
	;; [unrolled: 1-line block ×63, first 2 shown]
	s_and_saveexec_b32 s1, s0
	s_cbranch_execz .LBB36_50
; %bb.49:                               ;   in Loop: Header=BB36_5 Depth=1
	s_clause 0x2
	buffer_load_dword v0, off, s[36:39], 0 offset:16
	buffer_load_dword v1, off, s[36:39], 0 offset:20
	;; [unrolled: 1-line block ×3, first 2 shown]
	v_mov_b32_e32 v7, v2
	v_mov_b32_e32 v8, v2
	;; [unrolled: 1-line block ×28, first 2 shown]
	s_waitcnt vmcnt(2)
	v_add_co_u32 v0, vcc_lo, v0, v39
	s_waitcnt vmcnt(1)
	v_add_co_ci_u32_e64 v1, null, v1, v40, vcc_lo
	s_waitcnt vmcnt(0)
	v_add_co_u32 v5, vcc_lo, v3, v39
	buffer_load_dword v3, off, s[36:39], 0 offset:28 ; 4-byte Folded Reload
	s_waitcnt vmcnt(0)
	v_add_co_ci_u32_e64 v6, null, v3, v40, vcc_lo
	global_load_dwordx2 v[3:4], v[0:1], off
	global_load_dwordx2 v[81:82], v[5:6], off
	v_mov_b32_e32 v5, v2
	v_mov_b32_e32 v6, v2
.LBB36_50:                              ;   in Loop: Header=BB36_5 Depth=1
	s_or_b32 exec_lo, exec_lo, s1
	v_mov_b32_e32 v49, 0
	v_mov_b32_e32 v59, 0
	v_mov_b32_e32 v50, 0
	v_mov_b32_e32 v60, 0
	s_and_saveexec_b32 s1, s0
	s_cbranch_execz .LBB36_52
; %bb.51:                               ;   in Loop: Header=BB36_5 Depth=1
	v_add_co_u32 v0, vcc_lo, v77, v39
	v_add_co_ci_u32_e64 v1, null, v78, v40, vcc_lo
	v_add_co_u32 v35, vcc_lo, v79, v39
	v_add_co_ci_u32_e64 v36, null, v80, v40, vcc_lo
	global_load_dwordx2 v[5:6], v[0:1], off
	global_load_dwordx2 v[59:60], v[35:36], off
.LBB36_52:                              ;   in Loop: Header=BB36_5 Depth=1
	s_or_b32 exec_lo, exec_lo, s1
	s_and_saveexec_b32 s1, s0
	s_cbranch_execz .LBB36_54
; %bb.53:                               ;   in Loop: Header=BB36_5 Depth=1
	v_add_co_u32 v0, vcc_lo, v48, v39
	v_add_co_ci_u32_e64 v1, null, v74, v40, vcc_lo
	v_add_co_u32 v35, vcc_lo, v75, v39
	v_add_co_ci_u32_e64 v36, null, v76, v40, vcc_lo
	global_load_dwordx2 v[7:8], v[0:1], off
	global_load_dwordx2 v[49:50], v[35:36], off
.LBB36_54:                              ;   in Loop: Header=BB36_5 Depth=1
	s_or_b32 exec_lo, exec_lo, s1
	v_mov_b32_e32 v51, 0
	v_mov_b32_e32 v61, 0
	v_mov_b32_e32 v52, 0
	v_mov_b32_e32 v62, 0
	s_and_saveexec_b32 s1, s0
	s_cbranch_execz .LBB36_56
; %bb.55:                               ;   in Loop: Header=BB36_5 Depth=1
	v_add_co_u32 v0, vcc_lo, v126, v39
	v_add_co_ci_u32_e64 v1, null, v127, v40, vcc_lo
	v_add_co_u32 v35, vcc_lo, v73, v39
	v_add_co_ci_u32_e64 v36, null, v47, v40, vcc_lo
	global_load_dwordx2 v[9:10], v[0:1], off
	global_load_dwordx2 v[61:62], v[35:36], off
.LBB36_56:                              ;   in Loop: Header=BB36_5 Depth=1
	s_or_b32 exec_lo, exec_lo, s1
	s_and_saveexec_b32 s1, s0
	s_cbranch_execz .LBB36_58
; %bb.57:                               ;   in Loop: Header=BB36_5 Depth=1
	v_add_co_u32 v0, vcc_lo, v122, v39
	v_add_co_ci_u32_e64 v1, null, v123, v40, vcc_lo
	v_add_co_u32 v35, vcc_lo, v124, v39
	v_add_co_ci_u32_e64 v36, null, v125, v40, vcc_lo
	global_load_dwordx2 v[11:12], v[0:1], off
	global_load_dwordx2 v[51:52], v[35:36], off
.LBB36_58:                              ;   in Loop: Header=BB36_5 Depth=1
	s_or_b32 exec_lo, exec_lo, s1
	v_mov_b32_e32 v35, 0
	v_mov_b32_e32 v37, 0
	v_mov_b32_e32 v36, 0
	v_mov_b32_e32 v38, 0
	s_and_saveexec_b32 s1, s0
	s_cbranch_execz .LBB36_60
; %bb.59:                               ;   in Loop: Header=BB36_5 Depth=1
	v_add_co_u32 v0, vcc_lo, v118, v39
	v_add_co_ci_u32_e64 v1, null, v119, v40, vcc_lo
	v_add_co_u32 v37, vcc_lo, v120, v39
	v_add_co_ci_u32_e64 v38, null, v121, v40, vcc_lo
	global_load_dwordx2 v[13:14], v[0:1], off
	global_load_dwordx2 v[37:38], v[37:38], off
.LBB36_60:                              ;   in Loop: Header=BB36_5 Depth=1
	s_or_b32 exec_lo, exec_lo, s1
	s_and_saveexec_b32 s1, s0
	s_cbranch_execz .LBB36_62
; %bb.61:                               ;   in Loop: Header=BB36_5 Depth=1
	v_add_co_u32 v0, vcc_lo, v114, v39
	v_add_co_ci_u32_e64 v1, null, v115, v40, vcc_lo
	v_add_co_u32 v35, vcc_lo, v116, v39
	v_add_co_ci_u32_e64 v36, null, v117, v40, vcc_lo
	global_load_dwordx2 v[15:16], v[0:1], off
	global_load_dwordx2 v[35:36], v[35:36], off
.LBB36_62:                              ;   in Loop: Header=BB36_5 Depth=1
	s_or_b32 exec_lo, exec_lo, s1
	v_mov_b32_e32 v53, 0
	v_mov_b32_e32 v63, 0
	v_mov_b32_e32 v54, 0
	v_mov_b32_e32 v64, 0
	s_and_saveexec_b32 s1, s0
	s_cbranch_execz .LBB36_64
; %bb.63:                               ;   in Loop: Header=BB36_5 Depth=1
	v_add_co_u32 v0, vcc_lo, v110, v39
	v_add_co_ci_u32_e64 v1, null, v111, v40, vcc_lo
	v_add_co_u32 v45, vcc_lo, v112, v39
	v_add_co_ci_u32_e64 v46, null, v113, v40, vcc_lo
	global_load_dwordx2 v[17:18], v[0:1], off
	global_load_dwordx2 v[63:64], v[45:46], off
.LBB36_64:                              ;   in Loop: Header=BB36_5 Depth=1
	s_or_b32 exec_lo, exec_lo, s1
	s_and_saveexec_b32 s1, s0
	s_cbranch_execz .LBB36_66
; %bb.65:                               ;   in Loop: Header=BB36_5 Depth=1
	v_add_co_u32 v0, vcc_lo, v106, v39
	v_add_co_ci_u32_e64 v1, null, v107, v40, vcc_lo
	v_add_co_u32 v45, vcc_lo, v108, v39
	v_add_co_ci_u32_e64 v46, null, v109, v40, vcc_lo
	global_load_dwordx2 v[19:20], v[0:1], off
	global_load_dwordx2 v[53:54], v[45:46], off
.LBB36_66:                              ;   in Loop: Header=BB36_5 Depth=1
	s_or_b32 exec_lo, exec_lo, s1
	v_mov_b32_e32 v55, 0
	v_mov_b32_e32 v65, 0
	v_mov_b32_e32 v56, 0
	v_mov_b32_e32 v66, 0
	s_and_saveexec_b32 s1, s0
	s_cbranch_execz .LBB36_68
; %bb.67:                               ;   in Loop: Header=BB36_5 Depth=1
	v_add_co_u32 v0, vcc_lo, v102, v39
	v_add_co_ci_u32_e64 v1, null, v103, v40, vcc_lo
	v_add_co_u32 v45, vcc_lo, v104, v39
	v_add_co_ci_u32_e64 v46, null, v105, v40, vcc_lo
	global_load_dwordx2 v[21:22], v[0:1], off
	global_load_dwordx2 v[65:66], v[45:46], off
.LBB36_68:                              ;   in Loop: Header=BB36_5 Depth=1
	s_or_b32 exec_lo, exec_lo, s1
	s_and_saveexec_b32 s1, s0
	s_cbranch_execz .LBB36_70
; %bb.69:                               ;   in Loop: Header=BB36_5 Depth=1
	v_add_co_u32 v0, vcc_lo, v98, v39
	v_add_co_ci_u32_e64 v1, null, v99, v40, vcc_lo
	v_add_co_u32 v45, vcc_lo, v100, v39
	v_add_co_ci_u32_e64 v46, null, v101, v40, vcc_lo
	global_load_dwordx2 v[23:24], v[0:1], off
	global_load_dwordx2 v[55:56], v[45:46], off
.LBB36_70:                              ;   in Loop: Header=BB36_5 Depth=1
	s_or_b32 exec_lo, exec_lo, s1
	v_mov_b32_e32 v57, 0
	v_mov_b32_e32 v67, 0
	v_mov_b32_e32 v58, 0
	v_mov_b32_e32 v68, 0
	s_and_saveexec_b32 s1, s0
	s_cbranch_execz .LBB36_72
; %bb.71:                               ;   in Loop: Header=BB36_5 Depth=1
	v_add_co_u32 v0, vcc_lo, v94, v39
	v_add_co_ci_u32_e64 v1, null, v95, v40, vcc_lo
	v_add_co_u32 v45, vcc_lo, v96, v39
	v_add_co_ci_u32_e64 v46, null, v97, v40, vcc_lo
	global_load_dwordx2 v[25:26], v[0:1], off
	global_load_dwordx2 v[67:68], v[45:46], off
.LBB36_72:                              ;   in Loop: Header=BB36_5 Depth=1
	s_or_b32 exec_lo, exec_lo, s1
	s_and_saveexec_b32 s1, s0
	s_cbranch_execz .LBB36_74
; %bb.73:                               ;   in Loop: Header=BB36_5 Depth=1
	v_add_co_u32 v0, vcc_lo, v90, v39
	v_add_co_ci_u32_e64 v1, null, v91, v40, vcc_lo
	v_add_co_u32 v45, vcc_lo, v92, v39
	v_add_co_ci_u32_e64 v46, null, v93, v40, vcc_lo
	global_load_dwordx2 v[27:28], v[0:1], off
	global_load_dwordx2 v[57:58], v[45:46], off
.LBB36_74:                              ;   in Loop: Header=BB36_5 Depth=1
	s_or_b32 exec_lo, exec_lo, s1
	v_mov_b32_e32 v0, 0
	v_mov_b32_e32 v69, 0
	v_mov_b32_e32 v1, 0
	v_mov_b32_e32 v70, 0
	s_and_saveexec_b32 s1, s0
	s_cbranch_execz .LBB36_76
; %bb.75:                               ;   in Loop: Header=BB36_5 Depth=1
	v_add_co_u32 v29, vcc_lo, v86, v39
	v_add_co_ci_u32_e64 v30, null, v87, v40, vcc_lo
	v_add_co_u32 v45, vcc_lo, v88, v39
	v_add_co_ci_u32_e64 v46, null, v89, v40, vcc_lo
	global_load_dwordx2 v[29:30], v[29:30], off
	global_load_dwordx2 v[69:70], v[45:46], off
.LBB36_76:                              ;   in Loop: Header=BB36_5 Depth=1
	s_or_b32 exec_lo, exec_lo, s1
	s_and_saveexec_b32 s1, s0
	s_cbranch_execz .LBB36_78
; %bb.77:                               ;   in Loop: Header=BB36_5 Depth=1
	s_clause 0x2
	buffer_load_dword v0, off, s[36:39], 0 offset:48
	buffer_load_dword v1, off, s[36:39], 0 offset:52
	;; [unrolled: 1-line block ×3, first 2 shown]
	s_waitcnt vmcnt(2)
	v_add_co_u32 v0, vcc_lo, v0, v39
	s_waitcnt vmcnt(1)
	v_add_co_ci_u32_e64 v1, null, v1, v40, vcc_lo
	s_waitcnt vmcnt(0)
	v_add_co_u32 v45, vcc_lo, v31, v39
	v_add_co_ci_u32_e64 v46, null, v85, v40, vcc_lo
	global_load_dwordx2 v[31:32], v[0:1], off
	global_load_dwordx2 v[0:1], v[45:46], off
.LBB36_78:                              ;   in Loop: Header=BB36_5 Depth=1
	s_or_b32 exec_lo, exec_lo, s1
	v_mov_b32_e32 v45, 0
	v_mov_b32_e32 v46, 0
	s_and_saveexec_b32 s1, s0
	s_cbranch_execz .LBB36_3
; %bb.79:                               ;   in Loop: Header=BB36_5 Depth=1
	s_clause 0x3
	buffer_load_dword v33, off, s[36:39], 0 offset:32
	buffer_load_dword v34, off, s[36:39], 0 offset:36
	;; [unrolled: 1-line block ×4, first 2 shown]
	s_waitcnt vmcnt(3)
	v_add_co_u32 v33, vcc_lo, v33, v39
	s_waitcnt vmcnt(2)
	v_add_co_ci_u32_e64 v34, null, v34, v40, vcc_lo
	s_waitcnt vmcnt(1)
	v_add_co_u32 v45, vcc_lo, v45, v39
	s_waitcnt vmcnt(0)
	v_add_co_ci_u32_e64 v46, null, v46, v40, vcc_lo
	global_load_dwordx2 v[33:34], v[33:34], off
	global_load_dwordx2 v[45:46], v[45:46], off
	s_branch .LBB36_3
.LBB36_80:
                                        ; implicit-def: $vgpr37_vgpr38
                                        ; implicit-def: $vgpr0_vgpr1
                                        ; kill: killed $vgpr0_vgpr1
	s_branch .LBB36_83
.LBB36_81:
	s_clause 0x2
	buffer_load_dword v35, off, s[36:39], 0 offset:276
	buffer_load_dword v37, off, s[36:39], 0 offset:8
	;; [unrolled: 1-line block ×3, first 2 shown]
.LBB36_82:
	s_cbranch_execnz .LBB36_131
.LBB36_83:
	s_waitcnt vmcnt(0)
	v_mov_b32_e32 v37, 0
	v_mov_b32_e32 v0, 0
	;; [unrolled: 1-line block ×4, first 2 shown]
	s_andn2_b32 vcc_lo, exec_lo, s7
	buffer_store_dword v0, off, s[36:39], 0 ; 4-byte Folded Spill
	buffer_store_dword v1, off, s[36:39], 0 offset:4 ; 4-byte Folded Spill
	s_cbranch_vccnz .LBB36_131
; %bb.84:
	buffer_load_dword v2, off, s[36:39], 0 offset:60 ; 4-byte Folded Reload
	s_load_dword s7, s[4:5], 0x44
	s_add_u32 s0, s4, 64
	v_mov_b32_e32 v37, 0
	v_mov_b32_e32 v38, 0
	s_waitcnt vmcnt(0)
	v_lshlrev_b32_e32 v0, 4, v2
	v_lshlrev_b32_e32 v4, 7, v2
	buffer_store_dword v0, off, s[36:39], 0 offset:320 ; 4-byte Folded Spill
	v_add_co_u32 v0, s1, v0, s2
	v_add_co_ci_u32_e64 v1, null, 0, 0, s1
	s_addc_u32 s1, s5, 0
	s_waitcnt lgkmcnt(0)
	s_lshl_b32 s7, s7, 8
	v_mul_lo_u32 v6, s11, v0
	s_mul_i32 s21, s11, s7
	s_mul_hi_u32 s22, s10, s7
	s_mul_i32 s20, s10, s7
	s_add_i32 s21, s22, s21
	v_mul_lo_u32 v7, s10, v1
	s_lshl_b64 s[20:21], s[20:21], 3
	v_mad_u64_u32 v[2:3], null, s10, v0, 0
	s_add_u32 s22, s2, 0xff
	s_addc_u32 s23, 0, 0
	s_lshl_b64 s[24:25], s[2:3], 3
	v_add_co_u32 v4, s24, v4, s24
	v_add_co_ci_u32_e64 v5, null, 0, s25, s24
	v_add3_u32 v3, v3, v7, v6
	v_add_co_u32 v6, vcc_lo, v4, 8
	v_add_co_ci_u32_e64 v7, null, 0, v5, vcc_lo
	v_add_co_u32 v8, vcc_lo, v4, 16
	v_add_co_ci_u32_e64 v9, null, 0, v5, vcc_lo
	;; [unrolled: 2-line block ×5, first 2 shown]
	v_add_co_u32 v21, vcc_lo, v4, 48
	v_mad_u64_u32 v[39:40], null, s10, v6, s[12:13]
	v_mul_lo_u32 v7, s10, v7
	v_mul_lo_u32 v10, s11, v6
	v_add_co_ci_u32_e64 v22, null, 0, v5, vcc_lo
	v_add_co_u32 v23, vcc_lo, v4, 56
	v_mad_u64_u32 v[57:58], null, s10, v6, s[14:15]
	v_add_co_ci_u32_e64 v25, null, 0, v5, vcc_lo
	v_add_co_u32 v26, vcc_lo, v4, 64
	v_add_co_ci_u32_e64 v27, null, 0, v5, vcc_lo
	v_add_co_u32 v29, vcc_lo, 0x48, v4
	v_mad_u64_u32 v[41:42], null, s10, v8, s[12:13]
	v_mul_lo_u32 v9, s10, v9
	v_mul_lo_u32 v13, s11, v8
	v_mad_u64_u32 v[61:62], null, s10, v8, s[14:15]
	v_add_co_ci_u32_e64 v31, null, 0, v5, vcc_lo
	v_add_co_u32 v6, vcc_lo, 0x50, v4
	v_add3_u32 v40, v10, v40, v7
	v_add_co_ci_u32_e64 v32, null, 0, v5, vcc_lo
	v_add3_u32 v58, v10, v58, v7
	v_add_co_u32 v7, vcc_lo, 0x58, v4
	v_mad_u64_u32 v[59:60], null, s10, v6, s[12:13]
	v_mul_lo_u32 v34, s11, v6
	v_add_co_ci_u32_e64 v8, null, 0, v5, vcc_lo
	v_mad_u64_u32 v[79:80], null, s10, v6, s[14:15]
	v_add_co_u32 v6, vcc_lo, 0x60, v4
	v_add3_u32 v42, v13, v42, v9
	v_add3_u32 v62, v13, v62, v9
	v_mad_u64_u32 v[77:78], null, s10, v7, s[12:13]
	v_mul_lo_u32 v9, s11, v7
	v_mad_u64_u32 v[81:82], null, s10, v7, s[14:15]
	v_add_co_ci_u32_e64 v7, null, 0, v5, vcc_lo
	v_mad_u64_u32 v[83:84], null, s10, v6, s[12:13]
	v_mul_lo_u32 v10, s11, v6
	v_mul_lo_u32 v7, s10, v7
	v_mad_u64_u32 v[85:86], null, s10, v6, s[14:15]
	v_mul_lo_u32 v8, s10, v8
	v_add_co_u32 v6, vcc_lo, 0x68, v4
	v_mad_u64_u32 v[43:44], null, s10, v11, s[12:13]
	v_add3_u32 v84, v10, v84, v7
	v_add3_u32 v86, v10, v86, v7
	v_add_co_ci_u32_e64 v7, null, 0, v5, vcc_lo
	v_add3_u32 v78, v9, v78, v8
	v_add3_u32 v82, v9, v82, v8
	v_mul_lo_u32 v8, s11, v6
	v_mul_lo_u32 v7, s10, v7
	v_mad_u64_u32 v[87:88], null, s10, v6, s[12:13]
	v_mad_u64_u32 v[89:90], null, s10, v6, s[14:15]
	v_add_co_u32 v6, vcc_lo, 0x70, v4
	v_mul_lo_u32 v15, s11, v11
	v_mad_u64_u32 v[63:64], null, s10, v11, s[14:15]
	v_add3_u32 v88, v8, v88, v7
	v_add3_u32 v90, v8, v90, v7
	v_add_co_ci_u32_e64 v7, null, 0, v5, vcc_lo
	v_add_co_u32 v4, vcc_lo, 0x78, v4
	v_add_co_ci_u32_e64 v5, null, 0, v5, vcc_lo
	v_mul_lo_u32 v8, s11, v6
	v_mad_u64_u32 v[91:92], null, s10, v6, s[12:13]
	v_mad_u64_u32 v[93:94], null, s10, v6, s[14:15]
	v_mul_lo_u32 v5, s10, v5
	v_mul_lo_u32 v6, s11, v4
	v_mad_u64_u32 v[95:96], null, s10, v4, s[12:13]
	v_mad_u64_u32 v[97:98], null, s10, v4, s[14:15]
	v_mul_lo_u32 v7, s10, v7
	v_add_co_u32 v4, vcc_lo, v0, 15
	v_mul_lo_u32 v12, s10, v12
	v_add3_u32 v96, v6, v96, v5
	v_mad_u64_u32 v[45:46], null, s10, v14, s[12:13]
	v_add3_u32 v98, v6, v98, v5
	v_add_co_ci_u32_e64 v5, null, 0, v1, vcc_lo
	v_add3_u32 v92, v8, v92, v7
	v_add3_u32 v94, v8, v94, v7
	v_mul_lo_u32 v7, s11, v4
	v_mul_lo_u32 v6, s10, v5
	v_mad_u64_u32 v[4:5], null, s10, v4, 0
	v_add3_u32 v44, v15, v44, v12
	v_add3_u32 v64, v15, v64, v12
	v_mul_lo_u32 v19, s11, v14
	v_mad_u64_u32 v[65:66], null, s10, v14, s[14:15]
	v_mul_lo_u32 v16, s10, v16
	v_add3_u32 v5, v5, v6, v7
	v_add_co_u32 v6, vcc_lo, v0, 14
	v_add_co_ci_u32_e64 v7, null, 0, v1, vcc_lo
	v_mad_u64_u32 v[47:48], null, s10, v17, s[12:13]
	v_mul_lo_u32 v9, s11, v6
	v_mul_lo_u32 v8, s10, v7
	v_mad_u64_u32 v[6:7], null, s10, v6, 0
	v_mul_lo_u32 v20, s11, v17
	v_add3_u32 v46, v19, v46, v16
	v_mad_u64_u32 v[67:68], null, s10, v17, s[14:15]
	v_add3_u32 v66, v19, v66, v16
	v_mul_lo_u32 v18, s10, v18
	v_add3_u32 v7, v7, v8, v9
	v_add_co_u32 v8, vcc_lo, v0, 13
	v_add_co_ci_u32_e64 v9, null, 0, v1, vcc_lo
	v_mad_u64_u32 v[49:50], null, s10, v21, s[12:13]
	v_mul_lo_u32 v11, s11, v8
	v_mul_lo_u32 v10, s10, v9
	v_mad_u64_u32 v[8:9], null, s10, v8, 0
	v_add3_u32 v48, v20, v48, v18
	v_add3_u32 v68, v20, v68, v18
	v_mul_lo_u32 v24, s11, v21
	v_mad_u64_u32 v[69:70], null, s10, v21, s[14:15]
	v_mul_lo_u32 v22, s10, v22
	v_add3_u32 v9, v9, v10, v11
	v_add_co_u32 v10, vcc_lo, v0, 12
	v_add_co_ci_u32_e64 v11, null, 0, v1, vcc_lo
	v_mad_u64_u32 v[51:52], null, s10, v23, s[12:13]
	v_mul_lo_u32 v13, s11, v10
	v_mul_lo_u32 v12, s10, v11
	v_mad_u64_u32 v[10:11], null, s10, v10, 0
	v_mul_lo_u32 v28, s11, v23
	v_add3_u32 v50, v24, v50, v22
	v_mad_u64_u32 v[71:72], null, s10, v23, s[14:15]
	v_add3_u32 v70, v24, v70, v22
	v_mul_lo_u32 v25, s10, v25
	v_add3_u32 v11, v11, v12, v13
	v_add_co_u32 v12, vcc_lo, v0, 11
	v_add_co_ci_u32_e64 v13, null, 0, v1, vcc_lo
	v_mad_u64_u32 v[53:54], null, s10, v26, s[12:13]
	v_mul_lo_u32 v15, s11, v12
	v_mul_lo_u32 v14, s10, v13
	v_mad_u64_u32 v[12:13], null, s10, v12, 0
	v_add3_u32 v52, v28, v52, v25
	v_add3_u32 v72, v28, v72, v25
	v_mul_lo_u32 v27, s10, v27
	v_mul_lo_u32 v30, s11, v26
	v_mad_u64_u32 v[73:74], null, s10, v26, s[14:15]
	v_add3_u32 v13, v13, v14, v15
	v_add_co_u32 v14, vcc_lo, v0, 10
	v_add_co_ci_u32_e64 v15, null, 0, v1, vcc_lo
	v_add3_u32 v54, v30, v54, v27
	v_mul_lo_u32 v17, s11, v14
	v_add3_u32 v74, v30, v74, v27
	v_mul_lo_u32 v16, s10, v15
	v_mad_u64_u32 v[14:15], null, s10, v14, 0
	v_mad_u64_u32 v[55:56], null, s10, v29, s[12:13]
	v_mul_lo_u32 v33, s11, v29
	v_mad_u64_u32 v[75:76], null, s10, v29, s[14:15]
	v_mul_lo_u32 v31, s10, v31
	v_add3_u32 v15, v15, v16, v17
	v_add_co_u32 v16, vcc_lo, v0, 9
	v_add_co_ci_u32_e64 v17, null, 0, v1, vcc_lo
	v_mul_lo_u32 v32, s10, v32
	v_mul_lo_u32 v19, s11, v16
	v_add3_u32 v56, v33, v56, v31
	v_mul_lo_u32 v18, s10, v17
	v_mad_u64_u32 v[16:17], null, s10, v16, 0
	v_add3_u32 v76, v33, v76, v31
	v_add3_u32 v60, v34, v60, v32
	;; [unrolled: 1-line block ×4, first 2 shown]
	v_add_co_u32 v18, vcc_lo, v0, 8
	v_add_co_ci_u32_e64 v19, null, 0, v1, vcc_lo
	v_mul_lo_u32 v21, s11, v18
	v_mul_lo_u32 v20, s10, v19
	v_mad_u64_u32 v[18:19], null, s10, v18, 0
	v_add3_u32 v19, v19, v20, v21
	v_add_co_u32 v20, vcc_lo, v0, 7
	v_add_co_ci_u32_e64 v21, null, 0, v1, vcc_lo
	v_mul_lo_u32 v23, s11, v20
	v_mul_lo_u32 v22, s10, v21
	v_mad_u64_u32 v[20:21], null, s10, v20, 0
	v_add3_u32 v21, v21, v22, v23
	;; [unrolled: 6-line block ×5, first 2 shown]
	v_add_co_u32 v28, vcc_lo, v0, 3
	v_add_co_ci_u32_e64 v29, null, 0, v1, vcc_lo
	v_add_co_u32 v0, vcc_lo, v0, 2
	v_mul_lo_u32 v31, s11, v28
	v_mul_lo_u32 v30, s10, v29
	v_mad_u64_u32 v[28:29], null, s10, v28, 0
	v_add_co_ci_u32_e64 v1, null, 0, v1, vcc_lo
	v_add3_u32 v29, v29, v30, v31
	v_mul_lo_u32 v30, s10, v1
	v_mul_lo_u32 v31, s11, v0
	v_mad_u64_u32 v[0:1], null, s10, v0, 0
	v_add3_u32 v1, v1, v30, v31
	v_add_co_u32 v30, vcc_lo, v2, s10
	v_add_co_ci_u32_e64 v31, null, s11, v3, vcc_lo
	v_lshlrev_b64 v[2:3], 3, v[2:3]
	v_lshlrev_b64 v[0:1], 3, v[0:1]
	v_add_co_u32 v32, vcc_lo, s12, v2
	buffer_store_dword v32, off, s[36:39], 0 offset:16 ; 4-byte Folded Spill
	v_add_co_ci_u32_e64 v32, null, s13, v3, vcc_lo
	v_add_co_u32 v2, vcc_lo, s14, v2
	v_add_co_ci_u32_e64 v127, null, s15, v3, vcc_lo
	buffer_store_dword v32, off, s[36:39], 0 offset:20 ; 4-byte Folded Spill
	buffer_store_dword v2, off, s[36:39], 0 offset:24 ; 4-byte Folded Spill
	v_lshlrev_b64 v[2:3], 3, v[4:5]
	v_add_co_u32 v4, vcc_lo, s12, v2
	buffer_store_dword v4, off, s[36:39], 0 offset:28 ; 4-byte Folded Spill
	v_add_co_ci_u32_e64 v4, null, s13, v3, vcc_lo
	v_add_co_u32 v2, vcc_lo, s14, v2
	buffer_store_dword v4, off, s[36:39], 0 offset:32 ; 4-byte Folded Spill
	buffer_store_dword v2, off, s[36:39], 0 offset:36 ; 4-byte Folded Spill
	v_add_co_ci_u32_e64 v2, null, s15, v3, vcc_lo
	buffer_store_dword v2, off, s[36:39], 0 offset:40 ; 4-byte Folded Spill
	v_lshlrev_b64 v[2:3], 3, v[6:7]
	v_add_co_u32 v4, vcc_lo, s12, v2
	buffer_store_dword v4, off, s[36:39], 0 offset:44 ; 4-byte Folded Spill
	v_add_co_ci_u32_e64 v4, null, s13, v3, vcc_lo
	v_add_co_u32 v2, vcc_lo, s14, v2
	buffer_store_dword v4, off, s[36:39], 0 offset:48 ; 4-byte Folded Spill
	buffer_store_dword v2, off, s[36:39], 0 offset:52 ; 4-byte Folded Spill
	v_add_co_ci_u32_e64 v2, null, s15, v3, vcc_lo
	;; [unrolled: 9-line block ×13, first 2 shown]
	buffer_store_dword v2, off, s[36:39], 0 offset:240 ; 4-byte Folded Spill
	v_add_co_u32 v2, vcc_lo, s12, v0
	buffer_store_dword v2, off, s[36:39], 0 offset:244 ; 4-byte Folded Spill
	v_add_co_ci_u32_e64 v2, null, s13, v1, vcc_lo
	v_add_co_u32 v0, vcc_lo, s14, v0
	buffer_store_dword v2, off, s[36:39], 0 offset:248 ; 4-byte Folded Spill
	buffer_store_dword v0, off, s[36:39], 0 offset:252 ; 4-byte Folded Spill
	v_add_co_ci_u32_e64 v0, null, s15, v1, vcc_lo
	buffer_store_dword v0, off, s[36:39], 0 offset:256 ; 4-byte Folded Spill
	v_lshlrev_b64 v[0:1], 3, v[30:31]
	v_add_co_u32 v2, vcc_lo, s12, v0
	buffer_store_dword v2, off, s[36:39], 0 offset:260 ; 4-byte Folded Spill
	v_add_co_ci_u32_e64 v2, null, s13, v1, vcc_lo
	v_add_co_u32 v0, vcc_lo, s14, v0
	buffer_store_dword v2, off, s[36:39], 0 offset:264 ; 4-byte Folded Spill
	v_mov_b32_e32 v2, 0
	buffer_store_dword v0, off, s[36:39], 0 offset:268 ; 4-byte Folded Spill
	v_add_co_ci_u32_e64 v0, null, s15, v1, vcc_lo
	buffer_store_dword v0, off, s[36:39], 0 offset:272 ; 4-byte Folded Spill
	buffer_store_dword v35, off, s[36:39], 0 offset:276 ; 4-byte Folded Spill
	v_add_nc_u32_e32 v0, s28, v35
	v_mov_b32_e32 v1, v2
	v_lshlrev_b64 v[99:100], 3, v[0:1]
	v_mov_b32_e32 v0, 0
	v_mov_b32_e32 v1, 0
	buffer_store_dword v0, off, s[36:39], 0 ; 4-byte Folded Spill
	buffer_store_dword v1, off, s[36:39], 0 offset:4 ; 4-byte Folded Spill
	s_branch .LBB36_88
.LBB36_85:                              ;   in Loop: Header=BB36_88 Depth=1
	s_or_b32 exec_lo, exec_lo, s13
.LBB36_86:                              ;   in Loop: Header=BB36_88 Depth=1
	s_or_b32 exec_lo, exec_lo, s12
	s_clause 0x2
	buffer_load_dword v0, off, s[36:39], 0 offset:24
	buffer_load_dword v7, off, s[36:39], 0 offset:16
	;; [unrolled: 1-line block ×3, first 2 shown]
	s_waitcnt vmcnt(4)
	ds_bpermute_b32 v21, v2, v5
	ds_bpermute_b32 v22, v2, v6
	s_waitcnt vmcnt(3)
	ds_bpermute_b32 v25, v2, v3 offset:28
	ds_bpermute_b32 v26, v2, v4 offset:28
	;; [unrolled: 1-line block ×8, first 2 shown]
	s_waitcnt vmcnt(2)
	v_add_co_u32 v0, vcc_lo, v0, v99
	v_add_co_ci_u32_e64 v1, null, v127, v100, vcc_lo
	global_load_dwordx2 v[17:18], v[0:1], off
	v_add_co_u32 v0, vcc_lo, v57, v99
	v_add_co_ci_u32_e64 v1, null, v58, v100, vcc_lo
	s_waitcnt vmcnt(2)
	v_add_co_u32 v7, vcc_lo, v7, v99
	s_waitcnt vmcnt(1)
	v_add_co_ci_u32_e64 v8, null, v8, v100, vcc_lo
	global_load_dwordx2 v[19:20], v[0:1], off
	global_load_dwordx2 v[9:10], v[7:8], off
	v_add_co_u32 v0, vcc_lo, v39, v99
	v_add_co_ci_u32_e64 v1, null, v40, v100, vcc_lo
	v_add_co_u32 v7, vcc_lo, v61, v99
	v_add_co_ci_u32_e64 v8, null, v62, v100, vcc_lo
	global_load_dwordx2 v[11:12], v[0:1], off
	global_load_dwordx2 v[15:16], v[7:8], off
	v_add_co_u32 v0, vcc_lo, v41, v99
	v_add_co_ci_u32_e64 v1, null, v42, v100, vcc_lo
	v_add_co_u32 v7, vcc_lo, v63, v99
	v_add_co_ci_u32_e64 v8, null, v64, v100, vcc_lo
	global_load_dwordx2 v[13:14], v[0:1], off
	global_load_dwordx2 v[0:1], v[7:8], off
	v_add_co_u32 v7, vcc_lo, v43, v99
	v_add_co_ci_u32_e64 v8, null, v44, v100, vcc_lo
	global_load_dwordx2 v[7:8], v[7:8], off
	s_clause 0x1
	buffer_load_dword v23, off, s[36:39], 0
	buffer_load_dword v24, off, s[36:39], 0 offset:4
	s_waitcnt vmcnt(9) lgkmcnt(8)
	v_add_f64 v[17:18], v[17:18], -v[21:22]
	ds_bpermute_b32 v21, v2, v5 offset:4
	ds_bpermute_b32 v22, v2, v6 offset:4
	s_waitcnt vmcnt(8) lgkmcnt(0)
	v_add_f64 v[19:20], v[19:20], -v[21:22]
	s_waitcnt vmcnt(7)
	v_mul_f64 v[17:18], v[9:10], v[17:18]
	ds_bpermute_b32 v21, v2, v3
	ds_bpermute_b32 v22, v2, v4
	v_add_f64 v[9:10], v[37:38], v[9:10]
	s_waitcnt vmcnt(6)
	v_mul_f64 v[19:20], v[11:12], v[19:20]
	s_waitcnt vmcnt(0) lgkmcnt(0)
	v_fma_f64 v[17:18], v[17:18], v[21:22], v[23:24]
	ds_bpermute_b32 v21, v2, v5 offset:8
	ds_bpermute_b32 v22, v2, v6 offset:8
	;; [unrolled: 1-line block ×4, first 2 shown]
	v_add_f64 v[9:10], v[9:10], v[11:12]
	s_waitcnt lgkmcnt(2)
	v_add_f64 v[15:16], v[15:16], -v[21:22]
	ds_bpermute_b32 v21, v2, v5 offset:12
	ds_bpermute_b32 v22, v2, v6 offset:12
	s_waitcnt lgkmcnt(2)
	v_fma_f64 v[17:18], v[19:20], v[23:24], v[17:18]
	v_add_co_u32 v23, vcc_lo, v65, v99
	ds_bpermute_b32 v19, v2, v3 offset:8
	ds_bpermute_b32 v20, v2, v4 offset:8
	v_add_co_ci_u32_e64 v24, null, v66, v100, vcc_lo
	v_add_f64 v[9:10], v[9:10], v[13:14]
	s_waitcnt lgkmcnt(2)
	v_add_f64 v[0:1], v[0:1], -v[21:22]
	v_mul_f64 v[15:16], v[13:14], v[15:16]
	global_load_dwordx2 v[21:22], v[23:24], off
	v_add_co_u32 v23, vcc_lo, v45, v99
	v_add_co_ci_u32_e64 v24, null, v46, v100, vcc_lo
	ds_bpermute_b32 v13, v2, v5 offset:44
	ds_bpermute_b32 v14, v2, v6 offset:44
	v_mul_f64 v[0:1], v[7:8], v[0:1]
	s_waitcnt lgkmcnt(2)
	v_fma_f64 v[15:16], v[15:16], v[19:20], v[17:18]
	v_add_co_u32 v17, vcc_lo, v67, v99
	v_add_co_ci_u32_e64 v18, null, v68, v100, vcc_lo
	ds_bpermute_b32 v19, v2, v3 offset:12
	ds_bpermute_b32 v20, v2, v4 offset:12
	global_load_dwordx2 v[17:18], v[17:18], off
	global_load_dwordx2 v[23:24], v[23:24], off
	v_add_f64 v[7:8], v[9:10], v[7:8]
	s_waitcnt lgkmcnt(0)
	v_fma_f64 v[0:1], v[0:1], v[19:20], v[15:16]
	v_add_co_u32 v15, vcc_lo, v47, v99
	v_add_co_ci_u32_e64 v16, null, v48, v100, vcc_lo
	ds_bpermute_b32 v19, v2, v5 offset:16
	ds_bpermute_b32 v20, v2, v6 offset:16
	global_load_dwordx2 v[15:16], v[15:16], off
	s_waitcnt vmcnt(3) lgkmcnt(0)
	v_add_f64 v[19:20], v[21:22], -v[19:20]
	ds_bpermute_b32 v21, v2, v5 offset:20
	ds_bpermute_b32 v22, v2, v6 offset:20
	s_waitcnt vmcnt(2) lgkmcnt(0)
	v_add_f64 v[17:18], v[17:18], -v[21:22]
	s_waitcnt vmcnt(1)
	v_mul_f64 v[19:20], v[23:24], v[19:20]
	ds_bpermute_b32 v21, v2, v3 offset:16
	ds_bpermute_b32 v22, v2, v4 offset:16
	v_add_f64 v[7:8], v[7:8], v[23:24]
	s_waitcnt lgkmcnt(0)
	v_fma_f64 v[0:1], v[19:20], v[21:22], v[0:1]
	v_add_co_u32 v21, vcc_lo, v69, v99
	ds_bpermute_b32 v19, v2, v3 offset:20
	s_waitcnt vmcnt(0)
	v_mul_f64 v[17:18], v[15:16], v[17:18]
	ds_bpermute_b32 v20, v2, v4 offset:20
	v_add_co_ci_u32_e64 v22, null, v70, v100, vcc_lo
	v_add_f64 v[7:8], v[7:8], v[15:16]
	ds_bpermute_b32 v15, v2, v3 offset:44
	ds_bpermute_b32 v16, v2, v4 offset:44
	global_load_dwordx2 v[21:22], v[21:22], off
	s_waitcnt lgkmcnt(2)
	v_fma_f64 v[0:1], v[17:18], v[19:20], v[0:1]
	v_add_co_u32 v17, vcc_lo, v49, v99
	v_add_co_ci_u32_e64 v18, null, v50, v100, vcc_lo
	ds_bpermute_b32 v19, v2, v5 offset:24
	ds_bpermute_b32 v20, v2, v6 offset:24
	global_load_dwordx2 v[17:18], v[17:18], off
	s_waitcnt vmcnt(1) lgkmcnt(0)
	v_add_f64 v[19:20], v[21:22], -v[19:20]
	ds_bpermute_b32 v21, v2, v3 offset:24
	ds_bpermute_b32 v22, v2, v4 offset:24
	s_waitcnt vmcnt(0)
	v_mul_f64 v[19:20], v[17:18], v[19:20]
	v_add_f64 v[7:8], v[7:8], v[17:18]
	ds_bpermute_b32 v17, v2, v5 offset:48
	ds_bpermute_b32 v18, v2, v6 offset:48
	s_waitcnt lgkmcnt(2)
	v_fma_f64 v[0:1], v[19:20], v[21:22], v[0:1]
	v_add_co_u32 v19, vcc_lo, v71, v99
	v_add_co_ci_u32_e64 v20, null, v72, v100, vcc_lo
	ds_bpermute_b32 v21, v2, v5 offset:28
	ds_bpermute_b32 v22, v2, v6 offset:28
	global_load_dwordx2 v[19:20], v[19:20], off
	s_waitcnt vmcnt(0) lgkmcnt(0)
	v_add_f64 v[19:20], v[19:20], -v[21:22]
	v_add_co_u32 v21, vcc_lo, v51, v99
	v_add_co_ci_u32_e64 v22, null, v52, v100, vcc_lo
	global_load_dwordx2 v[21:22], v[21:22], off
	s_waitcnt vmcnt(0)
	v_mul_f64 v[19:20], v[21:22], v[19:20]
	v_add_f64 v[7:8], v[7:8], v[21:22]
	v_fma_f64 v[0:1], v[19:20], v[25:26], v[0:1]
	v_add_co_u32 v19, vcc_lo, v73, v99
	v_add_co_ci_u32_e64 v20, null, v74, v100, vcc_lo
	ds_bpermute_b32 v25, v2, v5 offset:32
	ds_bpermute_b32 v26, v2, v6 offset:32
	global_load_dwordx2 v[19:20], v[19:20], off
	s_waitcnt vmcnt(0) lgkmcnt(0)
	v_add_f64 v[19:20], v[19:20], -v[25:26]
	v_add_co_u32 v25, vcc_lo, v53, v99
	v_add_co_ci_u32_e64 v26, null, v54, v100, vcc_lo
	global_load_dwordx2 v[25:26], v[25:26], off
	s_waitcnt vmcnt(0)
	v_mul_f64 v[19:20], v[25:26], v[19:20]
	v_add_f64 v[7:8], v[7:8], v[25:26]
	ds_bpermute_b32 v25, v2, v5 offset:52
	ds_bpermute_b32 v26, v2, v6 offset:52
	v_fma_f64 v[0:1], v[19:20], v[27:28], v[0:1]
	v_add_co_u32 v19, vcc_lo, v75, v99
	v_add_co_ci_u32_e64 v20, null, v76, v100, vcc_lo
	ds_bpermute_b32 v27, v2, v5 offset:36
	ds_bpermute_b32 v28, v2, v6 offset:36
	global_load_dwordx2 v[19:20], v[19:20], off
	s_waitcnt vmcnt(0) lgkmcnt(0)
	v_add_f64 v[19:20], v[19:20], -v[27:28]
	v_add_co_u32 v27, vcc_lo, v55, v99
	v_add_co_ci_u32_e64 v28, null, v56, v100, vcc_lo
	global_load_dwordx2 v[27:28], v[27:28], off
	s_waitcnt vmcnt(0)
	v_mul_f64 v[19:20], v[27:28], v[19:20]
	v_add_f64 v[7:8], v[7:8], v[27:28]
	v_fma_f64 v[0:1], v[19:20], v[29:30], v[0:1]
	v_add_co_u32 v19, vcc_lo, v79, v99
	v_add_co_ci_u32_e64 v20, null, v80, v100, vcc_lo
	ds_bpermute_b32 v29, v2, v5 offset:40
	ds_bpermute_b32 v30, v2, v6 offset:40
	global_load_dwordx2 v[19:20], v[19:20], off
	s_waitcnt vmcnt(0) lgkmcnt(0)
	v_add_f64 v[19:20], v[19:20], -v[29:30]
	v_add_co_u32 v29, vcc_lo, v59, v99
	v_add_co_ci_u32_e64 v30, null, v60, v100, vcc_lo
	v_add_co_u32 v11, vcc_lo, v81, v99
	v_add_co_ci_u32_e64 v12, null, v82, v100, vcc_lo
	global_load_dwordx2 v[29:30], v[29:30], off
	v_add_co_u32 v9, vcc_lo, v77, v99
	global_load_dwordx2 v[11:12], v[11:12], off
	v_add_co_ci_u32_e64 v10, null, v78, v100, vcc_lo
	global_load_dwordx2 v[9:10], v[9:10], off
	s_waitcnt vmcnt(2)
	v_mul_f64 v[19:20], v[29:30], v[19:20]
	v_add_f64 v[7:8], v[7:8], v[29:30]
	s_waitcnt vmcnt(1)
	v_add_f64 v[11:12], v[11:12], -v[13:14]
	v_add_co_u32 v13, vcc_lo, v85, v99
	v_add_co_ci_u32_e64 v14, null, v86, v100, vcc_lo
	global_load_dwordx2 v[13:14], v[13:14], off
	v_fma_f64 v[0:1], v[19:20], v[31:32], v[0:1]
	s_waitcnt vmcnt(1)
	v_add_f64 v[7:8], v[7:8], v[9:10]
	v_mul_f64 v[11:12], v[9:10], v[11:12]
	v_fma_f64 v[0:1], v[11:12], v[15:16], v[0:1]
	v_add_co_u32 v11, vcc_lo, v89, v99
	v_add_co_ci_u32_e64 v12, null, v90, v100, vcc_lo
	v_add_co_u32 v15, vcc_lo, v83, v99
	v_add_co_ci_u32_e64 v16, null, v84, v100, vcc_lo
	global_load_dwordx2 v[11:12], v[11:12], off
	global_load_dwordx2 v[15:16], v[15:16], off
	s_waitcnt vmcnt(2)
	v_add_f64 v[13:14], v[13:14], -v[17:18]
	v_add_co_u32 v17, vcc_lo, v93, v99
	v_add_co_ci_u32_e64 v18, null, v94, v100, vcc_lo
	v_add_co_u32 v19, vcc_lo, v87, v99
	v_add_co_ci_u32_e64 v20, null, v88, v100, vcc_lo
	global_load_dwordx2 v[17:18], v[17:18], off
	global_load_dwordx2 v[19:20], v[19:20], off
	v_add_co_u32 v21, vcc_lo, v91, v99
	v_add_co_ci_u32_e64 v22, null, v92, v100, vcc_lo
	v_add_co_u32 v23, vcc_lo, v97, v99
	v_add_co_ci_u32_e64 v24, null, v98, v100, vcc_lo
	global_load_dwordx2 v[21:22], v[21:22], off
	global_load_dwordx2 v[23:24], v[23:24], off
	s_waitcnt vmcnt(5)
	v_add_f64 v[11:12], v[11:12], -v[25:26]
	s_waitcnt vmcnt(4)
	v_mul_f64 v[9:10], v[15:16], v[13:14]
	ds_bpermute_b32 v13, v2, v3 offset:48
	ds_bpermute_b32 v14, v2, v4 offset:48
	;; [unrolled: 1-line block ×6, first 2 shown]
	v_add_f64 v[7:8], v[7:8], v[15:16]
	ds_bpermute_b32 v15, v2, v3 offset:60
	ds_bpermute_b32 v16, v2, v4 offset:60
	s_waitcnt lgkmcnt(6)
	v_fma_f64 v[0:1], v[9:10], v[13:14], v[0:1]
	ds_bpermute_b32 v9, v2, v3 offset:52
	ds_bpermute_b32 v10, v2, v4 offset:52
	s_waitcnt vmcnt(3) lgkmcnt(6)
	v_add_f64 v[17:18], v[17:18], -v[25:26]
	s_waitcnt vmcnt(2)
	v_mul_f64 v[11:12], v[19:20], v[11:12]
	v_add_f64 v[7:8], v[7:8], v[19:20]
	s_waitcnt vmcnt(0) lgkmcnt(4)
	v_add_f64 v[5:6], v[23:24], -v[5:6]
	v_mul_f64 v[13:14], v[21:22], v[17:18]
	s_waitcnt lgkmcnt(0)
	v_fma_f64 v[0:1], v[11:12], v[9:10], v[0:1]
	v_add_co_u32 v11, vcc_lo, v95, v99
	v_add_co_ci_u32_e64 v12, null, v96, v100, vcc_lo
	ds_bpermute_b32 v9, v2, v3 offset:56
	ds_bpermute_b32 v10, v2, v4 offset:56
	v_add_f64 v[3:4], v[7:8], v[21:22]
	global_load_dwordx2 v[33:34], v[11:12], off
	s_waitcnt lgkmcnt(0)
	v_fma_f64 v[0:1], v[13:14], v[9:10], v[0:1]
	s_waitcnt vmcnt(0)
	v_mul_f64 v[5:6], v[33:34], v[5:6]
	v_mul_f64 v[35:36], v[5:6], v[15:16]
.LBB36_87:                              ;   in Loop: Header=BB36_88 Depth=1
	v_add_f64 v[0:1], v[0:1], v[35:36]
	v_add_f64 v[37:38], v[3:4], v[33:34]
	s_add_u32 s2, s2, s7
	s_addc_u32 s3, s3, 0
	s_add_u32 s22, s22, s7
	v_cmp_ge_i64_e64 s12, s[2:3], s[8:9]
	s_addc_u32 s23, s23, 0
	buffer_store_dword v0, off, s[36:39], 0 ; 4-byte Folded Spill
	buffer_store_dword v1, off, s[36:39], 0 offset:4 ; 4-byte Folded Spill
	buffer_load_dword v0, off, s[36:39], 0 offset:16 ; 4-byte Folded Reload
	s_waitcnt vmcnt(0)
	v_add_co_u32 v0, vcc_lo, v0, s20
	buffer_store_dword v0, off, s[36:39], 0 offset:16 ; 4-byte Folded Spill
	buffer_load_dword v0, off, s[36:39], 0 offset:20 ; 4-byte Folded Reload
	s_waitcnt vmcnt(0)
	v_add_co_ci_u32_e64 v0, null, s21, v0, vcc_lo
	buffer_store_dword v0, off, s[36:39], 0 offset:20 ; 4-byte Folded Spill
	buffer_load_dword v0, off, s[36:39], 0 offset:24 ; 4-byte Folded Reload
	s_waitcnt vmcnt(0)
	v_add_co_u32 v0, vcc_lo, v0, s20
	v_add_co_ci_u32_e64 v127, null, s21, v127, vcc_lo
	v_add_co_u32 v39, vcc_lo, v39, s20
	buffer_store_dword v0, off, s[36:39], 0 offset:24 ; 4-byte Folded Spill
	buffer_load_dword v0, off, s[36:39], 0 offset:28 ; 4-byte Folded Reload
	v_add_co_ci_u32_e64 v40, null, s21, v40, vcc_lo
	v_add_co_u32 v41, vcc_lo, v41, s20
	v_add_co_ci_u32_e64 v42, null, s21, v42, vcc_lo
	v_add_co_u32 v43, vcc_lo, v43, s20
	;; [unrolled: 2-line block ×29, first 2 shown]
	v_add_co_ci_u32_e64 v98, null, s21, v98, vcc_lo
	s_waitcnt vmcnt(0)
	v_add_co_u32 v0, vcc_lo, v0, s20
	buffer_store_dword v0, off, s[36:39], 0 offset:28 ; 4-byte Folded Spill
	buffer_load_dword v0, off, s[36:39], 0 offset:32 ; 4-byte Folded Reload
	s_waitcnt vmcnt(0)
	v_add_co_ci_u32_e64 v0, null, s21, v0, vcc_lo
	buffer_store_dword v0, off, s[36:39], 0 offset:32 ; 4-byte Folded Spill
	buffer_load_dword v0, off, s[36:39], 0 offset:36 ; 4-byte Folded Reload
	s_waitcnt vmcnt(0)
	v_add_co_u32 v0, vcc_lo, v0, s20
	buffer_store_dword v0, off, s[36:39], 0 offset:36 ; 4-byte Folded Spill
	buffer_load_dword v0, off, s[36:39], 0 offset:40 ; 4-byte Folded Reload
	s_waitcnt vmcnt(0)
	v_add_co_ci_u32_e64 v0, null, s21, v0, vcc_lo
	buffer_store_dword v0, off, s[36:39], 0 offset:40 ; 4-byte Folded Spill
	buffer_load_dword v0, off, s[36:39], 0 offset:44 ; 4-byte Folded Reload
	;; [unrolled: 8-line block ×29, first 2 shown]
	s_waitcnt vmcnt(0)
	v_add_co_u32 v0, vcc_lo, v0, s20
	buffer_store_dword v0, off, s[36:39], 0 offset:268 ; 4-byte Folded Spill
	buffer_load_dword v0, off, s[36:39], 0 offset:272 ; 4-byte Folded Reload
	s_waitcnt vmcnt(0)
	v_add_co_ci_u32_e64 v0, null, s21, v0, vcc_lo
	s_and_b32 vcc_lo, exec_lo, s12
	buffer_store_dword v0, off, s[36:39], 0 offset:272 ; 4-byte Folded Spill
	s_cbranch_vccnz .LBB36_130
.LBB36_88:                              ; =>This Inner Loop Header: Depth=1
	buffer_load_dword v0, off, s[36:39], 0 offset:320 ; 4-byte Folded Reload
	v_cmp_ge_i64_e64 s13, s[22:23], s[8:9]
                                        ; implicit-def: $vgpr33_vgpr34
                                        ; implicit-def: $vgpr35_vgpr36
                                        ; implicit-def: $vgpr3_vgpr4
	s_and_b32 vcc_lo, exec_lo, s13
	s_waitcnt vmcnt(0)
	v_add_co_u32 v113, s12, v0, s22
	v_add_co_ci_u32_e64 v114, null, 0, s23, s12
	s_mov_b32 s12, -1
                                        ; implicit-def: $vgpr0_vgpr1
	s_cbranch_vccz .LBB36_126
; %bb.89:                               ;   in Loop: Header=BB36_88 Depth=1
	buffer_store_dword v37, off, s[36:39], 0 offset:8 ; 4-byte Folded Spill
	buffer_store_dword v38, off, s[36:39], 0 offset:12 ; 4-byte Folded Spill
	s_load_dword s12, s[0:1], 0xc
	s_clause 0x1
	buffer_load_dword v0, off, s[36:39], 0 offset:276
	buffer_load_dword v1, off, s[36:39], 0 offset:60
	v_mov_b32_e32 v117, 0
	v_mov_b32_e32 v101, 0
	;; [unrolled: 1-line block ×6, first 2 shown]
	s_waitcnt lgkmcnt(0)
	s_and_b32 s12, s12, 0xffff
	s_waitcnt vmcnt(0)
	v_mad_u32_u24 v0, v1, s12, v0
	s_mov_b32 s12, exec_lo
	v_and_b32_e32 v0, 31, v0
	v_cmpx_gt_u32_e32 16, v0
	s_cbranch_execz .LBB36_93
; %bb.90:                               ;   in Loop: Header=BB36_88 Depth=1
	v_add_co_u32 v0, vcc_lo, v113, v0
	v_add_co_ci_u32_e64 v1, null, 0, v114, vcc_lo
	v_mov_b32_e32 v103, 0
	v_add_co_u32 v0, vcc_lo, 0xffffff01, v0
	v_mov_b32_e32 v101, 0
	v_add_co_ci_u32_e64 v1, null, -1, v1, vcc_lo
	v_mov_b32_e32 v104, 0
	v_mov_b32_e32 v102, 0
	s_mov_b32 s13, exec_lo
	v_cmpx_gt_i64_e64 s[8:9], v[0:1]
	s_cbranch_execz .LBB36_92
; %bb.91:                               ;   in Loop: Header=BB36_88 Depth=1
	v_lshlrev_b64 v[0:1], 3, v[0:1]
	v_add_co_u32 v3, vcc_lo, s16, v0
	v_add_co_ci_u32_e64 v4, null, s17, v1, vcc_lo
	v_add_co_u32 v0, vcc_lo, s18, v0
	v_add_co_ci_u32_e64 v1, null, s19, v1, vcc_lo
	global_load_dwordx2 v[103:104], v[3:4], off
	global_load_dwordx2 v[101:102], v[0:1], off
.LBB36_92:                              ;   in Loop: Header=BB36_88 Depth=1
	s_or_b32 exec_lo, exec_lo, s13
.LBB36_93:                              ;   in Loop: Header=BB36_88 Depth=1
	s_or_b32 exec_lo, exec_lo, s12
	v_mov_b32_e32 v33, v2
	v_add_co_u32 v0, vcc_lo, 0xffffff01, v113
	v_mov_b32_e32 v3, v2
	v_mov_b32_e32 v4, v2
	;; [unrolled: 1-line block ×31, first 2 shown]
	v_add_co_ci_u32_e64 v1, null, -1, v114, vcc_lo
	v_mov_b32_e32 v33, v32
	v_mov_b32_e32 v32, v31
	;; [unrolled: 1-line block ×31, first 2 shown]
	s_mov_b32 s12, exec_lo
	v_cmpx_gt_i64_e64 s[8:9], v[0:1]
	s_cbranch_execz .LBB36_95
; %bb.94:                               ;   in Loop: Header=BB36_88 Depth=1
	s_clause 0x2
	buffer_load_dword v0, off, s[36:39], 0 offset:24
	buffer_load_dword v3, off, s[36:39], 0 offset:16
	;; [unrolled: 1-line block ×3, first 2 shown]
	v_mov_b32_e32 v5, v2
	v_mov_b32_e32 v6, v2
	v_mov_b32_e32 v7, v2
	v_mov_b32_e32 v8, v2
	v_mov_b32_e32 v9, v2
	v_mov_b32_e32 v10, v2
	v_mov_b32_e32 v11, v2
	v_mov_b32_e32 v12, v2
	v_mov_b32_e32 v13, v2
	v_mov_b32_e32 v14, v2
	v_mov_b32_e32 v15, v2
	v_mov_b32_e32 v16, v2
	v_mov_b32_e32 v17, v2
	v_mov_b32_e32 v18, v2
	v_mov_b32_e32 v19, v2
	v_mov_b32_e32 v20, v2
	v_mov_b32_e32 v21, v2
	v_mov_b32_e32 v22, v2
	v_mov_b32_e32 v23, v2
	v_mov_b32_e32 v24, v2
	v_mov_b32_e32 v25, v2
	v_mov_b32_e32 v26, v2
	v_mov_b32_e32 v27, v2
	v_mov_b32_e32 v28, v2
	v_mov_b32_e32 v29, v2
	v_mov_b32_e32 v30, v2
	v_mov_b32_e32 v31, v2
	v_mov_b32_e32 v32, v2
	v_mov_b32_e32 v33, v2
	v_mov_b32_e32 v34, v2
	s_waitcnt vmcnt(2)
	v_add_co_u32 v0, vcc_lo, v0, v99
	v_add_co_ci_u32_e64 v1, null, v127, v100, vcc_lo
	s_waitcnt vmcnt(1)
	v_add_co_u32 v3, vcc_lo, v3, v99
	s_waitcnt vmcnt(0)
	v_add_co_ci_u32_e64 v4, null, v4, v100, vcc_lo
	global_load_dwordx2 v[117:118], v[0:1], off
	global_load_dwordx2 v[3:4], v[3:4], off
.LBB36_95:                              ;   in Loop: Header=BB36_88 Depth=1
	s_or_b32 exec_lo, exec_lo, s12
	v_add_co_u32 v0, vcc_lo, 0xffffff02, v113
	v_mov_b32_e32 v115, 0
	v_mov_b32_e32 v119, 0
	v_add_co_ci_u32_e64 v1, null, -1, v114, vcc_lo
	v_mov_b32_e32 v116, 0
	v_mov_b32_e32 v120, 0
	s_mov_b32 s12, exec_lo
	v_cmpx_gt_i64_e64 s[8:9], v[0:1]
	s_cbranch_execz .LBB36_97
; %bb.96:                               ;   in Loop: Header=BB36_88 Depth=1
	s_clause 0x2
	buffer_load_dword v0, off, s[36:39], 0 offset:260
	buffer_load_dword v1, off, s[36:39], 0 offset:264
	;; [unrolled: 1-line block ×3, first 2 shown]
	s_waitcnt vmcnt(2)
	v_add_co_u32 v0, vcc_lo, v0, v99
	s_waitcnt vmcnt(1)
	v_add_co_ci_u32_e64 v1, null, v1, v100, vcc_lo
	s_waitcnt vmcnt(0)
	v_add_co_u32 v35, vcc_lo, v5, v99
	buffer_load_dword v5, off, s[36:39], 0 offset:272 ; 4-byte Folded Reload
	s_waitcnt vmcnt(0)
	v_add_co_ci_u32_e64 v36, null, v5, v100, vcc_lo
	global_load_dwordx2 v[5:6], v[0:1], off
	global_load_dwordx2 v[119:120], v[35:36], off
.LBB36_97:                              ;   in Loop: Header=BB36_88 Depth=1
	s_or_b32 exec_lo, exec_lo, s12
	v_add_co_u32 v0, vcc_lo, 0xffffff03, v113
	v_add_co_ci_u32_e64 v1, null, -1, v114, vcc_lo
	s_mov_b32 s12, exec_lo
	v_cmpx_gt_i64_e64 s[8:9], v[0:1]
	s_cbranch_execz .LBB36_99
; %bb.98:                               ;   in Loop: Header=BB36_88 Depth=1
	s_clause 0x2
	buffer_load_dword v0, off, s[36:39], 0 offset:244
	buffer_load_dword v1, off, s[36:39], 0 offset:248
	buffer_load_dword v7, off, s[36:39], 0 offset:252
	s_waitcnt vmcnt(2)
	v_add_co_u32 v0, vcc_lo, v0, v99
	s_waitcnt vmcnt(1)
	v_add_co_ci_u32_e64 v1, null, v1, v100, vcc_lo
	s_waitcnt vmcnt(0)
	v_add_co_u32 v35, vcc_lo, v7, v99
	buffer_load_dword v7, off, s[36:39], 0 offset:256 ; 4-byte Folded Reload
	s_waitcnt vmcnt(0)
	v_add_co_ci_u32_e64 v36, null, v7, v100, vcc_lo
	global_load_dwordx2 v[7:8], v[0:1], off
	global_load_dwordx2 v[115:116], v[35:36], off
.LBB36_99:                              ;   in Loop: Header=BB36_88 Depth=1
	s_or_b32 exec_lo, exec_lo, s12
	v_add_co_u32 v0, vcc_lo, 0xffffff04, v113
	v_mov_b32_e32 v109, 0
	v_mov_b32_e32 v121, 0
	v_add_co_ci_u32_e64 v1, null, -1, v114, vcc_lo
	v_mov_b32_e32 v110, 0
	v_mov_b32_e32 v122, 0
	s_mov_b32 s12, exec_lo
	v_cmpx_gt_i64_e64 s[8:9], v[0:1]
	s_cbranch_execz .LBB36_101
; %bb.100:                              ;   in Loop: Header=BB36_88 Depth=1
	s_clause 0x2
	buffer_load_dword v0, off, s[36:39], 0 offset:228
	buffer_load_dword v1, off, s[36:39], 0 offset:232
	;; [unrolled: 1-line block ×3, first 2 shown]
	s_waitcnt vmcnt(2)
	v_add_co_u32 v0, vcc_lo, v0, v99
	s_waitcnt vmcnt(1)
	v_add_co_ci_u32_e64 v1, null, v1, v100, vcc_lo
	s_waitcnt vmcnt(0)
	v_add_co_u32 v35, vcc_lo, v9, v99
	buffer_load_dword v9, off, s[36:39], 0 offset:240 ; 4-byte Folded Reload
	s_waitcnt vmcnt(0)
	v_add_co_ci_u32_e64 v36, null, v9, v100, vcc_lo
	global_load_dwordx2 v[9:10], v[0:1], off
	global_load_dwordx2 v[121:122], v[35:36], off
.LBB36_101:                             ;   in Loop: Header=BB36_88 Depth=1
	s_or_b32 exec_lo, exec_lo, s12
	v_add_co_u32 v0, vcc_lo, 0xffffff05, v113
	v_add_co_ci_u32_e64 v1, null, -1, v114, vcc_lo
	s_mov_b32 s12, exec_lo
	v_cmpx_gt_i64_e64 s[8:9], v[0:1]
	s_cbranch_execz .LBB36_103
; %bb.102:                              ;   in Loop: Header=BB36_88 Depth=1
	s_clause 0x2
	buffer_load_dword v0, off, s[36:39], 0 offset:212
	buffer_load_dword v1, off, s[36:39], 0 offset:216
	;; [unrolled: 1-line block ×3, first 2 shown]
	s_waitcnt vmcnt(2)
	v_add_co_u32 v0, vcc_lo, v0, v99
	s_waitcnt vmcnt(1)
	v_add_co_ci_u32_e64 v1, null, v1, v100, vcc_lo
	s_waitcnt vmcnt(0)
	v_add_co_u32 v35, vcc_lo, v11, v99
	buffer_load_dword v11, off, s[36:39], 0 offset:224 ; 4-byte Folded Reload
	s_waitcnt vmcnt(0)
	v_add_co_ci_u32_e64 v36, null, v11, v100, vcc_lo
	global_load_dwordx2 v[11:12], v[0:1], off
	global_load_dwordx2 v[109:110], v[35:36], off
.LBB36_103:                             ;   in Loop: Header=BB36_88 Depth=1
	s_or_b32 exec_lo, exec_lo, s12
	v_add_co_u32 v0, vcc_lo, 0xffffff06, v113
	v_add_co_ci_u32_e64 v1, null, -1, v114, vcc_lo
	v_mov_b32_e32 v123, 0
	v_mov_b32_e32 v124, 0
	v_cmp_gt_i64_e32 vcc_lo, s[8:9], v[0:1]
	v_mov_b32_e32 v0, 0
	v_mov_b32_e32 v1, 0
	buffer_store_dword v0, off, s[36:39], 0 offset:288 ; 4-byte Folded Spill
	buffer_store_dword v1, off, s[36:39], 0 offset:292 ; 4-byte Folded Spill
	s_and_saveexec_b32 s12, vcc_lo
	s_cbranch_execz .LBB36_105
; %bb.104:                              ;   in Loop: Header=BB36_88 Depth=1
	s_clause 0x2
	buffer_load_dword v0, off, s[36:39], 0 offset:196
	buffer_load_dword v1, off, s[36:39], 0 offset:200
	;; [unrolled: 1-line block ×3, first 2 shown]
	s_waitcnt vmcnt(2)
	v_add_co_u32 v0, vcc_lo, v0, v99
	s_waitcnt vmcnt(1)
	v_add_co_ci_u32_e64 v1, null, v1, v100, vcc_lo
	s_waitcnt vmcnt(0)
	v_add_co_u32 v35, vcc_lo, v13, v99
	buffer_load_dword v13, off, s[36:39], 0 offset:208 ; 4-byte Folded Reload
	s_waitcnt vmcnt(0)
	v_add_co_ci_u32_e64 v36, null, v13, v100, vcc_lo
	global_load_dwordx2 v[13:14], v[0:1], off
	global_load_dwordx2 v[0:1], v[35:36], off
	s_waitcnt vmcnt(0)
	buffer_store_dword v0, off, s[36:39], 0 offset:288 ; 4-byte Folded Spill
	buffer_store_dword v1, off, s[36:39], 0 offset:292 ; 4-byte Folded Spill
.LBB36_105:                             ;   in Loop: Header=BB36_88 Depth=1
	s_or_b32 exec_lo, exec_lo, s12
	v_add_co_u32 v0, vcc_lo, 0xffffff07, v113
	v_add_co_ci_u32_e64 v1, null, -1, v114, vcc_lo
	s_mov_b32 s12, exec_lo
	v_cmpx_gt_i64_e64 s[8:9], v[0:1]
	s_cbranch_execz .LBB36_107
; %bb.106:                              ;   in Loop: Header=BB36_88 Depth=1
	s_clause 0x2
	buffer_load_dword v0, off, s[36:39], 0 offset:180
	buffer_load_dword v1, off, s[36:39], 0 offset:184
	;; [unrolled: 1-line block ×3, first 2 shown]
	s_waitcnt vmcnt(2)
	v_add_co_u32 v0, vcc_lo, v0, v99
	s_waitcnt vmcnt(1)
	v_add_co_ci_u32_e64 v1, null, v1, v100, vcc_lo
	s_waitcnt vmcnt(0)
	v_add_co_u32 v35, vcc_lo, v15, v99
	buffer_load_dword v15, off, s[36:39], 0 offset:192 ; 4-byte Folded Reload
	s_waitcnt vmcnt(0)
	v_add_co_ci_u32_e64 v36, null, v15, v100, vcc_lo
	global_load_dwordx2 v[15:16], v[0:1], off
	global_load_dwordx2 v[123:124], v[35:36], off
.LBB36_107:                             ;   in Loop: Header=BB36_88 Depth=1
	s_or_b32 exec_lo, exec_lo, s12
	v_add_co_u32 v0, vcc_lo, 0xffffff08, v113
	v_add_co_ci_u32_e64 v1, null, -1, v114, vcc_lo
	v_mov_b32_e32 v125, 0
	v_mov_b32_e32 v126, 0
	v_cmp_gt_i64_e32 vcc_lo, s[8:9], v[0:1]
	v_mov_b32_e32 v0, 0
	v_mov_b32_e32 v1, 0
	buffer_store_dword v0, off, s[36:39], 0 offset:304 ; 4-byte Folded Spill
	buffer_store_dword v1, off, s[36:39], 0 offset:308 ; 4-byte Folded Spill
	s_and_saveexec_b32 s12, vcc_lo
	s_cbranch_execz .LBB36_109
; %bb.108:                              ;   in Loop: Header=BB36_88 Depth=1
	s_clause 0x2
	buffer_load_dword v0, off, s[36:39], 0 offset:164
	buffer_load_dword v1, off, s[36:39], 0 offset:168
	;; [unrolled: 1-line block ×3, first 2 shown]
	s_waitcnt vmcnt(2)
	v_add_co_u32 v0, vcc_lo, v0, v99
	s_waitcnt vmcnt(1)
	v_add_co_ci_u32_e64 v1, null, v1, v100, vcc_lo
	s_waitcnt vmcnt(0)
	v_add_co_u32 v35, vcc_lo, v17, v99
	buffer_load_dword v17, off, s[36:39], 0 offset:176 ; 4-byte Folded Reload
	s_waitcnt vmcnt(0)
	v_add_co_ci_u32_e64 v36, null, v17, v100, vcc_lo
	global_load_dwordx2 v[17:18], v[0:1], off
	global_load_dwordx2 v[0:1], v[35:36], off
	s_waitcnt vmcnt(0)
	buffer_store_dword v0, off, s[36:39], 0 offset:304 ; 4-byte Folded Spill
	buffer_store_dword v1, off, s[36:39], 0 offset:308 ; 4-byte Folded Spill
.LBB36_109:                             ;   in Loop: Header=BB36_88 Depth=1
	s_or_b32 exec_lo, exec_lo, s12
	v_add_co_u32 v0, vcc_lo, 0xffffff09, v113
	v_add_co_ci_u32_e64 v1, null, -1, v114, vcc_lo
	s_mov_b32 s12, exec_lo
	v_cmpx_gt_i64_e64 s[8:9], v[0:1]
	s_cbranch_execz .LBB36_111
; %bb.110:                              ;   in Loop: Header=BB36_88 Depth=1
	s_clause 0x2
	buffer_load_dword v0, off, s[36:39], 0 offset:148
	buffer_load_dword v1, off, s[36:39], 0 offset:152
	;; [unrolled: 1-line block ×3, first 2 shown]
	s_waitcnt vmcnt(2)
	v_add_co_u32 v0, vcc_lo, v0, v99
	s_waitcnt vmcnt(1)
	v_add_co_ci_u32_e64 v1, null, v1, v100, vcc_lo
	s_waitcnt vmcnt(0)
	v_add_co_u32 v35, vcc_lo, v19, v99
	buffer_load_dword v19, off, s[36:39], 0 offset:160 ; 4-byte Folded Reload
	s_waitcnt vmcnt(0)
	v_add_co_ci_u32_e64 v36, null, v19, v100, vcc_lo
	global_load_dwordx2 v[19:20], v[0:1], off
	global_load_dwordx2 v[125:126], v[35:36], off
.LBB36_111:                             ;   in Loop: Header=BB36_88 Depth=1
	s_or_b32 exec_lo, exec_lo, s12
	v_add_co_u32 v0, vcc_lo, 0xffffff0a, v113
	v_add_co_ci_u32_e64 v1, null, -1, v114, vcc_lo
	v_mov_b32_e32 v35, 0
	v_mov_b32_e32 v36, 0
	buffer_store_dword v35, off, s[36:39], 0 offset:280 ; 4-byte Folded Spill
	buffer_store_dword v36, off, s[36:39], 0 offset:284 ; 4-byte Folded Spill
	v_cmp_gt_i64_e32 vcc_lo, s[8:9], v[0:1]
	v_mov_b32_e32 v0, 0
	v_mov_b32_e32 v1, 0
	s_and_saveexec_b32 s12, vcc_lo
	s_cbranch_execz .LBB36_113
; %bb.112:                              ;   in Loop: Header=BB36_88 Depth=1
	s_clause 0x2
	buffer_load_dword v0, off, s[36:39], 0 offset:132
	buffer_load_dword v1, off, s[36:39], 0 offset:136
	;; [unrolled: 1-line block ×3, first 2 shown]
	s_waitcnt vmcnt(2)
	v_add_co_u32 v0, vcc_lo, v0, v99
	s_waitcnt vmcnt(1)
	v_add_co_ci_u32_e64 v1, null, v1, v100, vcc_lo
	s_waitcnt vmcnt(0)
	v_add_co_u32 v35, vcc_lo, v21, v99
	buffer_load_dword v21, off, s[36:39], 0 offset:144 ; 4-byte Folded Reload
	s_waitcnt vmcnt(0)
	v_add_co_ci_u32_e64 v36, null, v21, v100, vcc_lo
	global_load_dwordx2 v[21:22], v[0:1], off
	global_load_dwordx2 v[0:1], v[35:36], off
.LBB36_113:                             ;   in Loop: Header=BB36_88 Depth=1
	s_or_b32 exec_lo, exec_lo, s12
	v_add_co_u32 v35, vcc_lo, 0xffffff0b, v113
	v_add_co_ci_u32_e64 v36, null, -1, v114, vcc_lo
	s_mov_b32 s12, exec_lo
	v_cmpx_gt_i64_e64 s[8:9], v[35:36]
	s_cbranch_execz .LBB36_115
; %bb.114:                              ;   in Loop: Header=BB36_88 Depth=1
	s_clause 0x3
	buffer_load_dword v23, off, s[36:39], 0 offset:116
	buffer_load_dword v24, off, s[36:39], 0 offset:120
	;; [unrolled: 1-line block ×4, first 2 shown]
	s_waitcnt vmcnt(3)
	v_add_co_u32 v23, vcc_lo, v23, v99
	s_waitcnt vmcnt(2)
	v_add_co_ci_u32_e64 v24, null, v24, v100, vcc_lo
	s_waitcnt vmcnt(1)
	v_add_co_u32 v35, vcc_lo, v35, v99
	s_waitcnt vmcnt(0)
	v_add_co_ci_u32_e64 v36, null, v36, v100, vcc_lo
	global_load_dwordx2 v[23:24], v[23:24], off
	global_load_dwordx2 v[35:36], v[35:36], off
	s_waitcnt vmcnt(0)
	buffer_store_dword v35, off, s[36:39], 0 offset:280 ; 4-byte Folded Spill
	buffer_store_dword v36, off, s[36:39], 0 offset:284 ; 4-byte Folded Spill
.LBB36_115:                             ;   in Loop: Header=BB36_88 Depth=1
	s_or_b32 exec_lo, exec_lo, s12
	v_add_co_u32 v35, vcc_lo, 0xffffff0c, v113
	v_mov_b32_e32 v37, 0
	v_mov_b32_e32 v105, 0
	v_add_co_ci_u32_e64 v36, null, -1, v114, vcc_lo
	v_mov_b32_e32 v38, 0
	v_mov_b32_e32 v106, 0
	s_mov_b32 s12, exec_lo
	buffer_store_dword v37, off, s[36:39], 0 offset:296 ; 4-byte Folded Spill
	buffer_store_dword v38, off, s[36:39], 0 offset:300 ; 4-byte Folded Spill
	v_cmpx_gt_i64_e64 s[8:9], v[35:36]
	s_cbranch_execz .LBB36_117
; %bb.116:                              ;   in Loop: Header=BB36_88 Depth=1
	s_clause 0x3
	buffer_load_dword v25, off, s[36:39], 0 offset:100
	buffer_load_dword v26, off, s[36:39], 0 offset:104
	;; [unrolled: 1-line block ×4, first 2 shown]
	s_waitcnt vmcnt(3)
	v_add_co_u32 v25, vcc_lo, v25, v99
	s_waitcnt vmcnt(2)
	v_add_co_ci_u32_e64 v26, null, v26, v100, vcc_lo
	s_waitcnt vmcnt(1)
	v_add_co_u32 v35, vcc_lo, v35, v99
	s_waitcnt vmcnt(0)
	v_add_co_ci_u32_e64 v36, null, v36, v100, vcc_lo
	global_load_dwordx2 v[25:26], v[25:26], off
	global_load_dwordx2 v[105:106], v[35:36], off
.LBB36_117:                             ;   in Loop: Header=BB36_88 Depth=1
	s_or_b32 exec_lo, exec_lo, s12
	v_add_co_u32 v35, vcc_lo, 0xffffff0d, v113
	v_add_co_ci_u32_e64 v36, null, -1, v114, vcc_lo
	s_mov_b32 s12, exec_lo
	v_cmpx_gt_i64_e64 s[8:9], v[35:36]
	s_cbranch_execz .LBB36_119
; %bb.118:                              ;   in Loop: Header=BB36_88 Depth=1
	s_clause 0x3
	buffer_load_dword v27, off, s[36:39], 0 offset:84
	buffer_load_dword v28, off, s[36:39], 0 offset:88
	buffer_load_dword v35, off, s[36:39], 0 offset:92
	buffer_load_dword v36, off, s[36:39], 0 offset:96
	s_waitcnt vmcnt(3)
	v_add_co_u32 v27, vcc_lo, v27, v99
	s_waitcnt vmcnt(2)
	v_add_co_ci_u32_e64 v28, null, v28, v100, vcc_lo
	s_waitcnt vmcnt(1)
	v_add_co_u32 v35, vcc_lo, v35, v99
	s_waitcnt vmcnt(0)
	v_add_co_ci_u32_e64 v36, null, v36, v100, vcc_lo
	global_load_dwordx2 v[27:28], v[27:28], off
	global_load_dwordx2 v[35:36], v[35:36], off
	s_waitcnt vmcnt(0)
	buffer_store_dword v35, off, s[36:39], 0 offset:296 ; 4-byte Folded Spill
	buffer_store_dword v36, off, s[36:39], 0 offset:300 ; 4-byte Folded Spill
.LBB36_119:                             ;   in Loop: Header=BB36_88 Depth=1
	s_or_b32 exec_lo, exec_lo, s12
	v_add_co_u32 v37, vcc_lo, 0xffffff0e, v113
	v_add_co_ci_u32_e64 v38, null, -1, v114, vcc_lo
	v_mov_b32_e32 v35, 0
	v_mov_b32_e32 v36, 0
	buffer_store_dword v35, off, s[36:39], 0 offset:312 ; 4-byte Folded Spill
	buffer_store_dword v36, off, s[36:39], 0 offset:316 ; 4-byte Folded Spill
	v_cmp_gt_i64_e32 vcc_lo, s[8:9], v[37:38]
	v_mov_b32_e32 v37, 0
	v_mov_b32_e32 v38, 0
	s_and_saveexec_b32 s12, vcc_lo
	s_cbranch_execz .LBB36_121
; %bb.120:                              ;   in Loop: Header=BB36_88 Depth=1
	s_clause 0x3
	buffer_load_dword v29, off, s[36:39], 0 offset:64
	buffer_load_dword v30, off, s[36:39], 0 offset:72
	;; [unrolled: 1-line block ×4, first 2 shown]
	s_waitcnt vmcnt(3)
	v_add_co_u32 v29, vcc_lo, v29, v99
	s_waitcnt vmcnt(2)
	v_add_co_ci_u32_e64 v30, null, v30, v100, vcc_lo
	s_waitcnt vmcnt(1)
	v_add_co_u32 v37, vcc_lo, v37, v99
	s_waitcnt vmcnt(0)
	v_add_co_ci_u32_e64 v38, null, v38, v100, vcc_lo
	global_load_dwordx2 v[29:30], v[29:30], off
	global_load_dwordx2 v[37:38], v[37:38], off
.LBB36_121:                             ;   in Loop: Header=BB36_88 Depth=1
	s_or_b32 exec_lo, exec_lo, s12
	v_add_co_u32 v107, vcc_lo, 0xffffff0f, v113
	v_add_co_ci_u32_e64 v108, null, -1, v114, vcc_lo
	s_mov_b32 s12, exec_lo
	v_cmpx_gt_i64_e64 s[8:9], v[107:108]
	s_cbranch_execz .LBB36_123
; %bb.122:                              ;   in Loop: Header=BB36_88 Depth=1
	s_clause 0x3
	buffer_load_dword v31, off, s[36:39], 0 offset:44
	buffer_load_dword v32, off, s[36:39], 0 offset:48
	;; [unrolled: 1-line block ×4, first 2 shown]
	s_waitcnt vmcnt(3)
	v_add_co_u32 v31, vcc_lo, v31, v99
	s_waitcnt vmcnt(2)
	v_add_co_ci_u32_e64 v32, null, v32, v100, vcc_lo
	s_waitcnt vmcnt(1)
	v_add_co_u32 v35, vcc_lo, v35, v99
	s_waitcnt vmcnt(0)
	v_add_co_ci_u32_e64 v36, null, v36, v100, vcc_lo
	global_load_dwordx2 v[31:32], v[31:32], off
	global_load_dwordx2 v[35:36], v[35:36], off
	s_waitcnt vmcnt(0)
	buffer_store_dword v35, off, s[36:39], 0 offset:312 ; 4-byte Folded Spill
	buffer_store_dword v36, off, s[36:39], 0 offset:316 ; 4-byte Folded Spill
.LBB36_123:                             ;   in Loop: Header=BB36_88 Depth=1
	s_or_b32 exec_lo, exec_lo, s12
	v_add_co_u32 v107, vcc_lo, 0xffffff10, v113
	v_add_co_ci_u32_e64 v108, null, -1, v114, vcc_lo
	s_waitcnt vmcnt(0)
	v_mov_b32_e32 v112, v110
	v_mov_b32_e32 v35, v121
	;; [unrolled: 1-line block ×4, first 2 shown]
	v_cmp_gt_i64_e32 vcc_lo, s[8:9], v[107:108]
	v_mov_b32_e32 v107, 0
	v_mov_b32_e32 v36, v122
	;; [unrolled: 1-line block ×4, first 2 shown]
	s_and_saveexec_b32 s12, vcc_lo
	s_cbranch_execz .LBB36_125
; %bb.124:                              ;   in Loop: Header=BB36_88 Depth=1
	s_clause 0x3
	buffer_load_dword v33, off, s[36:39], 0 offset:28
	buffer_load_dword v34, off, s[36:39], 0 offset:32
	;; [unrolled: 1-line block ×4, first 2 shown]
	s_waitcnt vmcnt(3)
	v_add_co_u32 v33, vcc_lo, v33, v99
	s_waitcnt vmcnt(2)
	v_add_co_ci_u32_e64 v34, null, v34, v100, vcc_lo
	s_waitcnt vmcnt(1)
	v_add_co_u32 v107, vcc_lo, v107, v99
	s_waitcnt vmcnt(0)
	v_add_co_ci_u32_e64 v108, null, v108, v100, vcc_lo
	global_load_dwordx2 v[33:34], v[33:34], off
	global_load_dwordx2 v[107:108], v[107:108], off
.LBB36_125:                             ;   in Loop: Header=BB36_88 Depth=1
	s_or_b32 exec_lo, exec_lo, s12
	s_clause 0x1
	buffer_load_dword v121, off, s[36:39], 0
	buffer_load_dword v122, off, s[36:39], 0 offset:4
	ds_bpermute_b32 v115, v2, v103
	ds_bpermute_b32 v116, v2, v104
	s_mov_b32 s12, 0
	s_waitcnt lgkmcnt(0)
	v_add_f64 v[115:116], v[117:118], -v[115:116]
	ds_bpermute_b32 v117, v2, v103 offset:4
	ds_bpermute_b32 v118, v2, v104 offset:4
	s_waitcnt lgkmcnt(0)
	v_add_f64 v[117:118], v[119:120], -v[117:118]
	v_mul_f64 v[115:116], v[3:4], v[115:116]
	ds_bpermute_b32 v119, v2, v101
	ds_bpermute_b32 v120, v2, v102
	v_mul_f64 v[117:118], v[5:6], v[117:118]
	s_waitcnt vmcnt(0) lgkmcnt(0)
	v_fma_f64 v[115:116], v[115:116], v[119:120], v[121:122]
	ds_bpermute_b32 v119, v2, v101 offset:4
	ds_bpermute_b32 v120, v2, v102 offset:4
	s_waitcnt lgkmcnt(0)
	v_fma_f64 v[115:116], v[117:118], v[119:120], v[115:116]
	ds_bpermute_b32 v117, v2, v103 offset:8
	ds_bpermute_b32 v118, v2, v104 offset:8
	;; [unrolled: 1-line block ×4, first 2 shown]
	s_waitcnt lgkmcnt(2)
	v_add_f64 v[117:118], v[109:110], -v[117:118]
	v_mul_f64 v[117:118], v[7:8], v[117:118]
	s_waitcnt lgkmcnt(0)
	v_fma_f64 v[115:116], v[117:118], v[119:120], v[115:116]
	ds_bpermute_b32 v117, v2, v103 offset:12
	ds_bpermute_b32 v118, v2, v104 offset:12
	;; [unrolled: 1-line block ×4, first 2 shown]
	s_waitcnt lgkmcnt(2)
	v_add_f64 v[117:118], v[35:36], -v[117:118]
	s_clause 0x1
	buffer_load_dword v35, off, s[36:39], 0 offset:288
	buffer_load_dword v36, off, s[36:39], 0 offset:292
	v_mul_f64 v[117:118], v[9:10], v[117:118]
	s_waitcnt lgkmcnt(0)
	v_fma_f64 v[115:116], v[117:118], v[119:120], v[115:116]
	ds_bpermute_b32 v117, v2, v103 offset:16
	ds_bpermute_b32 v118, v2, v104 offset:16
	;; [unrolled: 1-line block ×4, first 2 shown]
	s_waitcnt lgkmcnt(2)
	v_add_f64 v[117:118], v[111:112], -v[117:118]
	v_mul_f64 v[117:118], v[11:12], v[117:118]
	s_waitcnt lgkmcnt(0)
	v_fma_f64 v[115:116], v[117:118], v[119:120], v[115:116]
	ds_bpermute_b32 v117, v2, v103 offset:20
	ds_bpermute_b32 v118, v2, v104 offset:20
	;; [unrolled: 1-line block ×4, first 2 shown]
	s_waitcnt vmcnt(0) lgkmcnt(2)
	v_add_f64 v[117:118], v[35:36], -v[117:118]
	s_clause 0x1
	buffer_load_dword v35, off, s[36:39], 0 offset:304
	buffer_load_dword v36, off, s[36:39], 0 offset:308
	v_mul_f64 v[117:118], v[13:14], v[117:118]
	s_waitcnt lgkmcnt(0)
	v_fma_f64 v[115:116], v[117:118], v[119:120], v[115:116]
	ds_bpermute_b32 v117, v2, v103 offset:24
	ds_bpermute_b32 v118, v2, v104 offset:24
	;; [unrolled: 1-line block ×4, first 2 shown]
	s_waitcnt lgkmcnt(2)
	v_add_f64 v[117:118], v[123:124], -v[117:118]
	v_mul_f64 v[117:118], v[15:16], v[117:118]
	s_waitcnt lgkmcnt(0)
	v_fma_f64 v[115:116], v[117:118], v[119:120], v[115:116]
	ds_bpermute_b32 v117, v2, v103 offset:28
	ds_bpermute_b32 v118, v2, v104 offset:28
	;; [unrolled: 1-line block ×4, first 2 shown]
	s_waitcnt vmcnt(0) lgkmcnt(2)
	v_add_f64 v[117:118], v[35:36], -v[117:118]
	s_clause 0x1
	buffer_load_dword v35, off, s[36:39], 0 offset:280
	buffer_load_dword v36, off, s[36:39], 0 offset:284
	v_mul_f64 v[117:118], v[17:18], v[117:118]
	s_waitcnt lgkmcnt(0)
	v_fma_f64 v[115:116], v[117:118], v[119:120], v[115:116]
	ds_bpermute_b32 v117, v2, v103 offset:32
	ds_bpermute_b32 v118, v2, v104 offset:32
	;; [unrolled: 1-line block ×4, first 2 shown]
	s_waitcnt lgkmcnt(2)
	v_add_f64 v[117:118], v[125:126], -v[117:118]
	v_mul_f64 v[117:118], v[19:20], v[117:118]
	s_waitcnt lgkmcnt(0)
	v_fma_f64 v[115:116], v[117:118], v[119:120], v[115:116]
	ds_bpermute_b32 v117, v2, v103 offset:36
	ds_bpermute_b32 v118, v2, v104 offset:36
	s_waitcnt lgkmcnt(0)
	v_add_f64 v[0:1], v[0:1], -v[117:118]
	ds_bpermute_b32 v117, v2, v101 offset:36
	ds_bpermute_b32 v118, v2, v102 offset:36
	v_mul_f64 v[0:1], v[21:22], v[0:1]
	s_waitcnt lgkmcnt(0)
	v_fma_f64 v[0:1], v[0:1], v[117:118], v[115:116]
	ds_bpermute_b32 v115, v2, v103 offset:40
	ds_bpermute_b32 v116, v2, v104 offset:40
	ds_bpermute_b32 v117, v2, v101 offset:40
	ds_bpermute_b32 v118, v2, v102 offset:40
	s_waitcnt vmcnt(0) lgkmcnt(2)
	v_add_f64 v[115:116], v[35:36], -v[115:116]
	s_clause 0x1
	buffer_load_dword v35, off, s[36:39], 0 offset:296
	buffer_load_dword v36, off, s[36:39], 0 offset:300
	v_mul_f64 v[115:116], v[23:24], v[115:116]
	s_waitcnt lgkmcnt(0)
	v_fma_f64 v[0:1], v[115:116], v[117:118], v[0:1]
	ds_bpermute_b32 v115, v2, v103 offset:44
	ds_bpermute_b32 v116, v2, v104 offset:44
	s_waitcnt lgkmcnt(0)
	v_add_f64 v[105:106], v[105:106], -v[115:116]
	ds_bpermute_b32 v115, v2, v101 offset:44
	ds_bpermute_b32 v116, v2, v102 offset:44
	v_mul_f64 v[105:106], v[25:26], v[105:106]
	s_waitcnt lgkmcnt(0)
	v_fma_f64 v[0:1], v[105:106], v[115:116], v[0:1]
	ds_bpermute_b32 v105, v2, v103 offset:48
	ds_bpermute_b32 v106, v2, v104 offset:48
	;; [unrolled: 1-line block ×4, first 2 shown]
	s_waitcnt vmcnt(0) lgkmcnt(2)
	v_add_f64 v[105:106], v[35:36], -v[105:106]
	s_clause 0x1
	buffer_load_dword v35, off, s[36:39], 0 offset:312
	buffer_load_dword v36, off, s[36:39], 0 offset:316
	v_mul_f64 v[105:106], v[27:28], v[105:106]
	s_waitcnt lgkmcnt(0)
	v_fma_f64 v[0:1], v[105:106], v[115:116], v[0:1]
	ds_bpermute_b32 v105, v2, v103 offset:52
	ds_bpermute_b32 v106, v2, v104 offset:52
	s_waitcnt lgkmcnt(0)
	v_add_f64 v[37:38], v[37:38], -v[105:106]
	ds_bpermute_b32 v105, v2, v101 offset:52
	ds_bpermute_b32 v106, v2, v102 offset:52
	v_mul_f64 v[37:38], v[29:30], v[37:38]
	s_waitcnt lgkmcnt(0)
	v_fma_f64 v[0:1], v[37:38], v[105:106], v[0:1]
	ds_bpermute_b32 v37, v2, v103 offset:56
	ds_bpermute_b32 v38, v2, v104 offset:56
	s_waitcnt vmcnt(0) lgkmcnt(0)
	v_add_f64 v[35:36], v[35:36], -v[37:38]
	ds_bpermute_b32 v37, v2, v101 offset:56
	ds_bpermute_b32 v38, v2, v102 offset:56
	v_mul_f64 v[35:36], v[31:32], v[35:36]
	s_waitcnt lgkmcnt(0)
	v_fma_f64 v[0:1], v[35:36], v[37:38], v[0:1]
	ds_bpermute_b32 v35, v2, v103 offset:60
	ds_bpermute_b32 v36, v2, v104 offset:60
	ds_bpermute_b32 v37, v2, v101 offset:60
	ds_bpermute_b32 v38, v2, v102 offset:60
	s_waitcnt lgkmcnt(2)
	v_add_f64 v[35:36], v[107:108], -v[35:36]
	v_mul_f64 v[35:36], v[33:34], v[35:36]
	s_waitcnt lgkmcnt(0)
	v_mul_f64 v[35:36], v[35:36], v[37:38]
	s_clause 0x1
	buffer_load_dword v37, off, s[36:39], 0 offset:8
	buffer_load_dword v38, off, s[36:39], 0 offset:12
	s_waitcnt vmcnt(0)
	v_add_f64 v[3:4], v[37:38], v[3:4]
	v_add_f64 v[3:4], v[5:6], v[3:4]
	;; [unrolled: 1-line block ×15, first 2 shown]
.LBB36_126:                             ;   in Loop: Header=BB36_88 Depth=1
	s_and_b32 vcc_lo, exec_lo, s12
	s_cbranch_vccz .LBB36_87
; %bb.127:                              ;   in Loop: Header=BB36_88 Depth=1
	s_load_dword s12, s[0:1], 0x0
	v_mov_b32_e32 v5, 0
	v_mov_b32_e32 v6, 0
	s_waitcnt lgkmcnt(0)
	s_cmp_lt_u32 s6, s12
	s_cselect_b32 s12, 12, 18
	s_add_u32 s12, s0, s12
	s_addc_u32 s13, s1, 0
	global_load_ushort v0, v2, s[12:13]
	s_clause 0x1
	buffer_load_dword v1, off, s[36:39], 0 offset:276
	buffer_load_dword v3, off, s[36:39], 0 offset:60
	s_mov_b32 s12, exec_lo
	s_waitcnt vmcnt(0)
	v_mad_u32_u24 v0, v3, v0, v1
	v_mov_b32_e32 v3, 0
	v_mov_b32_e32 v4, 0
	v_and_b32_e32 v0, 31, v0
	v_cmpx_gt_u32_e32 16, v0
	s_cbranch_execz .LBB36_86
; %bb.128:                              ;   in Loop: Header=BB36_88 Depth=1
	v_add_co_u32 v0, vcc_lo, v113, v0
	v_add_co_ci_u32_e64 v1, null, 0, v114, vcc_lo
	v_mov_b32_e32 v5, 0
	v_add_co_u32 v0, vcc_lo, 0xffffff01, v0
	v_mov_b32_e32 v3, 0
	v_add_co_ci_u32_e64 v1, null, -1, v1, vcc_lo
	v_mov_b32_e32 v6, 0
	v_mov_b32_e32 v4, 0
	s_mov_b32 s13, exec_lo
	v_cmpx_gt_i64_e64 s[8:9], v[0:1]
	s_cbranch_execz .LBB36_85
; %bb.129:                              ;   in Loop: Header=BB36_88 Depth=1
	v_lshlrev_b64 v[0:1], 3, v[0:1]
	v_add_co_u32 v3, vcc_lo, s16, v0
	v_add_co_ci_u32_e64 v4, null, s17, v1, vcc_lo
	v_add_co_u32 v0, vcc_lo, s18, v0
	v_add_co_ci_u32_e64 v1, null, s19, v1, vcc_lo
	global_load_dwordx2 v[5:6], v[3:4], off
	global_load_dwordx2 v[3:4], v[0:1], off
	s_branch .LBB36_85
.LBB36_130:
	buffer_load_dword v35, off, s[36:39], 0 offset:276 ; 4-byte Folded Reload
.LBB36_131:
	buffer_load_dword v2, off, s[36:39], 0 offset:60 ; 4-byte Folded Reload
	s_mov_b32 s0, exec_lo
	s_waitcnt vmcnt(0)
	v_mad_u32_u24 v0, 0x41, v2, v35
	v_sub_nc_u32_e32 v6, v0, v2
	s_clause 0x1
	buffer_load_dword v2, off, s[36:39], 0
	buffer_load_dword v3, off, s[36:39], 0 offset:4
	v_lshl_add_u32 v1, v0, 3, 0
	s_waitcnt vmcnt(0)
	ds_write_b64 v1, v[2:3]
	ds_write_b64 v1, v[37:38] offset:8320
	s_waitcnt lgkmcnt(0)
	s_waitcnt_vscnt null, 0x0
	s_barrier
	buffer_gl0_inv
	v_cmpx_gt_u32_e32 0x800, v6
	s_cbranch_execz .LBB36_147
; %bb.132:
	s_load_dwordx4 s[12:15], s[4:5], 0x30
	v_and_b32_e32 v0, 31, v35
	v_lshrrev_b32_e32 v8, 5, v6
                                        ; implicit-def: $vgpr2_vgpr3
	v_cmp_gt_u32_e64 s0, 16, v0
	v_mul_u32_u24_e32 v7, 0x41, v0
                                        ; implicit-def: $vgpr0_vgpr1
	s_and_saveexec_b32 s1, s0
	s_cbranch_execz .LBB36_134
; %bb.133:
	v_add_nc_u32_e32 v0, v8, v7
	v_lshl_add_u32 v0, v0, 3, 0
	ds_read_b64 v[2:3], v0
	ds_read_b64 v[0:1], v0 offset:8320
.LBB36_134:
	s_or_b32 exec_lo, exec_lo, s1
	v_mbcnt_lo_u32_b32 v14, -1, 0
	s_mov_b32 s7, 0
	v_cmp_eq_u32_e64 s1, 0, v35
	s_lshl_b64 s[2:3], s[6:7], 6
	s_waitcnt lgkmcnt(0)
	s_cmp_lg_u64 s[12:13], 0
	v_xor_b32_e32 v4, 8, v14
	s_cselect_b32 s5, -1, 0
	s_cmp_lg_u64 s[14:15], 0
	s_cselect_b32 s4, -1, 0
	v_cmp_gt_i32_e32 vcc_lo, 32, v4
	v_cndmask_b32_e32 v4, v14, v4, vcc_lo
	v_lshlrev_b32_e32 v9, 2, v4
	ds_bpermute_b32 v4, v9, v2
	ds_bpermute_b32 v5, v9, v3
	;; [unrolled: 1-line block ×4, first 2 shown]
	s_waitcnt lgkmcnt(2)
	v_add_f64 v[2:3], v[2:3], v[4:5]
	v_xor_b32_e32 v4, 4, v14
	s_waitcnt lgkmcnt(0)
	v_add_f64 v[0:1], v[0:1], v[10:11]
	v_cmp_gt_i32_e32 vcc_lo, 32, v4
	v_cndmask_b32_e32 v4, v14, v4, vcc_lo
	v_lshlrev_b32_e32 v10, 2, v4
	ds_bpermute_b32 v4, v10, v2
	ds_bpermute_b32 v5, v10, v3
	;; [unrolled: 1-line block ×4, first 2 shown]
	s_waitcnt lgkmcnt(2)
	v_add_f64 v[2:3], v[2:3], v[4:5]
	v_xor_b32_e32 v4, 2, v14
	s_waitcnt lgkmcnt(0)
	v_add_f64 v[0:1], v[0:1], v[11:12]
	v_cmp_gt_i32_e32 vcc_lo, 32, v4
	v_cndmask_b32_e32 v4, v14, v4, vcc_lo
	v_lshlrev_b32_e32 v11, 2, v4
	ds_bpermute_b32 v4, v11, v2
	ds_bpermute_b32 v5, v11, v3
	;; [unrolled: 1-line block ×4, first 2 shown]
	s_waitcnt lgkmcnt(2)
	v_add_f64 v[2:3], v[2:3], v[4:5]
	s_waitcnt lgkmcnt(0)
	v_add_f64 v[4:5], v[0:1], v[12:13]
	v_xor_b32_e32 v0, 1, v14
	v_cmp_gt_i32_e32 vcc_lo, 32, v0
	v_cndmask_b32_e32 v0, v14, v0, vcc_lo
	v_lshlrev_b32_e32 v12, 2, v0
	ds_bpermute_b32 v0, v12, v2
	ds_bpermute_b32 v1, v12, v3
	;; [unrolled: 1-line block ×4, first 2 shown]
	s_waitcnt lgkmcnt(2)
	v_add_f64 v[0:1], v[2:3], v[0:1]
	s_waitcnt lgkmcnt(0)
	v_add_f64 v[2:3], v[4:5], v[13:14]
	v_or_b32_e32 v4, s2, v8
	v_mov_b32_e32 v5, s3
	v_cmp_gt_i64_e32 vcc_lo, s[10:11], v[4:5]
	s_and_b32 s7, s1, vcc_lo
	s_and_saveexec_b32 s6, s7
	s_cbranch_execz .LBB36_139
; %bb.135:
	v_lshlrev_b64 v[4:5], 3, v[4:5]
	s_andn2_b32 vcc_lo, exec_lo, s5
	s_cbranch_vccnz .LBB36_137
; %bb.136:
	v_add_co_u32 v13, vcc_lo, s12, v4
	v_add_co_ci_u32_e64 v14, null, s13, v5, vcc_lo
	global_store_dwordx2 v[13:14], v[0:1], off
.LBB36_137:
	s_andn2_b32 vcc_lo, exec_lo, s4
	s_cbranch_vccnz .LBB36_139
; %bb.138:
	v_add_co_u32 v4, vcc_lo, s14, v4
	v_add_co_ci_u32_e64 v5, null, s15, v5, vcc_lo
	global_store_dwordx2 v[4:5], v[2:3], off
.LBB36_139:
	s_or_b32 exec_lo, exec_lo, s6
	v_cmp_gt_u32_e32 vcc_lo, 0x400, v6
	s_and_b32 exec_lo, exec_lo, vcc_lo
	s_cbranch_execz .LBB36_147
; %bb.140:
	s_and_saveexec_b32 s6, s0
	s_cbranch_execz .LBB36_142
; %bb.141:
	v_add_nc_u32_e32 v0, v8, v7
	v_lshl_add_u32 v2, v0, 3, 0
	ds_read_b64 v[0:1], v2 offset:256
	ds_read_b64 v[2:3], v2 offset:8576
.LBB36_142:
	s_or_b32 exec_lo, exec_lo, s6
	s_waitcnt lgkmcnt(1)
	ds_bpermute_b32 v4, v9, v0
	ds_bpermute_b32 v5, v9, v1
	s_waitcnt lgkmcnt(2)
	ds_bpermute_b32 v6, v9, v2
	ds_bpermute_b32 v7, v9, v3
	v_add_nc_u32_e32 v9, 32, v8
	v_or_b32_e32 v9, s2, v9
	s_waitcnt lgkmcnt(2)
	v_add_f64 v[0:1], v[0:1], v[4:5]
	s_waitcnt lgkmcnt(0)
	v_add_f64 v[2:3], v[2:3], v[6:7]
	ds_bpermute_b32 v4, v10, v0
	ds_bpermute_b32 v5, v10, v1
	;; [unrolled: 1-line block ×4, first 2 shown]
	v_mov_b32_e32 v10, s3
	v_cmp_gt_i64_e32 vcc_lo, s[10:11], v[9:10]
	s_and_b32 s0, s1, vcc_lo
	s_waitcnt lgkmcnt(2)
	v_add_f64 v[0:1], v[0:1], v[4:5]
	s_waitcnt lgkmcnt(0)
	v_add_f64 v[2:3], v[2:3], v[6:7]
	ds_bpermute_b32 v4, v11, v0
	ds_bpermute_b32 v5, v11, v1
	;; [unrolled: 1-line block ×4, first 2 shown]
	s_waitcnt lgkmcnt(2)
	v_add_f64 v[4:5], v[0:1], v[4:5]
	s_waitcnt lgkmcnt(0)
	v_add_f64 v[0:1], v[2:3], v[6:7]
	ds_bpermute_b32 v6, v12, v4
	ds_bpermute_b32 v7, v12, v5
	;; [unrolled: 1-line block ×4, first 2 shown]
	s_and_b32 exec_lo, exec_lo, s0
	s_cbranch_execz .LBB36_147
; %bb.143:
	s_andn2_b32 vcc_lo, exec_lo, s5
	s_cbranch_vccnz .LBB36_145
; %bb.144:
	s_waitcnt lgkmcnt(2)
	v_add_f64 v[4:5], v[4:5], v[6:7]
	v_add_co_u32 v6, s0, s2, v8
	v_add_co_ci_u32_e64 v7, null, s3, 0, s0
	v_lshlrev_b64 v[6:7], 3, v[6:7]
	v_add_co_u32 v6, vcc_lo, s12, v6
	v_add_co_ci_u32_e64 v7, null, s13, v7, vcc_lo
	global_store_dwordx2 v[6:7], v[4:5], off offset:256
.LBB36_145:
	s_andn2_b32 vcc_lo, exec_lo, s4
	s_cbranch_vccnz .LBB36_147
; %bb.146:
	s_waitcnt lgkmcnt(0)
	v_add_f64 v[0:1], v[0:1], v[2:3]
	v_add_co_u32 v2, s0, s2, v8
	v_add_co_ci_u32_e64 v3, null, s3, 0, s0
	v_lshlrev_b64 v[2:3], 3, v[2:3]
	v_add_co_u32 v2, vcc_lo, s14, v2
	v_add_co_ci_u32_e64 v3, null, s15, v3, vcc_lo
	global_store_dwordx2 v[2:3], v[0:1], off offset:256
.LBB36_147:
	s_endpgm
	.section	.rodata,"a",@progbits
	.p2align	6, 0x0
	.amdhsa_kernel _ZN2at6native12_GLOBAL__N_135GammaBetaBackwardCUDAKernelTemplateIddLj64ELj16ELj256ELb0ELb0ELb0EEEvllPKT_S5_PKT0_S8_PS3_S9_
		.amdhsa_group_segment_fixed_size 0
		.amdhsa_private_segment_fixed_size 328
		.amdhsa_kernarg_size 320
		.amdhsa_user_sgpr_count 6
		.amdhsa_user_sgpr_private_segment_buffer 1
		.amdhsa_user_sgpr_dispatch_ptr 0
		.amdhsa_user_sgpr_queue_ptr 0
		.amdhsa_user_sgpr_kernarg_segment_ptr 1
		.amdhsa_user_sgpr_dispatch_id 0
		.amdhsa_user_sgpr_flat_scratch_init 0
		.amdhsa_user_sgpr_private_segment_size 0
		.amdhsa_wavefront_size32 1
		.amdhsa_uses_dynamic_stack 0
		.amdhsa_system_sgpr_private_segment_wavefront_offset 1
		.amdhsa_system_sgpr_workgroup_id_x 1
		.amdhsa_system_sgpr_workgroup_id_y 1
		.amdhsa_system_sgpr_workgroup_id_z 0
		.amdhsa_system_sgpr_workgroup_info 0
		.amdhsa_system_vgpr_workitem_id 1
		.amdhsa_next_free_vgpr 128
		.amdhsa_next_free_sgpr 40
		.amdhsa_reserve_vcc 1
		.amdhsa_reserve_flat_scratch 0
		.amdhsa_float_round_mode_32 0
		.amdhsa_float_round_mode_16_64 0
		.amdhsa_float_denorm_mode_32 3
		.amdhsa_float_denorm_mode_16_64 3
		.amdhsa_dx10_clamp 1
		.amdhsa_ieee_mode 1
		.amdhsa_fp16_overflow 0
		.amdhsa_workgroup_processor_mode 1
		.amdhsa_memory_ordered 1
		.amdhsa_forward_progress 1
		.amdhsa_shared_vgpr_count 0
		.amdhsa_exception_fp_ieee_invalid_op 0
		.amdhsa_exception_fp_denorm_src 0
		.amdhsa_exception_fp_ieee_div_zero 0
		.amdhsa_exception_fp_ieee_overflow 0
		.amdhsa_exception_fp_ieee_underflow 0
		.amdhsa_exception_fp_ieee_inexact 0
		.amdhsa_exception_int_div_zero 0
	.end_amdhsa_kernel
	.section	.text._ZN2at6native12_GLOBAL__N_135GammaBetaBackwardCUDAKernelTemplateIddLj64ELj16ELj256ELb0ELb0ELb0EEEvllPKT_S5_PKT0_S8_PS3_S9_,"axG",@progbits,_ZN2at6native12_GLOBAL__N_135GammaBetaBackwardCUDAKernelTemplateIddLj64ELj16ELj256ELb0ELb0ELb0EEEvllPKT_S5_PKT0_S8_PS3_S9_,comdat
.Lfunc_end36:
	.size	_ZN2at6native12_GLOBAL__N_135GammaBetaBackwardCUDAKernelTemplateIddLj64ELj16ELj256ELb0ELb0ELb0EEEvllPKT_S5_PKT0_S8_PS3_S9_, .Lfunc_end36-_ZN2at6native12_GLOBAL__N_135GammaBetaBackwardCUDAKernelTemplateIddLj64ELj16ELj256ELb0ELb0ELb0EEEvllPKT_S5_PKT0_S8_PS3_S9_
                                        ; -- End function
	.set _ZN2at6native12_GLOBAL__N_135GammaBetaBackwardCUDAKernelTemplateIddLj64ELj16ELj256ELb0ELb0ELb0EEEvllPKT_S5_PKT0_S8_PS3_S9_.num_vgpr, 128
	.set _ZN2at6native12_GLOBAL__N_135GammaBetaBackwardCUDAKernelTemplateIddLj64ELj16ELj256ELb0ELb0ELb0EEEvllPKT_S5_PKT0_S8_PS3_S9_.num_agpr, 0
	.set _ZN2at6native12_GLOBAL__N_135GammaBetaBackwardCUDAKernelTemplateIddLj64ELj16ELj256ELb0ELb0ELb0EEEvllPKT_S5_PKT0_S8_PS3_S9_.numbered_sgpr, 40
	.set _ZN2at6native12_GLOBAL__N_135GammaBetaBackwardCUDAKernelTemplateIddLj64ELj16ELj256ELb0ELb0ELb0EEEvllPKT_S5_PKT0_S8_PS3_S9_.num_named_barrier, 0
	.set _ZN2at6native12_GLOBAL__N_135GammaBetaBackwardCUDAKernelTemplateIddLj64ELj16ELj256ELb0ELb0ELb0EEEvllPKT_S5_PKT0_S8_PS3_S9_.private_seg_size, 328
	.set _ZN2at6native12_GLOBAL__N_135GammaBetaBackwardCUDAKernelTemplateIddLj64ELj16ELj256ELb0ELb0ELb0EEEvllPKT_S5_PKT0_S8_PS3_S9_.uses_vcc, 1
	.set _ZN2at6native12_GLOBAL__N_135GammaBetaBackwardCUDAKernelTemplateIddLj64ELj16ELj256ELb0ELb0ELb0EEEvllPKT_S5_PKT0_S8_PS3_S9_.uses_flat_scratch, 0
	.set _ZN2at6native12_GLOBAL__N_135GammaBetaBackwardCUDAKernelTemplateIddLj64ELj16ELj256ELb0ELb0ELb0EEEvllPKT_S5_PKT0_S8_PS3_S9_.has_dyn_sized_stack, 0
	.set _ZN2at6native12_GLOBAL__N_135GammaBetaBackwardCUDAKernelTemplateIddLj64ELj16ELj256ELb0ELb0ELb0EEEvllPKT_S5_PKT0_S8_PS3_S9_.has_recursion, 0
	.set _ZN2at6native12_GLOBAL__N_135GammaBetaBackwardCUDAKernelTemplateIddLj64ELj16ELj256ELb0ELb0ELb0EEEvllPKT_S5_PKT0_S8_PS3_S9_.has_indirect_call, 0
	.section	.AMDGPU.csdata,"",@progbits
; Kernel info:
; codeLenInByte = 22392
; TotalNumSgprs: 42
; NumVgprs: 128
; ScratchSize: 328
; MemoryBound: 0
; FloatMode: 240
; IeeeMode: 1
; LDSByteSize: 0 bytes/workgroup (compile time only)
; SGPRBlocks: 0
; VGPRBlocks: 15
; NumSGPRsForWavesPerEU: 42
; NumVGPRsForWavesPerEU: 128
; Occupancy: 8
; WaveLimiterHint : 0
; COMPUTE_PGM_RSRC2:SCRATCH_EN: 1
; COMPUTE_PGM_RSRC2:USER_SGPR: 6
; COMPUTE_PGM_RSRC2:TRAP_HANDLER: 0
; COMPUTE_PGM_RSRC2:TGID_X_EN: 1
; COMPUTE_PGM_RSRC2:TGID_Y_EN: 1
; COMPUTE_PGM_RSRC2:TGID_Z_EN: 0
; COMPUTE_PGM_RSRC2:TIDIG_COMP_CNT: 1
	.section	.text._ZN2at6native12_GLOBAL__N_135GammaBetaBackwardCUDAKernelTemplateIddLj32ELj1ELj32ELb1ELb1ELb0EEEvllPKT_S5_PKT0_S8_PS3_S9_,"axG",@progbits,_ZN2at6native12_GLOBAL__N_135GammaBetaBackwardCUDAKernelTemplateIddLj32ELj1ELj32ELb1ELb1ELb0EEEvllPKT_S5_PKT0_S8_PS3_S9_,comdat
	.globl	_ZN2at6native12_GLOBAL__N_135GammaBetaBackwardCUDAKernelTemplateIddLj32ELj1ELj32ELb1ELb1ELb0EEEvllPKT_S5_PKT0_S8_PS3_S9_ ; -- Begin function _ZN2at6native12_GLOBAL__N_135GammaBetaBackwardCUDAKernelTemplateIddLj32ELj1ELj32ELb1ELb1ELb0EEEvllPKT_S5_PKT0_S8_PS3_S9_
	.p2align	8
	.type	_ZN2at6native12_GLOBAL__N_135GammaBetaBackwardCUDAKernelTemplateIddLj32ELj1ELj32ELb1ELb1ELb0EEEvllPKT_S5_PKT0_S8_PS3_S9_,@function
_ZN2at6native12_GLOBAL__N_135GammaBetaBackwardCUDAKernelTemplateIddLj32ELj1ELj32ELb1ELb1ELb0EEEvllPKT_S5_PKT0_S8_PS3_S9_: ; @_ZN2at6native12_GLOBAL__N_135GammaBetaBackwardCUDAKernelTemplateIddLj32ELj1ELj32ELb1ELb1ELb0EEEvllPKT_S5_PKT0_S8_PS3_S9_
; %bb.0:
	s_load_dwordx4 s[0:3], s[4:5], 0x0
	s_lshl_b32 s20, s7, 5
	s_mov_b32 s21, 0
	s_waitcnt lgkmcnt(0)
	v_cmp_gt_i64_e64 s8, s[0:1], s[20:21]
	s_and_b32 vcc_lo, exec_lo, s8
	s_cbranch_vccnz .LBB37_2
; %bb.1:
	s_add_u32 s22, s4, 64
	s_addc_u32 s23, s5, 0
	s_mov_b32 s8, s21
	s_branch .LBB37_3
.LBB37_2:
	s_mov_b32 s8, -1
                                        ; implicit-def: $sgpr22_sgpr23
.LBB37_3:
	s_load_dwordx4 s[16:19], s[4:5], 0x30
	v_mov_b32_e32 v12, 0
	v_mov_b32_e32 v18, 0
	;; [unrolled: 1-line block ×4, first 2 shown]
	s_andn2_b32 vcc_lo, exec_lo, s8
	s_cbranch_vccnz .LBB37_8
; %bb.4:
	s_clause 0x2
	s_load_dword s24, s[4:5], 0x4c
	s_load_dword s26, s[4:5], 0x44
	s_load_dwordx8 s[8:15], s[4:5], 0x10
	v_lshlrev_b32_e32 v4, 5, v1
	s_add_u32 s22, s4, 64
	s_addc_u32 s23, s5, 0
	v_mov_b32_e32 v3, 0
	v_lshl_or_b32 v2, s6, 5, v0
	v_mov_b32_e32 v18, 0
	v_mov_b32_e32 v12, 0
	;; [unrolled: 1-line block ×12, first 2 shown]
	s_waitcnt lgkmcnt(0)
	s_and_b32 s4, s24, 0xffff
	s_lshl_b32 s24, s26, 5
	v_mad_u32_u24 v5, v1, s4, v0
	v_add_co_u32 v7, s4, v4, s20
	v_add_co_ci_u32_e64 v10, null, 0, 0, s4
	v_and_b32_e32 v6, 31, v5
	v_mul_lo_u32 v8, s3, v7
	v_mad_u64_u32 v[4:5], null, s2, v7, 0
	v_mul_lo_u32 v9, s2, v10
	s_mul_i32 s4, s3, s24
	s_mul_hi_u32 s5, s2, s24
	v_mov_b32_e32 v66, 44
	v_mov_b32_e32 v67, 48
	;; [unrolled: 1-line block ×5, first 2 shown]
	v_add3_u32 v5, v5, v9, v8
	v_mov_b32_e32 v71, 64
	v_mov_b32_e32 v72, 0x44
	v_mov_b32_e32 v73, 0x48
	v_mov_b32_e32 v74, 0x4c
	v_lshlrev_b64 v[8:9], 3, v[4:5]
	v_add_co_u32 v4, vcc_lo, v7, v6
	v_add_co_ci_u32_e64 v5, null, 0, v10, vcc_lo
	v_lshlrev_b64 v[10:11], 3, v[2:3]
	v_mov_b32_e32 v75, 0x50
	v_mov_b32_e32 v76, 0x54
	v_lshlrev_b64 v[6:7], 3, v[4:5]
	v_mov_b32_e32 v77, 0x58
	v_mov_b32_e32 v78, 0x5c
	v_add_co_u32 v2, vcc_lo, v8, v10
	v_mov_b32_e32 v79, 0x60
	v_mov_b32_e32 v80, 0x64
	;; [unrolled: 1-line block ×10, first 2 shown]
	v_add_co_ci_u32_e64 v87, null, v9, v11, vcc_lo
	s_mov_b32 s25, 0
	s_add_i32 s5, s5, s4
	s_mul_i32 s4, s2, s24
	s_lshl_b64 s[26:27], s[24:25], 3
	s_lshl_b64 s[4:5], s[4:5], 3
	;; [unrolled: 1-line block ×3, first 2 shown]
	s_branch .LBB37_6
.LBB37_5:                               ;   in Loop: Header=BB37_6 Depth=1
	s_or_b32 exec_lo, exec_lo, s25
	v_add_co_u32 v14, vcc_lo, s10, v2
	v_add_co_ci_u32_e64 v15, null, s11, v87, vcc_lo
	s_waitcnt vmcnt(1)
	ds_bpermute_b32 v48, v3, v10
	v_add_co_u32 v16, vcc_lo, v14, s28
	global_load_dwordx2 v[32:33], v[14:15], off
	v_add_co_ci_u32_e64 v17, null, s29, v15, vcc_lo
	v_add_co_u32 v20, vcc_lo, s8, v2
	v_add_co_ci_u32_e64 v21, null, s9, v87, vcc_lo
	global_load_dwordx2 v[38:39], v[16:17], off
	global_load_dwordx2 v[14:15], v[20:21], off
	v_add_co_u32 v22, vcc_lo, v16, s28
	v_add_co_ci_u32_e64 v23, null, s29, v17, vcc_lo
	v_add_co_u32 v20, vcc_lo, v20, s28
	v_add_co_ci_u32_e64 v21, null, s29, v21, vcc_lo
	global_load_dwordx2 v[42:43], v[22:23], off
	global_load_dwordx2 v[16:17], v[20:21], off
	v_add_co_u32 v22, vcc_lo, v22, s28
	;; [unrolled: 6-line block ×7, first 2 shown]
	v_add_co_ci_u32_e64 v37, null, s29, v31, vcc_lo
	v_add_co_u32 v34, vcc_lo, v34, s28
	v_add_co_ci_u32_e64 v35, null, s29, v35, vcc_lo
	global_load_dwordx2 v[30:31], v[36:37], off
	v_add_co_u32 v52, vcc_lo, v36, s28
	global_load_dwordx2 v[40:41], v[34:35], off
	ds_bpermute_b32 v49, v3, v11
	v_add_co_ci_u32_e64 v53, null, s29, v37, vcc_lo
	v_add_co_u32 v34, vcc_lo, v34, s28
	v_add_co_ci_u32_e64 v35, null, s29, v35, vcc_lo
	global_load_dwordx2 v[36:37], v[52:53], off
	global_load_dwordx2 v[50:51], v[34:35], off
	ds_bpermute_b32 v54, v56, v10
	ds_bpermute_b32 v55, v56, v11
	;; [unrolled: 1-line block ×4, first 2 shown]
	s_waitcnt vmcnt(19)
	ds_bpermute_b32 v98, v3, v8
	ds_bpermute_b32 v99, v3, v9
	;; [unrolled: 1-line block ×8, first 2 shown]
	s_add_u32 s20, s20, s24
	s_addc_u32 s21, s21, 0
	v_cmp_lt_i64_e64 s25, s[20:21], s[0:1]
	s_waitcnt vmcnt(18) lgkmcnt(12)
	v_add_f64 v[32:33], v[32:33], -v[48:49]
	v_add_co_u32 v48, vcc_lo, v34, s28
	v_add_co_ci_u32_e64 v49, null, s29, v35, vcc_lo
	v_add_co_u32 v94, vcc_lo, v52, s28
	v_add_co_ci_u32_e64 v95, null, s29, v53, vcc_lo
	global_load_dwordx2 v[52:53], v[48:49], off
	v_add_co_u32 v100, vcc_lo, v48, s28
	global_load_dwordx2 v[34:35], v[94:95], off
	s_waitcnt vmcnt(19) lgkmcnt(10)
	v_add_f64 v[38:39], v[38:39], -v[54:55]
	v_add_co_ci_u32_e64 v101, null, s29, v49, vcc_lo
	v_add_co_u32 v94, vcc_lo, v94, s28
	v_add_co_ci_u32_e64 v95, null, s29, v95, vcc_lo
	s_waitcnt vmcnt(17) lgkmcnt(8)
	v_add_f64 v[42:43], v[42:43], -v[96:97]
	v_add_f64 v[12:13], v[12:13], v[14:15]
	v_mul_f64 v[54:55], v[14:15], v[32:33]
	global_load_dwordx2 v[48:49], v[100:101], off
	global_load_dwordx2 v[32:33], v[94:95], off
	v_add_co_u32 v94, vcc_lo, v94, s28
	v_add_co_ci_u32_e64 v95, null, s29, v95, vcc_lo
	v_add_co_u32 v100, vcc_lo, v100, s28
	v_add_co_ci_u32_e64 v101, null, s29, v101, vcc_lo
	s_waitcnt vmcnt(17) lgkmcnt(4)
	v_add_f64 v[44:45], v[44:45], -v[102:103]
	ds_bpermute_b32 v102, v60, v10
	ds_bpermute_b32 v103, v60, v11
	v_mul_f64 v[38:39], v[16:17], v[38:39]
	s_waitcnt vmcnt(15) lgkmcnt(4)
	v_add_f64 v[46:47], v[46:47], -v[104:105]
	v_mul_f64 v[42:43], v[20:21], v[42:43]
	ds_bpermute_b32 v104, v61, v10
	v_fma_f64 v[96:97], v[54:55], v[98:99], v[18:19]
	ds_bpermute_b32 v98, v56, v8
	ds_bpermute_b32 v99, v56, v9
	global_load_dwordx2 v[18:19], v[94:95], off
	global_load_dwordx2 v[54:55], v[100:101], off
	v_add_co_u32 v94, vcc_lo, v94, s28
	v_add_co_ci_u32_e64 v95, null, s29, v95, vcc_lo
	v_add_co_u32 v100, vcc_lo, v100, s28
	v_add_co_ci_u32_e64 v101, null, s29, v101, vcc_lo
	s_waitcnt vmcnt(16)
	v_mul_f64 v[44:45], v[22:23], v[44:45]
	s_waitcnt vmcnt(15) lgkmcnt(3)
	v_add_f64 v[88:89], v[88:89], -v[102:103]
	ds_bpermute_b32 v105, v61, v11
	ds_bpermute_b32 v102, v60, v8
	;; [unrolled: 1-line block ×3, first 2 shown]
	v_add_f64 v[12:13], v[12:13], v[16:17]
	s_waitcnt vmcnt(14)
	v_mul_f64 v[46:47], v[24:25], v[46:47]
	s_waitcnt lgkmcnt(3)
	v_fma_f64 v[96:97], v[38:39], v[98:99], v[96:97]
	ds_bpermute_b32 v98, v57, v8
	ds_bpermute_b32 v99, v57, v9
	global_load_dwordx2 v[38:39], v[94:95], off
	global_load_dwordx2 v[106:107], v[100:101], off
	v_add_co_u32 v94, vcc_lo, v94, s28
	v_add_co_ci_u32_e64 v95, null, s29, v95, vcc_lo
	s_waitcnt vmcnt(15) lgkmcnt(4)
	v_add_f64 v[90:91], v[90:91], -v[104:105]
	s_waitcnt vmcnt(14)
	v_mul_f64 v[88:89], v[26:27], v[88:89]
	ds_bpermute_b32 v104, v61, v8
	ds_bpermute_b32 v105, v61, v9
	v_add_f64 v[12:13], v[12:13], v[20:21]
	ds_bpermute_b32 v20, v65, v10
	ds_bpermute_b32 v21, v65, v11
	s_waitcnt lgkmcnt(4)
	v_fma_f64 v[96:97], v[42:43], v[98:99], v[96:97]
	ds_bpermute_b32 v98, v58, v8
	ds_bpermute_b32 v99, v58, v9
	global_load_dwordx2 v[42:43], v[94:95], off
	s_waitcnt vmcnt(13)
	v_mul_f64 v[90:91], v[28:29], v[90:91]
	v_add_f64 v[12:13], v[12:13], v[22:23]
	s_waitcnt lgkmcnt(0)
	v_fma_f64 v[44:45], v[44:45], v[98:99], v[96:97]
	v_add_co_u32 v96, vcc_lo, v100, s28
	v_add_co_ci_u32_e64 v97, null, s29, v101, vcc_lo
	v_add_co_u32 v94, vcc_lo, v94, s28
	v_add_co_ci_u32_e64 v95, null, s29, v95, vcc_lo
	global_load_dwordx2 v[98:99], v[96:97], off
	ds_bpermute_b32 v100, v62, v10
	ds_bpermute_b32 v101, v62, v11
	v_add_co_u32 v96, vcc_lo, v96, s28
	v_add_co_ci_u32_e64 v97, null, s29, v97, vcc_lo
	v_add_f64 v[12:13], v[12:13], v[24:25]
	ds_bpermute_b32 v24, v66, v8
	ds_bpermute_b32 v25, v66, v9
	v_fma_f64 v[46:47], v[46:47], v[108:109], v[44:45]
	global_load_dwordx2 v[44:45], v[94:95], off
	s_waitcnt lgkmcnt(2)
	v_add_f64 v[92:93], v[92:93], -v[100:101]
	ds_bpermute_b32 v100, v62, v8
	ds_bpermute_b32 v101, v62, v9
	v_add_f64 v[12:13], v[12:13], v[26:27]
	v_fma_f64 v[46:47], v[88:89], v[102:103], v[46:47]
	global_load_dwordx2 v[88:89], v[96:97], off
	v_add_co_u32 v96, vcc_lo, v96, s28
	v_add_co_ci_u32_e64 v97, null, s29, v97, vcc_lo
	v_add_co_u32 v94, vcc_lo, v94, s28
	v_add_co_ci_u32_e64 v95, null, s29, v95, vcc_lo
	s_waitcnt vmcnt(15)
	v_mul_f64 v[92:93], v[30:31], v[92:93]
	v_add_f64 v[12:13], v[12:13], v[28:29]
	ds_bpermute_b32 v28, v68, v8
	ds_bpermute_b32 v29, v68, v9
	v_fma_f64 v[90:91], v[90:91], v[104:105], v[46:47]
	global_load_dwordx2 v[102:103], v[96:97], off
	global_load_dwordx2 v[46:47], v[94:95], off
	v_add_co_u32 v96, vcc_lo, v96, s28
	v_add_co_ci_u32_e64 v97, null, s29, v97, vcc_lo
	v_add_co_u32 v94, vcc_lo, v94, s28
	v_add_co_ci_u32_e64 v95, null, s29, v95, vcc_lo
	global_load_dwordx2 v[104:105], v[96:97], off
	v_add_f64 v[12:13], v[12:13], v[30:31]
	ds_bpermute_b32 v30, v69, v8
	ds_bpermute_b32 v31, v69, v9
	s_waitcnt lgkmcnt(4)
	v_fma_f64 v[90:91], v[92:93], v[100:101], v[90:91]
	global_load_dwordx2 v[92:93], v[94:95], off
	v_add_co_u32 v94, vcc_lo, v94, s28
	v_add_co_ci_u32_e64 v95, null, s29, v95, vcc_lo
	v_add_co_u32 v14, vcc_lo, v96, s28
	v_add_co_ci_u32_e64 v15, null, s29, v97, vcc_lo
	global_load_dwordx2 v[100:101], v[94:95], off
	ds_bpermute_b32 v96, v63, v10
	ds_bpermute_b32 v97, v63, v11
	global_load_dwordx2 v[16:17], v[14:15], off
	v_add_co_u32 v14, vcc_lo, v14, s28
	v_add_co_ci_u32_e64 v15, null, s29, v15, vcc_lo
	v_add_co_u32 v22, vcc_lo, v94, s28
	v_add_co_ci_u32_e64 v23, null, s29, v95, vcc_lo
	ds_bpermute_b32 v94, v67, v10
	ds_bpermute_b32 v95, v67, v11
	s_waitcnt vmcnt(19)
	v_add_f64 v[12:13], v[12:13], v[36:37]
	s_waitcnt lgkmcnt(2)
	v_add_f64 v[40:41], v[40:41], -v[96:97]
	ds_bpermute_b32 v96, v64, v10
	ds_bpermute_b32 v97, v64, v11
	s_waitcnt vmcnt(18) lgkmcnt(0)
	v_add_f64 v[50:51], v[50:51], -v[96:97]
	v_mul_f64 v[40:41], v[36:37], v[40:41]
	ds_bpermute_b32 v96, v63, v8
	ds_bpermute_b32 v97, v63, v9
	s_waitcnt lgkmcnt(0)
	v_fma_f64 v[40:41], v[40:41], v[96:97], v[90:91]
	ds_bpermute_b32 v90, v64, v8
	ds_bpermute_b32 v91, v64, v9
	global_load_dwordx2 v[96:97], v[14:15], off
	s_waitcnt vmcnt(18)
	v_add_f64 v[20:21], v[52:53], -v[20:21]
	ds_bpermute_b32 v52, v66, v10
	ds_bpermute_b32 v53, v66, v11
	s_waitcnt vmcnt(17)
	v_mul_f64 v[50:51], v[34:35], v[50:51]
	v_add_f64 v[12:13], v[12:13], v[34:35]
	ds_bpermute_b32 v34, v72, v10
	ds_bpermute_b32 v35, v72, v11
	s_waitcnt vmcnt(16) lgkmcnt(2)
	v_add_f64 v[48:49], v[48:49], -v[52:53]
	global_load_dwordx2 v[52:53], v[22:23], off
	s_waitcnt vmcnt(16)
	v_mul_f64 v[20:21], v[32:33], v[20:21]
	v_fma_f64 v[40:41], v[50:51], v[90:91], v[40:41]
	ds_bpermute_b32 v50, v65, v8
	ds_bpermute_b32 v51, v65, v9
	v_add_co_u32 v22, vcc_lo, v22, s28
	v_add_co_ci_u32_e64 v23, null, s29, v23, vcc_lo
	v_add_co_u32 v14, vcc_lo, v14, s28
	v_add_co_ci_u32_e64 v15, null, s29, v15, vcc_lo
	ds_bpermute_b32 v90, v68, v10
	ds_bpermute_b32 v91, v68, v11
	s_waitcnt vmcnt(14)
	v_add_f64 v[54:55], v[54:55], -v[94:95]
	global_load_dwordx2 v[94:95], v[22:23], off
	v_add_f64 v[12:13], v[12:13], v[32:33]
	v_mul_f64 v[48:49], v[18:19], v[48:49]
	s_waitcnt lgkmcnt(2)
	v_fma_f64 v[20:21], v[20:21], v[50:51], v[40:41]
	global_load_dwordx2 v[40:41], v[14:15], off
	v_add_co_u32 v14, vcc_lo, v14, s28
	v_add_co_ci_u32_e64 v15, null, s29, v15, vcc_lo
	v_add_co_u32 v22, vcc_lo, v22, s28
	v_add_co_ci_u32_e64 v23, null, s29, v23, vcc_lo
	global_load_dwordx2 v[26:27], v[14:15], off
	ds_bpermute_b32 v50, v67, v8
	ds_bpermute_b32 v51, v67, v9
	s_waitcnt vmcnt(15) lgkmcnt(2)
	v_add_f64 v[90:91], v[106:107], -v[90:91]
	v_mul_f64 v[54:55], v[38:39], v[54:55]
	v_add_co_u32 v14, vcc_lo, v14, s28
	v_add_co_ci_u32_e64 v15, null, s29, v15, vcc_lo
	v_add_f64 v[12:13], v[12:13], v[18:19]
	v_fma_f64 v[20:21], v[48:49], v[24:25], v[20:21]
	global_load_dwordx2 v[24:25], v[22:23], off
	v_add_co_u32 v22, vcc_lo, v22, s28
	v_add_co_ci_u32_e64 v23, null, s29, v23, vcc_lo
	global_load_dwordx2 v[106:107], v[14:15], off
	ds_bpermute_b32 v48, v69, v10
	ds_bpermute_b32 v49, v69, v11
	v_add_co_u32 v14, vcc_lo, v14, s28
	v_add_co_ci_u32_e64 v15, null, s29, v15, vcc_lo
	s_waitcnt vmcnt(16)
	v_mul_f64 v[90:91], v[42:43], v[90:91]
	v_add_f64 v[12:13], v[12:13], v[38:39]
	s_waitcnt lgkmcnt(2)
	v_fma_f64 v[20:21], v[54:55], v[50:51], v[20:21]
	global_load_dwordx2 v[50:51], v[22:23], off
	v_add_co_u32 v22, vcc_lo, v22, s28
	v_add_co_ci_u32_e64 v23, null, s29, v23, vcc_lo
	ds_bpermute_b32 v54, v70, v10
	ds_bpermute_b32 v55, v70, v11
	v_add_f64 v[12:13], v[12:13], v[42:43]
	s_waitcnt vmcnt(16) lgkmcnt(2)
	v_add_f64 v[48:49], v[98:99], -v[48:49]
	global_load_dwordx2 v[98:99], v[14:15], off
	v_fma_f64 v[20:21], v[90:91], v[28:29], v[20:21]
	global_load_dwordx2 v[28:29], v[22:23], off
	v_add_co_u32 v22, vcc_lo, v22, s28
	v_add_co_ci_u32_e64 v23, null, s29, v23, vcc_lo
	v_add_co_u32 v14, vcc_lo, v14, s28
	v_add_co_ci_u32_e64 v15, null, s29, v15, vcc_lo
	global_load_dwordx2 v[90:91], v[22:23], off
	v_add_co_u32 v22, vcc_lo, v22, s28
	v_add_co_ci_u32_e64 v23, null, s29, v23, vcc_lo
	v_add_co_u32 v36, vcc_lo, v14, s28
	v_add_co_ci_u32_e64 v37, null, s29, v15, vcc_lo
	global_load_dwordx2 v[14:15], v[14:15], off
	s_waitcnt vmcnt(19)
	v_mul_f64 v[48:49], v[44:45], v[48:49]
	v_add_f64 v[12:13], v[12:13], v[44:45]
	s_waitcnt vmcnt(18) lgkmcnt(0)
	v_add_f64 v[54:55], v[88:89], -v[54:55]
	ds_bpermute_b32 v88, v71, v10
	ds_bpermute_b32 v89, v71, v11
	v_fma_f64 v[20:21], v[48:49], v[30:31], v[20:21]
	global_load_dwordx2 v[30:31], v[22:23], off
	global_load_dwordx2 v[48:49], v[36:37], off
	v_add_co_u32 v22, vcc_lo, v22, s28
	v_add_co_ci_u32_e64 v23, null, s29, v23, vcc_lo
	v_add_co_u32 v32, vcc_lo, v36, s28
	v_add_co_ci_u32_e64 v33, null, s29, v37, vcc_lo
	global_load_dwordx2 v[36:37], v[22:23], off
	v_add_co_u32 v22, vcc_lo, v22, s28
	s_waitcnt vmcnt(20) lgkmcnt(0)
	v_add_f64 v[88:89], v[102:103], -v[88:89]
	s_waitcnt vmcnt(19)
	v_mul_f64 v[54:55], v[46:47], v[54:55]
	ds_bpermute_b32 v102, v70, v8
	ds_bpermute_b32 v103, v70, v9
	v_add_co_ci_u32_e64 v23, null, s29, v23, vcc_lo
	v_add_co_u32 v18, vcc_lo, v32, s28
	s_waitcnt vmcnt(18)
	v_add_f64 v[34:35], v[104:105], -v[34:35]
	global_load_dwordx2 v[104:105], v[32:33], off
	v_add_co_ci_u32_e64 v19, null, s29, v33, vcc_lo
	v_add_f64 v[12:13], v[12:13], v[46:47]
	s_waitcnt vmcnt(18)
	v_mul_f64 v[88:89], v[92:93], v[88:89]
	s_waitcnt lgkmcnt(0)
	v_fma_f64 v[20:21], v[54:55], v[102:103], v[20:21]
	ds_bpermute_b32 v54, v71, v8
	ds_bpermute_b32 v55, v71, v9
	global_load_dwordx2 v[32:33], v[22:23], off
	global_load_dwordx2 v[102:103], v[18:19], off
	v_add_co_u32 v18, vcc_lo, v18, s28
	v_add_co_ci_u32_e64 v19, null, s29, v19, vcc_lo
	v_add_co_u32 v22, vcc_lo, v22, s28
	s_waitcnt vmcnt(19)
	v_mul_f64 v[34:35], v[100:101], v[34:35]
	v_add_co_ci_u32_e64 v23, null, s29, v23, vcc_lo
	v_add_f64 v[12:13], v[12:13], v[92:93]
	ds_bpermute_b32 v92, v74, v10
	ds_bpermute_b32 v93, v74, v11
	s_waitcnt lgkmcnt(2)
	v_fma_f64 v[20:21], v[88:89], v[54:55], v[20:21]
	ds_bpermute_b32 v54, v72, v8
	ds_bpermute_b32 v55, v72, v9
	global_load_dwordx2 v[38:39], v[18:19], off
	global_load_dwordx2 v[88:89], v[22:23], off
	v_add_co_u32 v22, vcc_lo, v22, s28
	v_add_co_ci_u32_e64 v23, null, s29, v23, vcc_lo
	v_add_co_u32 v18, vcc_lo, v18, s28
	v_add_co_ci_u32_e64 v19, null, s29, v19, vcc_lo
	v_add_f64 v[12:13], v[12:13], v[100:101]
	ds_bpermute_b32 v100, v75, v10
	ds_bpermute_b32 v101, v75, v11
	s_waitcnt lgkmcnt(2)
	v_fma_f64 v[20:21], v[34:35], v[54:55], v[20:21]
	v_add_co_u32 v54, vcc_lo, v22, s28
	ds_bpermute_b32 v34, v73, v10
	ds_bpermute_b32 v35, v73, v11
	v_add_co_ci_u32_e64 v55, null, s29, v23, vcc_lo
	v_add_co_u32 v42, vcc_lo, v18, s28
	v_add_co_ci_u32_e64 v43, null, s29, v19, vcc_lo
	global_load_dwordx2 v[18:19], v[18:19], off
	global_load_dwordx2 v[22:23], v[22:23], off
	s_waitcnt vmcnt(22) lgkmcnt(0)
	v_add_f64 v[16:17], v[16:17], -v[34:35]
	v_add_co_u32 v34, vcc_lo, v54, s28
	v_add_co_ci_u32_e64 v35, null, s29, v55, vcc_lo
	v_add_co_u32 v44, vcc_lo, v42, s28
	v_add_co_ci_u32_e64 v45, null, s29, v43, vcc_lo
	global_load_dwordx2 v[42:43], v[42:43], off
	global_load_dwordx2 v[54:55], v[54:55], off
	v_add_co_u32 v46, vcc_lo, v34, s28
	v_add_co_ci_u32_e64 v47, null, s29, v35, vcc_lo
	global_load_dwordx2 v[44:45], v[44:45], off
	global_load_dwordx2 v[34:35], v[34:35], off
	global_load_dwordx2 v[46:47], v[46:47], off
	s_waitcnt vmcnt(26)
	v_add_f64 v[92:93], v[96:97], -v[92:93]
	ds_bpermute_b32 v96, v73, v8
	ds_bpermute_b32 v97, v73, v9
	v_add_co_u32 v2, vcc_lo, v2, s4
	v_add_co_ci_u32_e64 v87, null, s5, v87, vcc_lo
	v_add_co_u32 v6, vcc_lo, v6, s26
	v_add_co_ci_u32_e64 v7, null, s27, v7, vcc_lo
	;; [unrolled: 2-line block ×3, first 2 shown]
	s_and_b32 vcc_lo, exec_lo, s25
	s_waitcnt vmcnt(25)
	v_mul_f64 v[16:17], v[52:53], v[16:17]
	v_add_f64 v[12:13], v[12:13], v[52:53]
	ds_bpermute_b32 v52, v77, v10
	ds_bpermute_b32 v53, v77, v11
	s_waitcnt vmcnt(24)
	v_mul_f64 v[92:93], v[94:95], v[92:93]
	s_waitcnt lgkmcnt(2)
	v_fma_f64 v[16:17], v[16:17], v[96:97], v[20:21]
	ds_bpermute_b32 v20, v74, v8
	ds_bpermute_b32 v96, v76, v10
	s_waitcnt vmcnt(23)
	v_add_f64 v[40:41], v[40:41], -v[100:101]
	ds_bpermute_b32 v97, v76, v11
	ds_bpermute_b32 v21, v74, v9
	v_add_f64 v[12:13], v[12:13], v[94:95]
	ds_bpermute_b32 v100, v75, v8
	ds_bpermute_b32 v101, v75, v9
	s_waitcnt vmcnt(22) lgkmcnt(3)
	v_add_f64 v[26:27], v[26:27], -v[96:97]
	s_waitcnt vmcnt(21)
	v_mul_f64 v[40:41], v[24:25], v[40:41]
	s_waitcnt lgkmcnt(2)
	v_fma_f64 v[16:17], v[92:93], v[20:21], v[16:17]
	ds_bpermute_b32 v20, v76, v8
	v_add_f64 v[12:13], v[12:13], v[24:25]
	ds_bpermute_b32 v92, v78, v10
	s_waitcnt vmcnt(20)
	v_add_f64 v[52:53], v[106:107], -v[52:53]
	ds_bpermute_b32 v93, v78, v11
	ds_bpermute_b32 v21, v76, v9
	;; [unrolled: 1-line block ×4, first 2 shown]
	s_waitcnt vmcnt(19)
	v_mul_f64 v[26:27], v[50:51], v[26:27]
	s_waitcnt lgkmcnt(6)
	v_fma_f64 v[16:17], v[40:41], v[100:101], v[16:17]
	ds_bpermute_b32 v40, v79, v10
	v_add_f64 v[12:13], v[12:13], v[50:51]
	ds_bpermute_b32 v41, v79, v11
	s_waitcnt vmcnt(18) lgkmcnt(5)
	v_add_f64 v[92:93], v[98:99], -v[92:93]
	s_waitcnt vmcnt(17)
	v_mul_f64 v[52:53], v[28:29], v[52:53]
	s_waitcnt lgkmcnt(4)
	v_fma_f64 v[16:17], v[26:27], v[20:21], v[16:17]
	ds_bpermute_b32 v20, v78, v8
	v_add_f64 v[12:13], v[12:13], v[28:29]
	ds_bpermute_b32 v26, v80, v10
	ds_bpermute_b32 v27, v80, v11
	;; [unrolled: 1-line block ×5, first 2 shown]
	s_waitcnt vmcnt(15) lgkmcnt(6)
	v_add_f64 v[14:15], v[14:15], -v[40:41]
	v_mul_f64 v[40:41], v[90:91], v[92:93]
	v_fma_f64 v[16:17], v[52:53], v[24:25], v[16:17]
	ds_bpermute_b32 v24, v79, v8
	v_add_f64 v[12:13], v[12:13], v[90:91]
	ds_bpermute_b32 v25, v79, v9
	s_waitcnt vmcnt(14)
	v_mul_f64 v[14:15], v[30:31], v[14:15]
	s_waitcnt vmcnt(13) lgkmcnt(5)
	v_add_f64 v[26:27], v[48:49], -v[26:27]
	s_waitcnt lgkmcnt(4)
	v_fma_f64 v[16:17], v[40:41], v[20:21], v[16:17]
	ds_bpermute_b32 v20, v80, v8
	v_add_f64 v[12:13], v[12:13], v[30:31]
	ds_bpermute_b32 v40, v82, v10
	ds_bpermute_b32 v41, v82, v11
	;; [unrolled: 1-line block ×3, first 2 shown]
	s_waitcnt vmcnt(11) lgkmcnt(6)
	v_add_f64 v[28:29], v[104:105], -v[28:29]
	v_mul_f64 v[26:27], v[36:37], v[26:27]
	s_waitcnt lgkmcnt(4)
	v_fma_f64 v[14:15], v[14:15], v[24:25], v[16:17]
	ds_bpermute_b32 v16, v81, v8
	v_add_f64 v[12:13], v[12:13], v[36:37]
	ds_bpermute_b32 v24, v83, v10
	ds_bpermute_b32 v25, v83, v11
	;; [unrolled: 1-line block ×3, first 2 shown]
	s_waitcnt vmcnt(9) lgkmcnt(5)
	v_add_f64 v[30:31], v[102:103], -v[40:41]
	v_mul_f64 v[28:29], v[32:33], v[28:29]
	s_waitcnt lgkmcnt(4)
	v_fma_f64 v[14:15], v[26:27], v[20:21], v[14:15]
	ds_bpermute_b32 v20, v82, v8
	v_add_f64 v[12:13], v[12:13], v[32:33]
	ds_bpermute_b32 v26, v84, v10
	ds_bpermute_b32 v27, v84, v11
	;; [unrolled: 1-line block ×3, first 2 shown]
	s_waitcnt vmcnt(8) lgkmcnt(5)
	v_add_f64 v[24:25], v[38:39], -v[24:25]
	s_waitcnt vmcnt(7)
	v_mul_f64 v[30:31], v[88:89], v[30:31]
	s_waitcnt lgkmcnt(4)
	v_fma_f64 v[14:15], v[28:29], v[16:17], v[14:15]
	ds_bpermute_b32 v16, v83, v8
	v_add_f64 v[12:13], v[12:13], v[88:89]
	ds_bpermute_b32 v28, v85, v10
	ds_bpermute_b32 v29, v85, v11
	;; [unrolled: 1-line block ×5, first 2 shown]
	s_waitcnt vmcnt(6) lgkmcnt(7)
	v_add_f64 v[18:19], v[18:19], -v[26:27]
	s_waitcnt vmcnt(5)
	v_mul_f64 v[24:25], v[22:23], v[24:25]
	s_waitcnt lgkmcnt(6)
	v_fma_f64 v[14:15], v[30:31], v[20:21], v[14:15]
	v_add_f64 v[12:13], v[12:13], v[22:23]
	ds_bpermute_b32 v20, v84, v8
	ds_bpermute_b32 v21, v84, v9
	s_waitcnt vmcnt(4) lgkmcnt(5)
	v_add_f64 v[26:27], v[42:43], -v[28:29]
	s_waitcnt vmcnt(3)
	v_mul_f64 v[18:19], v[54:55], v[18:19]
	s_waitcnt lgkmcnt(4)
	v_fma_f64 v[14:15], v[24:25], v[16:17], v[14:15]
	v_add_f64 v[12:13], v[12:13], v[54:55]
	ds_bpermute_b32 v16, v85, v8
	s_waitcnt vmcnt(2) lgkmcnt(3)
	v_add_f64 v[10:11], v[44:45], -v[10:11]
	ds_bpermute_b32 v17, v85, v9
	ds_bpermute_b32 v8, v86, v8
	ds_bpermute_b32 v9, v86, v9
	s_waitcnt vmcnt(1)
	v_mul_f64 v[22:23], v[34:35], v[26:27]
	s_waitcnt lgkmcnt(4)
	v_fma_f64 v[14:15], v[18:19], v[20:21], v[14:15]
	v_add_f64 v[12:13], v[12:13], v[34:35]
	s_waitcnt vmcnt(0)
	v_mul_f64 v[10:11], v[46:47], v[10:11]
	s_waitcnt lgkmcnt(2)
	v_fma_f64 v[14:15], v[22:23], v[16:17], v[14:15]
	v_add_f64 v[12:13], v[12:13], v[46:47]
	s_waitcnt lgkmcnt(0)
	v_fma_f64 v[18:19], v[10:11], v[8:9], v[14:15]
	s_cbranch_vccz .LBB37_8
.LBB37_6:                               ; =>This Inner Loop Header: Depth=1
	v_mov_b32_e32 v8, 0
	v_mov_b32_e32 v10, 0
	v_mov_b32_e32 v9, 0
	v_mov_b32_e32 v11, 0
	s_mov_b32 s25, exec_lo
	v_cmpx_gt_i64_e64 s[0:1], v[4:5]
	s_cbranch_execz .LBB37_5
; %bb.7:                                ;   in Loop: Header=BB37_6 Depth=1
	v_add_co_u32 v8, vcc_lo, s12, v6
	v_add_co_ci_u32_e64 v9, null, s13, v7, vcc_lo
	v_add_co_u32 v14, vcc_lo, s14, v6
	v_add_co_ci_u32_e64 v15, null, s15, v7, vcc_lo
	global_load_dwordx2 v[10:11], v[8:9], off
	global_load_dwordx2 v[8:9], v[14:15], off
	s_branch .LBB37_5
.LBB37_8:
	s_load_dword s0, s[22:23], 0xc
	v_mov_b32_e32 v2, 0
	s_waitcnt lgkmcnt(0)
	s_lshr_b32 s0, s0, 16
	v_mad_u64_u32 v[1:2], null, s0, s7, v[1:2]
	s_mov_b32 s7, 0
	s_lshl_b64 s[0:1], s[6:7], 5
	s_cmp_eq_u64 s[16:17], 0
	v_or_b32_e32 v5, s0, v0
	v_mov_b32_e32 v6, s1
	v_mul_lo_u32 v0, v2, s2
	v_mul_lo_u32 v4, v1, s3
	v_lshlrev_b64 v[2:3], 3, v[5:6]
	s_cbranch_scc1 .LBB37_10
; %bb.9:
	v_mad_u64_u32 v[5:6], null, v1, s2, 0
	v_add3_u32 v6, v6, v4, v0
	v_lshlrev_b64 v[5:6], 3, v[5:6]
	v_add_co_u32 v5, vcc_lo, s16, v5
	v_add_co_ci_u32_e64 v6, null, s17, v6, vcc_lo
	v_add_co_u32 v5, vcc_lo, v5, v2
	v_add_co_ci_u32_e64 v6, null, v6, v3, vcc_lo
	global_store_dwordx2 v[5:6], v[18:19], off
.LBB37_10:
	s_cmp_eq_u64 s[18:19], 0
	s_cbranch_scc1 .LBB37_12
; %bb.11:
	v_mad_u64_u32 v[5:6], null, v1, s2, 0
	v_add3_u32 v6, v6, v4, v0
	v_lshlrev_b64 v[0:1], 3, v[5:6]
	v_add_co_u32 v0, vcc_lo, s18, v0
	v_add_co_ci_u32_e64 v1, null, s19, v1, vcc_lo
	v_add_co_u32 v0, vcc_lo, v0, v2
	v_add_co_ci_u32_e64 v1, null, v1, v3, vcc_lo
	global_store_dwordx2 v[0:1], v[12:13], off
.LBB37_12:
	s_endpgm
	.section	.rodata,"a",@progbits
	.p2align	6, 0x0
	.amdhsa_kernel _ZN2at6native12_GLOBAL__N_135GammaBetaBackwardCUDAKernelTemplateIddLj32ELj1ELj32ELb1ELb1ELb0EEEvllPKT_S5_PKT0_S8_PS3_S9_
		.amdhsa_group_segment_fixed_size 0
		.amdhsa_private_segment_fixed_size 0
		.amdhsa_kernarg_size 320
		.amdhsa_user_sgpr_count 6
		.amdhsa_user_sgpr_private_segment_buffer 1
		.amdhsa_user_sgpr_dispatch_ptr 0
		.amdhsa_user_sgpr_queue_ptr 0
		.amdhsa_user_sgpr_kernarg_segment_ptr 1
		.amdhsa_user_sgpr_dispatch_id 0
		.amdhsa_user_sgpr_flat_scratch_init 0
		.amdhsa_user_sgpr_private_segment_size 0
		.amdhsa_wavefront_size32 1
		.amdhsa_uses_dynamic_stack 0
		.amdhsa_system_sgpr_private_segment_wavefront_offset 0
		.amdhsa_system_sgpr_workgroup_id_x 1
		.amdhsa_system_sgpr_workgroup_id_y 1
		.amdhsa_system_sgpr_workgroup_id_z 0
		.amdhsa_system_sgpr_workgroup_info 0
		.amdhsa_system_vgpr_workitem_id 1
		.amdhsa_next_free_vgpr 110
		.amdhsa_next_free_sgpr 30
		.amdhsa_reserve_vcc 1
		.amdhsa_reserve_flat_scratch 0
		.amdhsa_float_round_mode_32 0
		.amdhsa_float_round_mode_16_64 0
		.amdhsa_float_denorm_mode_32 3
		.amdhsa_float_denorm_mode_16_64 3
		.amdhsa_dx10_clamp 1
		.amdhsa_ieee_mode 1
		.amdhsa_fp16_overflow 0
		.amdhsa_workgroup_processor_mode 1
		.amdhsa_memory_ordered 1
		.amdhsa_forward_progress 1
		.amdhsa_shared_vgpr_count 0
		.amdhsa_exception_fp_ieee_invalid_op 0
		.amdhsa_exception_fp_denorm_src 0
		.amdhsa_exception_fp_ieee_div_zero 0
		.amdhsa_exception_fp_ieee_overflow 0
		.amdhsa_exception_fp_ieee_underflow 0
		.amdhsa_exception_fp_ieee_inexact 0
		.amdhsa_exception_int_div_zero 0
	.end_amdhsa_kernel
	.section	.text._ZN2at6native12_GLOBAL__N_135GammaBetaBackwardCUDAKernelTemplateIddLj32ELj1ELj32ELb1ELb1ELb0EEEvllPKT_S5_PKT0_S8_PS3_S9_,"axG",@progbits,_ZN2at6native12_GLOBAL__N_135GammaBetaBackwardCUDAKernelTemplateIddLj32ELj1ELj32ELb1ELb1ELb0EEEvllPKT_S5_PKT0_S8_PS3_S9_,comdat
.Lfunc_end37:
	.size	_ZN2at6native12_GLOBAL__N_135GammaBetaBackwardCUDAKernelTemplateIddLj32ELj1ELj32ELb1ELb1ELb0EEEvllPKT_S5_PKT0_S8_PS3_S9_, .Lfunc_end37-_ZN2at6native12_GLOBAL__N_135GammaBetaBackwardCUDAKernelTemplateIddLj32ELj1ELj32ELb1ELb1ELb0EEEvllPKT_S5_PKT0_S8_PS3_S9_
                                        ; -- End function
	.set _ZN2at6native12_GLOBAL__N_135GammaBetaBackwardCUDAKernelTemplateIddLj32ELj1ELj32ELb1ELb1ELb0EEEvllPKT_S5_PKT0_S8_PS3_S9_.num_vgpr, 110
	.set _ZN2at6native12_GLOBAL__N_135GammaBetaBackwardCUDAKernelTemplateIddLj32ELj1ELj32ELb1ELb1ELb0EEEvllPKT_S5_PKT0_S8_PS3_S9_.num_agpr, 0
	.set _ZN2at6native12_GLOBAL__N_135GammaBetaBackwardCUDAKernelTemplateIddLj32ELj1ELj32ELb1ELb1ELb0EEEvllPKT_S5_PKT0_S8_PS3_S9_.numbered_sgpr, 30
	.set _ZN2at6native12_GLOBAL__N_135GammaBetaBackwardCUDAKernelTemplateIddLj32ELj1ELj32ELb1ELb1ELb0EEEvllPKT_S5_PKT0_S8_PS3_S9_.num_named_barrier, 0
	.set _ZN2at6native12_GLOBAL__N_135GammaBetaBackwardCUDAKernelTemplateIddLj32ELj1ELj32ELb1ELb1ELb0EEEvllPKT_S5_PKT0_S8_PS3_S9_.private_seg_size, 0
	.set _ZN2at6native12_GLOBAL__N_135GammaBetaBackwardCUDAKernelTemplateIddLj32ELj1ELj32ELb1ELb1ELb0EEEvllPKT_S5_PKT0_S8_PS3_S9_.uses_vcc, 1
	.set _ZN2at6native12_GLOBAL__N_135GammaBetaBackwardCUDAKernelTemplateIddLj32ELj1ELj32ELb1ELb1ELb0EEEvllPKT_S5_PKT0_S8_PS3_S9_.uses_flat_scratch, 0
	.set _ZN2at6native12_GLOBAL__N_135GammaBetaBackwardCUDAKernelTemplateIddLj32ELj1ELj32ELb1ELb1ELb0EEEvllPKT_S5_PKT0_S8_PS3_S9_.has_dyn_sized_stack, 0
	.set _ZN2at6native12_GLOBAL__N_135GammaBetaBackwardCUDAKernelTemplateIddLj32ELj1ELj32ELb1ELb1ELb0EEEvllPKT_S5_PKT0_S8_PS3_S9_.has_recursion, 0
	.set _ZN2at6native12_GLOBAL__N_135GammaBetaBackwardCUDAKernelTemplateIddLj32ELj1ELj32ELb1ELb1ELb0EEEvllPKT_S5_PKT0_S8_PS3_S9_.has_indirect_call, 0
	.section	.AMDGPU.csdata,"",@progbits
; Kernel info:
; codeLenInByte = 4792
; TotalNumSgprs: 32
; NumVgprs: 110
; ScratchSize: 0
; MemoryBound: 0
; FloatMode: 240
; IeeeMode: 1
; LDSByteSize: 0 bytes/workgroup (compile time only)
; SGPRBlocks: 0
; VGPRBlocks: 13
; NumSGPRsForWavesPerEU: 32
; NumVGPRsForWavesPerEU: 110
; Occupancy: 9
; WaveLimiterHint : 0
; COMPUTE_PGM_RSRC2:SCRATCH_EN: 0
; COMPUTE_PGM_RSRC2:USER_SGPR: 6
; COMPUTE_PGM_RSRC2:TRAP_HANDLER: 0
; COMPUTE_PGM_RSRC2:TGID_X_EN: 1
; COMPUTE_PGM_RSRC2:TGID_Y_EN: 1
; COMPUTE_PGM_RSRC2:TGID_Z_EN: 0
; COMPUTE_PGM_RSRC2:TIDIG_COMP_CNT: 1
	.section	.text._ZN2at6native12_GLOBAL__N_135GammaBetaBackwardCUDAKernelTemplateIddLj32ELj1ELj32ELb1ELb0ELb0EEEvllPKT_S5_PKT0_S8_PS3_S9_,"axG",@progbits,_ZN2at6native12_GLOBAL__N_135GammaBetaBackwardCUDAKernelTemplateIddLj32ELj1ELj32ELb1ELb0ELb0EEEvllPKT_S5_PKT0_S8_PS3_S9_,comdat
	.globl	_ZN2at6native12_GLOBAL__N_135GammaBetaBackwardCUDAKernelTemplateIddLj32ELj1ELj32ELb1ELb0ELb0EEEvllPKT_S5_PKT0_S8_PS3_S9_ ; -- Begin function _ZN2at6native12_GLOBAL__N_135GammaBetaBackwardCUDAKernelTemplateIddLj32ELj1ELj32ELb1ELb0ELb0EEEvllPKT_S5_PKT0_S8_PS3_S9_
	.p2align	8
	.type	_ZN2at6native12_GLOBAL__N_135GammaBetaBackwardCUDAKernelTemplateIddLj32ELj1ELj32ELb1ELb0ELb0EEEvllPKT_S5_PKT0_S8_PS3_S9_,@function
_ZN2at6native12_GLOBAL__N_135GammaBetaBackwardCUDAKernelTemplateIddLj32ELj1ELj32ELb1ELb0ELb0EEEvllPKT_S5_PKT0_S8_PS3_S9_: ; @_ZN2at6native12_GLOBAL__N_135GammaBetaBackwardCUDAKernelTemplateIddLj32ELj1ELj32ELb1ELb0ELb0EEEvllPKT_S5_PKT0_S8_PS3_S9_
; %bb.0:
	s_mov_b64 s[38:39], s[2:3]
	s_mov_b64 s[36:37], s[0:1]
	s_mov_b32 s0, s7
	s_add_u32 s36, s36, s8
	s_addc_u32 s37, s37, 0
	s_lshl_b32 s7, s6, 5
	buffer_store_dword v1, off, s[36:39], 0 offset:492 ; 4-byte Folded Spill
	buffer_store_dword v2, off, s[36:39], 0 offset:496 ; 4-byte Folded Spill
	buffer_store_dword v0, off, s[36:39], 0 offset:48 ; 4-byte Folded Spill
	s_clause 0x1
	s_load_dwordx8 s[8:15], s[4:5], 0x0
	s_load_dwordx4 s[16:19], s[4:5], 0x20
	s_mov_b32 s21, 0
	s_or_b32 s20, s7, 31
	s_waitcnt lgkmcnt(0)
	v_cmp_le_i64_e64 s1, s[10:11], s[20:21]
	s_lshl_b32 s20, s0, 5
	v_cmp_gt_i64_e64 s28, s[8:9], s[20:21]
	s_and_b32 vcc_lo, exec_lo, s1
	v_cndmask_b32_e64 v0, 0, 1, s28
	v_cmp_ne_u32_e64 s1, 1, v0
	s_cbranch_vccz .LBB38_140
; %bb.1:
	v_mov_b32_e32 v0, 0
	v_mov_b32_e32 v1, 0
	s_and_b32 vcc_lo, exec_lo, s1
	buffer_store_dword v0, off, s[36:39], 0 ; 4-byte Folded Spill
	buffer_store_dword v1, off, s[36:39], 0 offset:4 ; 4-byte Folded Spill
	v_mov_b32_e32 v0, 0
	v_mov_b32_e32 v1, 0
	buffer_store_dword v0, off, s[36:39], 0 offset:8 ; 4-byte Folded Spill
	buffer_store_dword v1, off, s[36:39], 0 offset:12 ; 4-byte Folded Spill
	s_cbranch_vccnz .LBB38_141
; %bb.2:
	s_clause 0x2
	buffer_load_dword v0, off, s[36:39], 0 offset:492
	buffer_load_dword v1, off, s[36:39], 0 offset:496
	;; [unrolled: 1-line block ×3, first 2 shown]
	v_mov_b32_e32 v7, 0
	s_load_dword s2, s[4:5], 0x44
	s_add_u32 s22, s4, 64
	s_addc_u32 s23, s5, 0
	s_mov_b64 s[26:27], s[20:21]
	v_mov_b32_e32 v141, v7
	s_waitcnt lgkmcnt(0)
	s_lshl_b32 s29, s2, 5
	s_mul_i32 s2, s11, s29
	s_mul_hi_u32 s3, s10, s29
	s_mul_i32 s24, s10, s29
	s_add_i32 s25, s3, s2
	s_waitcnt vmcnt(2)
	v_lshlrev_b32_e32 v140, 5, v0
	s_waitcnt vmcnt(0)
	v_add_nc_u32_e32 v6, s7, v6
	v_add_co_u32 v0, s1, v140, s20
	v_add_co_ci_u32_e64 v1, null, 0, 0, s1
	v_cmp_gt_i64_e64 s1, s[10:11], v[6:7]
	v_mul_lo_u32 v4, s11, v0
	v_mad_u64_u32 v[2:3], null, s10, v0, 0
	v_mul_lo_u32 v5, s10, v1
	v_lshlrev_b64 v[8:9], 3, v[6:7]
	v_add_co_u32 v6, vcc_lo, v0, 31
	v_add_co_ci_u32_e64 v10, null, 0, v1, vcc_lo
	v_mul_lo_u32 v14, s11, v6
	v_add3_u32 v3, v3, v5, v4
	v_mul_lo_u32 v15, s10, v10
	v_mad_u64_u32 v[10:11], null, s10, v6, 0
	v_add_co_u32 v6, vcc_lo, v0, 30
	v_lshlrev_b64 v[4:5], 3, v[2:3]
	v_add_co_ci_u32_e64 v12, null, 0, v1, vcc_lo
	v_mul_lo_u32 v16, s11, v6
	v_add3_u32 v11, v11, v15, v14
	v_add_co_u32 v13, vcc_lo, s12, v4
	v_mul_lo_u32 v17, s10, v12
	buffer_store_dword v13, off, s[36:39], 0 offset:16 ; 4-byte Folded Spill
	v_add_co_ci_u32_e64 v13, null, s13, v5, vcc_lo
	v_add_co_u32 v4, vcc_lo, s14, v4
	buffer_store_dword v13, off, s[36:39], 0 offset:20 ; 4-byte Folded Spill
	v_mad_u64_u32 v[12:13], null, s10, v6, 0
	buffer_store_dword v4, off, s[36:39], 0 offset:24 ; 4-byte Folded Spill
	v_add_co_ci_u32_e64 v4, null, s15, v5, vcc_lo
	v_add_co_u32 v6, vcc_lo, v0, 29
	v_add_co_ci_u32_e64 v14, null, 0, v1, vcc_lo
	buffer_store_dword v4, off, s[36:39], 0 offset:28 ; 4-byte Folded Spill
	v_lshlrev_b64 v[4:5], 3, v[10:11]
	v_add3_u32 v13, v13, v17, v16
	v_mul_lo_u32 v15, s11, v6
	v_mul_lo_u32 v14, s10, v14
	v_add_co_u32 v10, vcc_lo, s12, v4
	buffer_store_dword v10, off, s[36:39], 0 offset:32 ; 4-byte Folded Spill
	v_add_co_ci_u32_e64 v10, null, s13, v5, vcc_lo
	v_add_co_u32 v4, vcc_lo, s14, v4
	buffer_store_dword v10, off, s[36:39], 0 offset:36 ; 4-byte Folded Spill
	v_lshlrev_b64 v[10:11], 3, v[12:13]
	v_mad_u64_u32 v[12:13], null, s10, v6, 0
	buffer_store_dword v4, off, s[36:39], 0 offset:40 ; 4-byte Folded Spill
	v_add_co_ci_u32_e64 v4, null, s15, v5, vcc_lo
	v_add_co_u32 v150, vcc_lo, s12, v10
	v_add_co_ci_u32_e64 v151, null, s13, v11, vcc_lo
	v_add3_u32 v13, v13, v14, v15
	v_add_co_u32 v6, vcc_lo, v0, 28
	buffer_store_dword v4, off, s[36:39], 0 offset:44 ; 4-byte Folded Spill
	v_add_co_u32 v152, s2, s14, v10
	v_lshlrev_b64 v[4:5], 3, v[12:13]
	v_add_co_ci_u32_e64 v10, null, 0, v1, vcc_lo
	v_add_co_u32 v12, vcc_lo, v0, 27
	v_add_co_ci_u32_e64 v13, null, 0, v1, vcc_lo
	v_add_co_ci_u32_e64 v153, null, s15, v11, s2
	v_mul_lo_u32 v14, s11, v6
	v_mul_lo_u32 v15, s10, v10
	v_mad_u64_u32 v[10:11], null, s10, v6, 0
	v_mul_lo_u32 v6, s11, v12
	v_mul_lo_u32 v16, s10, v13
	v_mad_u64_u32 v[12:13], null, s10, v12, 0
	v_add_co_u32 v154, vcc_lo, s12, v4
	v_add_co_ci_u32_e64 v155, null, s13, v5, vcc_lo
	v_add3_u32 v11, v11, v15, v14
	v_add_co_u32 v156, vcc_lo, s14, v4
	v_add_co_ci_u32_e64 v157, null, s15, v5, vcc_lo
	v_add3_u32 v13, v13, v16, v6
	v_add_co_u32 v6, vcc_lo, v0, 26
	v_add_co_ci_u32_e64 v14, null, 0, v1, vcc_lo
	v_lshlrev_b64 v[4:5], 3, v[10:11]
	v_lshlrev_b64 v[10:11], 3, v[12:13]
	v_mul_lo_u32 v15, s11, v6
	v_mul_lo_u32 v14, s10, v14
	v_mad_u64_u32 v[12:13], null, s10, v6, 0
	v_add_co_u32 v158, vcc_lo, s12, v4
	v_add_co_ci_u32_e64 v159, null, s13, v5, vcc_lo
	v_add_co_u32 v160, vcc_lo, s14, v4
	v_add_co_ci_u32_e64 v161, null, s15, v5, vcc_lo
	;; [unrolled: 2-line block ×3, first 2 shown]
	v_add3_u32 v13, v13, v14, v15
	v_add_co_u32 v5, vcc_lo, v0, 25
	v_add_co_ci_u32_e64 v6, null, 0, v1, vcc_lo
	v_add_co_u32 v14, vcc_lo, v0, 24
	v_add_co_u32 v4, s2, s14, v10
	v_add_co_ci_u32_e64 v15, null, 0, v1, vcc_lo
	v_add_co_ci_u32_e64 v164, null, s15, v11, s2
	v_lshlrev_b64 v[10:11], 3, v[12:13]
	v_mul_lo_u32 v16, s11, v5
	v_mul_lo_u32 v17, s10, v6
	v_mad_u64_u32 v[12:13], null, s10, v5, 0
	v_mul_lo_u32 v18, s11, v14
	v_mul_lo_u32 v19, s10, v15
	v_mad_u64_u32 v[14:15], null, s10, v14, 0
	v_add_co_u32 v5, vcc_lo, s12, v10
	v_add_co_ci_u32_e64 v6, null, s13, v11, vcc_lo
	v_add_co_u32 v165, vcc_lo, s14, v10
	v_add3_u32 v13, v13, v17, v16
	v_add_co_ci_u32_e64 v166, null, s15, v11, vcc_lo
	v_add_co_u32 v16, vcc_lo, v0, 23
	v_add3_u32 v15, v15, v19, v18
	v_add_co_ci_u32_e64 v17, null, 0, v1, vcc_lo
	v_lshlrev_b64 v[10:11], 3, v[12:13]
	v_mul_lo_u32 v18, s11, v16
	v_lshlrev_b64 v[12:13], 3, v[14:15]
	v_mul_lo_u32 v17, s10, v17
	v_mad_u64_u32 v[14:15], null, s10, v16, 0
	v_add_co_u32 v167, vcc_lo, s12, v10
	v_add_co_ci_u32_e64 v168, null, s13, v11, vcc_lo
	v_add_co_u32 v169, vcc_lo, s14, v10
	v_add3_u32 v15, v15, v17, v18
	v_add_co_ci_u32_e64 v170, null, s15, v11, vcc_lo
	v_add_co_u32 v171, vcc_lo, s12, v12
	v_add_co_ci_u32_e64 v172, null, s13, v13, vcc_lo
	v_add_co_u32 v16, vcc_lo, v0, 22
	v_add_co_u32 v173, s2, s14, v12
	v_lshlrev_b64 v[10:11], 3, v[14:15]
	v_add_co_ci_u32_e64 v12, null, 0, v1, vcc_lo
	v_add_co_u32 v14, vcc_lo, v0, 21
	v_add_co_ci_u32_e64 v15, null, 0, v1, vcc_lo
	v_add_co_ci_u32_e64 v174, null, s15, v13, s2
	v_mul_lo_u32 v17, s11, v16
	v_mul_lo_u32 v18, s10, v12
	v_mad_u64_u32 v[12:13], null, s10, v16, 0
	v_mul_lo_u32 v16, s11, v14
	v_mul_lo_u32 v19, s10, v15
	v_mad_u64_u32 v[14:15], null, s10, v14, 0
	v_add_co_u32 v175, vcc_lo, s12, v10
	v_add_co_ci_u32_e64 v176, null, s13, v11, vcc_lo
	v_add_co_u32 v177, vcc_lo, s14, v10
	v_add_co_ci_u32_e64 v178, null, s15, v11, vcc_lo
	v_add3_u32 v15, v15, v19, v16
	v_add_co_u32 v16, vcc_lo, v0, 20
	v_add3_u32 v13, v13, v18, v17
	v_add_co_ci_u32_e64 v17, null, 0, v1, vcc_lo
	v_mul_lo_u32 v18, s11, v16
	v_lshlrev_b64 v[10:11], 3, v[12:13]
	v_lshlrev_b64 v[12:13], 3, v[14:15]
	v_mul_lo_u32 v17, s10, v17
	v_mad_u64_u32 v[14:15], null, s10, v16, 0
	v_add_co_u32 v179, vcc_lo, s12, v10
	v_add_co_ci_u32_e64 v180, null, s13, v11, vcc_lo
	v_add_co_u32 v181, vcc_lo, s14, v10
	v_add3_u32 v15, v15, v17, v18
	v_add_co_ci_u32_e64 v182, null, s15, v11, vcc_lo
	v_add_co_u32 v183, vcc_lo, s12, v12
	v_add_co_ci_u32_e64 v184, null, s13, v13, vcc_lo
	v_add_co_u32 v16, vcc_lo, v0, 19
	v_add_co_u32 v185, s2, s14, v12
	v_lshlrev_b64 v[10:11], 3, v[14:15]
	v_add_co_ci_u32_e64 v12, null, 0, v1, vcc_lo
	v_add_co_u32 v14, vcc_lo, v0, 18
	v_add_co_ci_u32_e64 v15, null, 0, v1, vcc_lo
	v_add_co_ci_u32_e64 v186, null, s15, v13, s2
	v_mul_lo_u32 v17, s11, v16
	v_mul_lo_u32 v18, s10, v12
	v_mad_u64_u32 v[12:13], null, s10, v16, 0
	v_mul_lo_u32 v16, s11, v14
	v_mul_lo_u32 v19, s10, v15
	v_mad_u64_u32 v[14:15], null, s10, v14, 0
	v_add_co_u32 v187, vcc_lo, s12, v10
	v_add_co_ci_u32_e64 v188, null, s13, v11, vcc_lo
	v_add_co_u32 v189, vcc_lo, s14, v10
	v_add_co_ci_u32_e64 v190, null, s15, v11, vcc_lo
	v_add3_u32 v15, v15, v19, v16
	v_add_co_u32 v16, vcc_lo, v0, 17
	v_add3_u32 v13, v13, v18, v17
	v_add_co_ci_u32_e64 v17, null, 0, v1, vcc_lo
	v_mul_lo_u32 v18, s11, v16
	v_lshlrev_b64 v[10:11], 3, v[12:13]
	;; [unrolled: 33-line block ×4, first 2 shown]
	v_lshlrev_b64 v[12:13], 3, v[14:15]
	v_mul_lo_u32 v17, s10, v17
	v_mad_u64_u32 v[14:15], null, s10, v16, 0
	v_add_co_u32 v215, vcc_lo, s12, v10
	v_add_co_ci_u32_e64 v216, null, s13, v11, vcc_lo
	v_add_co_u32 v217, vcc_lo, s14, v10
	v_add3_u32 v15, v15, v17, v18
	v_add_co_ci_u32_e64 v218, null, s15, v11, vcc_lo
	v_add_co_u32 v219, vcc_lo, s12, v12
	v_add_co_ci_u32_e64 v220, null, s13, v13, vcc_lo
	v_add_co_u32 v16, vcc_lo, v0, 10
	v_add_co_u32 v221, s2, s14, v12
	v_lshlrev_b64 v[10:11], 3, v[14:15]
	v_add_co_ci_u32_e64 v12, null, 0, v1, vcc_lo
	v_add_co_u32 v14, vcc_lo, v0, 9
	v_add_co_ci_u32_e64 v15, null, 0, v1, vcc_lo
	v_add_co_ci_u32_e64 v222, null, s15, v13, s2
	v_mul_lo_u32 v17, s11, v16
	v_mul_lo_u32 v18, s10, v12
	v_mad_u64_u32 v[12:13], null, s10, v16, 0
	v_mul_lo_u32 v16, s11, v14
	v_mul_lo_u32 v19, s10, v15
	v_mad_u64_u32 v[14:15], null, s10, v14, 0
	v_add_co_u32 v223, vcc_lo, s12, v10
	v_add_co_ci_u32_e64 v224, null, s13, v11, vcc_lo
	v_add_co_u32 v225, vcc_lo, s14, v10
	v_add3_u32 v13, v13, v18, v17
	v_add_co_ci_u32_e64 v226, null, s15, v11, vcc_lo
	v_add3_u32 v15, v15, v19, v16
	v_add_co_u32 v16, vcc_lo, v0, 8
	v_add_co_ci_u32_e64 v17, null, 0, v1, vcc_lo
	v_lshlrev_b64 v[10:11], 3, v[12:13]
	v_lshlrev_b64 v[12:13], 3, v[14:15]
	v_mul_lo_u32 v18, s11, v16
	v_mul_lo_u32 v17, s10, v17
	v_mad_u64_u32 v[14:15], null, s10, v16, 0
	v_add_co_u32 v227, vcc_lo, s12, v10
	v_add_co_ci_u32_e64 v228, null, s13, v11, vcc_lo
	v_add_co_u32 v229, vcc_lo, s14, v10
	v_add_co_ci_u32_e64 v230, null, s15, v11, vcc_lo
	v_add_co_u32 v231, vcc_lo, s12, v12
	v_add3_u32 v15, v15, v17, v18
	v_add_co_ci_u32_e64 v232, null, s13, v13, vcc_lo
	v_add_co_u32 v16, vcc_lo, v0, 7
	v_add_co_u32 v233, s2, s14, v12
	v_add_co_ci_u32_e64 v12, null, 0, v1, vcc_lo
	v_lshlrev_b64 v[10:11], 3, v[14:15]
	v_add_co_u32 v14, vcc_lo, v0, 6
	v_add_co_ci_u32_e64 v15, null, 0, v1, vcc_lo
	v_add_co_ci_u32_e64 v234, null, s15, v13, s2
	v_mul_lo_u32 v17, s11, v16
	v_mul_lo_u32 v18, s10, v12
	v_mad_u64_u32 v[12:13], null, s10, v16, 0
	v_mul_lo_u32 v16, s11, v14
	v_mul_lo_u32 v19, s10, v15
	v_mad_u64_u32 v[14:15], null, s10, v14, 0
	v_add_co_u32 v235, vcc_lo, s12, v10
	v_add3_u32 v13, v13, v18, v17
	v_add_co_ci_u32_e64 v236, null, s13, v11, vcc_lo
	v_add_co_u32 v237, vcc_lo, s14, v10
	v_add_co_ci_u32_e64 v238, null, s15, v11, vcc_lo
	v_add3_u32 v15, v15, v19, v16
	v_add_co_u32 v16, vcc_lo, v0, 5
	v_lshlrev_b64 v[10:11], 3, v[12:13]
	v_add_co_ci_u32_e64 v17, null, 0, v1, vcc_lo
	v_lshlrev_b64 v[12:13], 3, v[14:15]
	v_mul_lo_u32 v18, s11, v16
	v_mad_u64_u32 v[14:15], null, s10, v16, 0
	v_add_co_u32 v239, vcc_lo, s12, v10
	v_mul_lo_u32 v17, s10, v17
	v_add_co_ci_u32_e64 v240, null, s13, v11, vcc_lo
	v_add_co_u32 v241, vcc_lo, s14, v10
	v_add_co_ci_u32_e64 v242, null, s15, v11, vcc_lo
	v_add_co_u32 v243, vcc_lo, s12, v12
	;; [unrolled: 2-line block ×3, first 2 shown]
	v_add3_u32 v15, v15, v17, v18
	v_add_co_u32 v245, s2, s14, v12
	v_add_co_ci_u32_e64 v12, null, 0, v1, vcc_lo
	v_add_co_ci_u32_e64 v246, null, s15, v13, s2
	v_lshlrev_b64 v[10:11], 3, v[14:15]
	v_mul_lo_u32 v17, s11, v16
	v_add_co_u32 v14, vcc_lo, v0, 3
	v_mul_lo_u32 v18, s10, v12
	v_mad_u64_u32 v[12:13], null, s10, v16, 0
	v_add_co_ci_u32_e64 v15, null, 0, v1, vcc_lo
	v_mul_lo_u32 v16, s11, v14
	v_add_co_u32 v247, vcc_lo, s12, v10
	v_mul_lo_u32 v19, s10, v15
	v_mad_u64_u32 v[14:15], null, s10, v14, 0
	v_add3_u32 v13, v13, v18, v17
	v_add_co_ci_u32_e64 v248, null, s13, v11, vcc_lo
	v_add_co_u32 v249, vcc_lo, s14, v10
	v_add_co_ci_u32_e64 v250, null, s15, v11, vcc_lo
	v_lshlrev_b64 v[10:11], 3, v[12:13]
	v_add_co_u32 v12, vcc_lo, v0, 2
	v_add3_u32 v15, v15, v19, v16
	v_add_co_ci_u32_e64 v13, null, 0, v1, vcc_lo
	v_add_co_u32 v251, vcc_lo, s12, v10
	v_lshlrev_b64 v[0:1], 3, v[14:15]
	v_mul_lo_u32 v14, s11, v12
	v_mul_lo_u32 v15, s10, v13
	v_mad_u64_u32 v[12:13], null, s10, v12, 0
	v_add_co_ci_u32_e64 v252, null, s13, v11, vcc_lo
	v_add_co_u32 v253, vcc_lo, s14, v10
	v_add_co_ci_u32_e64 v254, null, s15, v11, vcc_lo
	v_add3_u32 v13, v13, v15, v14
	v_add_co_u32 v255, vcc_lo, s12, v0
	v_add_co_ci_u32_e64 v34, null, s13, v1, vcc_lo
	v_add_co_u32 v35, vcc_lo, s14, v0
	v_add_co_ci_u32_e64 v40, null, s15, v1, vcc_lo
	v_lshlrev_b64 v[0:1], 3, v[12:13]
	v_add_co_u32 v2, vcc_lo, v2, s10
	v_add_co_ci_u32_e64 v3, null, s11, v3, vcc_lo
	s_lshl_b64 s[2:3], s[24:25], 3
	v_add_co_u32 v41, vcc_lo, s12, v0
	v_add_co_ci_u32_e64 v46, null, s13, v1, vcc_lo
	v_lshlrev_b64 v[2:3], 3, v[2:3]
	v_add_co_u32 v47, vcc_lo, s14, v0
	v_add_co_ci_u32_e64 v142, null, s15, v1, vcc_lo
	v_mov_b32_e32 v0, 0
	v_mov_b32_e32 v1, 0
	v_add_co_u32 v143, vcc_lo, s12, v2
	v_add_co_ci_u32_e64 v144, null, s13, v3, vcc_lo
	buffer_store_dword v0, off, s[36:39], 0 offset:8 ; 4-byte Folded Spill
	buffer_store_dword v1, off, s[36:39], 0 offset:12 ; 4-byte Folded Spill
	v_add_co_u32 v145, vcc_lo, s14, v2
	v_mov_b32_e32 v0, 0
	v_mov_b32_e32 v1, 0
	v_add_co_ci_u32_e64 v54, null, s15, v3, vcc_lo
	s_mov_b64 s[24:25], 31
	buffer_store_dword v0, off, s[36:39], 0 ; 4-byte Folded Spill
	buffer_store_dword v1, off, s[36:39], 0 offset:4 ; 4-byte Folded Spill
	s_branch .LBB38_5
.LBB38_3:                               ;   in Loop: Header=BB38_5 Depth=1
	s_or_b32 exec_lo, exec_lo, s30
	s_clause 0x1
	buffer_load_dword v138, off, s[36:39], 0 offset:8
	buffer_load_dword v139, off, s[36:39], 0 offset:12
	s_waitcnt vmcnt(3)
	ds_bpermute_b32 v50, v7, v10
	ds_bpermute_b32 v51, v7, v11
	s_waitcnt vmcnt(2)
	ds_bpermute_b32 v55, v7, v12
	s_waitcnt lgkmcnt(1)
	v_add_f64 v[50:51], v[56:57], -v[50:51]
	ds_bpermute_b32 v56, v7, v13
	v_mul_f64 v[50:51], v[14:15], v[50:51]
	s_waitcnt vmcnt(0) lgkmcnt(0)
	v_fma_f64 v[50:51], v[50:51], v[55:56], v[138:139]
	s_clause 0x1
	buffer_load_dword v138, off, s[36:39], 0 offset:52
	buffer_load_dword v139, off, s[36:39], 0 offset:56
	ds_bpermute_b32 v55, v7, v10 offset:4
	ds_bpermute_b32 v56, v7, v11 offset:4
	s_waitcnt vmcnt(0) lgkmcnt(0)
	v_add_f64 v[55:56], v[138:139], -v[55:56]
	ds_bpermute_b32 v138, v7, v12 offset:4
	ds_bpermute_b32 v139, v7, v13 offset:4
	v_mul_f64 v[55:56], v[22:23], v[55:56]
	s_waitcnt lgkmcnt(0)
	v_fma_f64 v[50:51], v[55:56], v[138:139], v[50:51]
	s_clause 0x1
	buffer_load_dword v138, off, s[36:39], 0 offset:60
	buffer_load_dword v139, off, s[36:39], 0 offset:64
	ds_bpermute_b32 v55, v7, v10 offset:8
	ds_bpermute_b32 v56, v7, v11 offset:8
	s_waitcnt vmcnt(0) lgkmcnt(0)
	v_add_f64 v[55:56], v[138:139], -v[55:56]
	ds_bpermute_b32 v138, v7, v12 offset:8
	ds_bpermute_b32 v139, v7, v13 offset:8
	v_mul_f64 v[55:56], v[20:21], v[55:56]
	s_waitcnt lgkmcnt(0)
	v_fma_f64 v[50:51], v[55:56], v[138:139], v[50:51]
	s_clause 0x3
	buffer_load_dword v55, off, s[36:39], 0
	buffer_load_dword v56, off, s[36:39], 0 offset:4
	buffer_load_dword v138, off, s[36:39], 0 offset:68
	;; [unrolled: 1-line block ×3, first 2 shown]
	s_waitcnt vmcnt(2)
	v_add_f64 v[14:15], v[55:56], v[14:15]
	ds_bpermute_b32 v55, v7, v10 offset:12
	ds_bpermute_b32 v56, v7, v11 offset:12
	s_waitcnt lgkmcnt(0)
	v_add_f64 v[55:56], v[146:147], -v[55:56]
	v_add_f64 v[14:15], v[14:15], v[22:23]
	ds_bpermute_b32 v22, v7, v10 offset:16
	ds_bpermute_b32 v23, v7, v11 offset:16
	v_mul_f64 v[55:56], v[28:29], v[55:56]
	v_add_f64 v[14:15], v[14:15], v[20:21]
	ds_bpermute_b32 v20, v7, v10 offset:20
	ds_bpermute_b32 v21, v7, v11 offset:20
	s_waitcnt lgkmcnt(2)
	v_add_f64 v[22:23], v[148:149], -v[22:23]
	s_waitcnt vmcnt(0) lgkmcnt(0)
	v_add_f64 v[20:21], v[138:139], -v[20:21]
	ds_bpermute_b32 v138, v7, v12 offset:12
	ds_bpermute_b32 v139, v7, v13 offset:12
	v_add_f64 v[14:15], v[14:15], v[28:29]
	v_mul_f64 v[22:23], v[24:25], v[22:23]
	ds_bpermute_b32 v28, v7, v10 offset:24
	ds_bpermute_b32 v29, v7, v11 offset:24
	s_waitcnt lgkmcnt(2)
	v_fma_f64 v[50:51], v[55:56], v[138:139], v[50:51]
	ds_bpermute_b32 v55, v7, v12 offset:16
	ds_bpermute_b32 v56, v7, v13 offset:16
	v_mul_f64 v[20:21], v[32:33], v[20:21]
	s_waitcnt lgkmcnt(2)
	v_add_f64 v[28:29], v[58:59], -v[28:29]
	v_add_f64 v[14:15], v[14:15], v[24:25]
	ds_bpermute_b32 v138, v7, v10 offset:28
	ds_bpermute_b32 v139, v7, v11 offset:28
	;; [unrolled: 1-line block ×4, first 2 shown]
	s_waitcnt lgkmcnt(4)
	v_fma_f64 v[22:23], v[22:23], v[55:56], v[50:51]
	ds_bpermute_b32 v50, v7, v10 offset:32
	ds_bpermute_b32 v51, v7, v11 offset:32
	v_mul_f64 v[28:29], v[26:27], v[28:29]
	s_waitcnt lgkmcnt(4)
	v_add_f64 v[55:56], v[62:63], -v[138:139]
	v_add_f64 v[14:15], v[14:15], v[32:33]
	s_waitcnt lgkmcnt(0)
	v_add_f64 v[32:33], v[66:67], -v[50:51]
	v_fma_f64 v[20:21], v[20:21], v[24:25], v[22:23]
	ds_bpermute_b32 v22, v7, v12 offset:24
	ds_bpermute_b32 v23, v7, v13 offset:24
	;; [unrolled: 1-line block ×3, first 2 shown]
	v_mul_f64 v[50:51], v[38:39], v[55:56]
	v_add_f64 v[14:15], v[14:15], v[26:27]
	ds_bpermute_b32 v25, v7, v11 offset:36
	ds_bpermute_b32 v26, v7, v10 offset:40
	;; [unrolled: 1-line block ×3, first 2 shown]
	s_waitcnt lgkmcnt(4)
	v_fma_f64 v[20:21], v[28:29], v[22:23], v[20:21]
	ds_bpermute_b32 v22, v7, v12 offset:28
	ds_bpermute_b32 v23, v7, v13 offset:28
	v_mul_f64 v[28:29], v[30:31], v[32:33]
	s_waitcnt lgkmcnt(4)
	v_add_f64 v[24:25], v[70:71], -v[24:25]
	v_add_f64 v[14:15], v[14:15], v[38:39]
	s_waitcnt lgkmcnt(2)
	v_add_f64 v[26:27], v[74:75], -v[26:27]
	ds_bpermute_b32 v32, v7, v10 offset:44
	ds_bpermute_b32 v33, v7, v11 offset:44
	s_waitcnt lgkmcnt(2)
	v_fma_f64 v[20:21], v[50:51], v[22:23], v[20:21]
	ds_bpermute_b32 v22, v7, v12 offset:32
	ds_bpermute_b32 v23, v7, v13 offset:32
	v_mul_f64 v[24:25], v[44:45], v[24:25]
	v_add_f64 v[14:15], v[14:15], v[30:31]
	s_waitcnt lgkmcnt(2)
	v_add_f64 v[30:31], v[78:79], -v[32:33]
	v_mul_f64 v[26:27], v[36:37], v[26:27]
	s_waitcnt lgkmcnt(0)
	v_fma_f64 v[20:21], v[28:29], v[22:23], v[20:21]
	ds_bpermute_b32 v22, v7, v12 offset:36
	ds_bpermute_b32 v23, v7, v13 offset:36
	;; [unrolled: 1-line block ×4, first 2 shown]
	v_add_f64 v[14:15], v[14:15], v[44:45]
	v_mul_f64 v[30:31], v[52:53], v[30:31]
	s_waitcnt lgkmcnt(2)
	v_fma_f64 v[20:21], v[24:25], v[22:23], v[20:21]
	ds_bpermute_b32 v22, v7, v12 offset:40
	ds_bpermute_b32 v23, v7, v13 offset:40
	s_waitcnt lgkmcnt(2)
	v_add_f64 v[28:29], v[82:83], -v[28:29]
	ds_bpermute_b32 v24, v7, v10 offset:52
	v_add_f64 v[14:15], v[14:15], v[36:37]
	ds_bpermute_b32 v25, v7, v11 offset:52
	s_waitcnt lgkmcnt(2)
	v_fma_f64 v[20:21], v[26:27], v[22:23], v[20:21]
	ds_bpermute_b32 v22, v7, v12 offset:44
	ds_bpermute_b32 v23, v7, v13 offset:44
	v_mul_f64 v[28:29], v[42:43], v[28:29]
	s_waitcnt lgkmcnt(2)
	v_add_f64 v[24:25], v[86:87], -v[24:25]
	v_add_f64 v[14:15], v[14:15], v[52:53]
	ds_bpermute_b32 v26, v7, v10 offset:56
	ds_bpermute_b32 v27, v7, v11 offset:56
	s_waitcnt lgkmcnt(2)
	v_fma_f64 v[20:21], v[30:31], v[22:23], v[20:21]
	ds_bpermute_b32 v22, v7, v12 offset:48
	ds_bpermute_b32 v23, v7, v13 offset:48
	;; [unrolled: 1-line block ×3, first 2 shown]
	v_mul_f64 v[24:25], v[64:65], v[24:25]
	s_waitcnt lgkmcnt(3)
	v_add_f64 v[26:27], v[90:91], -v[26:27]
	v_add_f64 v[14:15], v[14:15], v[42:43]
	ds_bpermute_b32 v31, v7, v11 offset:60
	s_waitcnt lgkmcnt(2)
	v_fma_f64 v[20:21], v[28:29], v[22:23], v[20:21]
	ds_bpermute_b32 v22, v7, v12 offset:52
	ds_bpermute_b32 v23, v7, v13 offset:52
	ds_bpermute_b32 v28, v7, v10 offset:64
	ds_bpermute_b32 v29, v7, v11 offset:64
	s_waitcnt lgkmcnt(4)
	v_add_f64 v[30:31], v[94:95], -v[30:31]
	v_mul_f64 v[26:27], v[48:49], v[26:27]
	v_add_f64 v[14:15], v[14:15], v[64:65]
	s_waitcnt lgkmcnt(2)
	v_fma_f64 v[20:21], v[24:25], v[22:23], v[20:21]
	ds_bpermute_b32 v22, v7, v12 offset:56
	ds_bpermute_b32 v23, v7, v13 offset:56
	s_waitcnt lgkmcnt(2)
	v_add_f64 v[28:29], v[98:99], -v[28:29]
	ds_bpermute_b32 v24, v7, v10 offset:68
	v_mul_f64 v[30:31], v[72:73], v[30:31]
	ds_bpermute_b32 v25, v7, v11 offset:68
	v_add_f64 v[14:15], v[14:15], v[48:49]
	s_waitcnt lgkmcnt(2)
	v_fma_f64 v[20:21], v[26:27], v[22:23], v[20:21]
	ds_bpermute_b32 v22, v7, v12 offset:60
	ds_bpermute_b32 v23, v7, v13 offset:60
	v_mul_f64 v[28:29], v[60:61], v[28:29]
	s_waitcnt lgkmcnt(2)
	v_add_f64 v[24:25], v[102:103], -v[24:25]
	ds_bpermute_b32 v26, v7, v10 offset:72
	ds_bpermute_b32 v27, v7, v11 offset:72
	v_add_f64 v[14:15], v[14:15], v[72:73]
	s_waitcnt lgkmcnt(2)
	v_fma_f64 v[20:21], v[30:31], v[22:23], v[20:21]
	ds_bpermute_b32 v22, v7, v12 offset:64
	ds_bpermute_b32 v23, v7, v13 offset:64
	ds_bpermute_b32 v30, v7, v10 offset:76
	s_waitcnt lgkmcnt(3)
	v_add_f64 v[26:27], v[106:107], -v[26:27]
	v_mul_f64 v[24:25], v[80:81], v[24:25]
	ds_bpermute_b32 v31, v7, v11 offset:76
	v_add_f64 v[14:15], v[14:15], v[60:61]
	s_waitcnt lgkmcnt(2)
	v_fma_f64 v[20:21], v[28:29], v[22:23], v[20:21]
	ds_bpermute_b32 v22, v7, v12 offset:68
	ds_bpermute_b32 v23, v7, v13 offset:68
	ds_bpermute_b32 v28, v7, v10 offset:80
	s_waitcnt lgkmcnt(3)
	v_add_f64 v[30:31], v[108:109], -v[30:31]
	v_mul_f64 v[26:27], v[68:69], v[26:27]
	;; [unrolled: 10-line block ×8, first 2 shown]
	ds_bpermute_b32 v27, v7, v11 offset:104
	v_add_f64 v[14:15], v[14:15], v[104:105]
	ds_bpermute_b32 v24, v7, v10 offset:108
	ds_bpermute_b32 v25, v7, v11 offset:108
	s_waitcnt lgkmcnt(4)
	v_fma_f64 v[20:21], v[28:29], v[22:23], v[20:21]
	ds_bpermute_b32 v22, v7, v12 offset:96
	ds_bpermute_b32 v23, v7, v13 offset:96
	s_waitcnt lgkmcnt(4)
	v_add_f64 v[26:27], v[126:127], -v[26:27]
	v_mul_f64 v[2:3], v[110:111], v[2:3]
	v_add_f64 v[14:15], v[14:15], v[92:93]
	s_waitcnt lgkmcnt(2)
	v_add_f64 v[24:25], v[130:131], -v[24:25]
	s_waitcnt lgkmcnt(0)
	v_fma_f64 v[0:1], v[0:1], v[22:23], v[20:21]
	ds_bpermute_b32 v20, v7, v12 offset:100
	ds_bpermute_b32 v21, v7, v13 offset:100
	;; [unrolled: 1-line block ×3, first 2 shown]
	v_mul_f64 v[26:27], v[100:101], v[26:27]
	ds_bpermute_b32 v23, v7, v11 offset:112
	v_add_f64 v[14:15], v[14:15], v[110:111]
	v_mul_f64 v[24:25], v[118:119], v[24:25]
	s_waitcnt lgkmcnt(2)
	v_fma_f64 v[0:1], v[2:3], v[20:21], v[0:1]
	ds_bpermute_b32 v2, v7, v12 offset:104
	ds_bpermute_b32 v3, v7, v13 offset:104
	s_waitcnt lgkmcnt(2)
	v_add_f64 v[22:23], v[132:133], -v[22:23]
	ds_bpermute_b32 v20, v7, v10 offset:116
	ds_bpermute_b32 v21, v7, v11 offset:116
	v_add_f64 v[14:15], v[14:15], v[100:101]
	s_waitcnt lgkmcnt(2)
	v_fma_f64 v[0:1], v[26:27], v[2:3], v[0:1]
	ds_bpermute_b32 v2, v7, v12 offset:108
	ds_bpermute_b32 v3, v7, v13 offset:108
	s_waitcnt lgkmcnt(2)
	v_add_f64 v[20:21], v[134:135], -v[20:21]
	v_mul_f64 v[22:23], v[114:115], v[22:23]
	ds_bpermute_b32 v26, v7, v10 offset:120
	ds_bpermute_b32 v27, v7, v11 offset:120
	v_add_f64 v[14:15], v[14:15], v[118:119]
	s_waitcnt lgkmcnt(2)
	v_fma_f64 v[0:1], v[24:25], v[2:3], v[0:1]
	ds_bpermute_b32 v2, v7, v12 offset:112
	ds_bpermute_b32 v3, v7, v13 offset:112
	v_mul_f64 v[20:21], v[128:129], v[20:21]
	s_waitcnt lgkmcnt(2)
	v_add_f64 v[24:25], v[136:137], -v[26:27]
	v_add_f64 v[14:15], v[14:15], v[114:115]
	s_waitcnt lgkmcnt(0)
	v_fma_f64 v[0:1], v[22:23], v[2:3], v[0:1]
	ds_bpermute_b32 v2, v7, v12 offset:116
	ds_bpermute_b32 v3, v7, v13 offset:116
	v_mul_f64 v[22:23], v[124:125], v[24:25]
	ds_bpermute_b32 v24, v7, v12 offset:120
	ds_bpermute_b32 v25, v7, v13 offset:120
	v_add_f64 v[14:15], v[14:15], v[128:129]
	s_waitcnt lgkmcnt(2)
	v_fma_f64 v[1:2], v[20:21], v[2:3], v[0:1]
	ds_bpermute_b32 v0, v7, v12 offset:124
	ds_bpermute_b32 v12, v7, v10 offset:124
	v_add_f64 v[20:21], v[14:15], v[124:125]
	s_waitcnt lgkmcnt(2)
	v_fma_f64 v[2:3], v[22:23], v[24:25], v[1:2]
	ds_bpermute_b32 v1, v7, v13 offset:124
	ds_bpermute_b32 v13, v7, v11 offset:124
.LBB38_4:                               ;   in Loop: Header=BB38_5 Depth=1
	s_waitcnt lgkmcnt(0)
	v_add_f64 v[10:11], v[18:19], -v[12:13]
	v_add_f64 v[12:13], v[20:21], v[16:17]
	s_add_u32 s26, s26, s29
	s_addc_u32 s27, s27, 0
	s_add_u32 s24, s24, s29
	v_cmp_lt_i64_e64 s30, s[26:27], s[8:9]
	s_addc_u32 s25, 0, s25
	buffer_store_dword v12, off, s[36:39], 0 ; 4-byte Folded Spill
	buffer_store_dword v13, off, s[36:39], 0 offset:4 ; 4-byte Folded Spill
	buffer_load_dword v12, off, s[36:39], 0 offset:16 ; 4-byte Folded Reload
	v_mul_f64 v[10:11], v[16:17], v[10:11]
	v_fma_f64 v[0:1], v[10:11], v[0:1], v[2:3]
	s_waitcnt vmcnt(0)
	v_add_co_u32 v12, vcc_lo, v12, s2
	buffer_store_dword v12, off, s[36:39], 0 offset:16 ; 4-byte Folded Spill
	buffer_load_dword v12, off, s[36:39], 0 offset:20 ; 4-byte Folded Reload
	s_waitcnt vmcnt(0)
	v_add_co_ci_u32_e64 v12, null, s3, v12, vcc_lo
	buffer_store_dword v12, off, s[36:39], 0 offset:20 ; 4-byte Folded Spill
	buffer_load_dword v12, off, s[36:39], 0 offset:24 ; 4-byte Folded Reload
	s_waitcnt vmcnt(0)
	v_add_co_u32 v12, vcc_lo, v12, s2
	buffer_store_dword v12, off, s[36:39], 0 offset:24 ; 4-byte Folded Spill
	buffer_load_dword v12, off, s[36:39], 0 offset:28 ; 4-byte Folded Reload
	s_waitcnt vmcnt(0)
	v_add_co_ci_u32_e64 v12, null, s3, v12, vcc_lo
	buffer_store_dword v12, off, s[36:39], 0 offset:28 ; 4-byte Folded Spill
	buffer_load_dword v12, off, s[36:39], 0 offset:32 ; 4-byte Folded Reload
	;; [unrolled: 8-line block ×3, first 2 shown]
	s_waitcnt vmcnt(0)
	v_add_co_u32 v12, vcc_lo, v12, s2
	buffer_store_dword v12, off, s[36:39], 0 offset:40 ; 4-byte Folded Spill
	buffer_load_dword v12, off, s[36:39], 0 offset:44 ; 4-byte Folded Reload
	s_waitcnt vmcnt(0)
	v_add_co_ci_u32_e64 v12, null, s3, v12, vcc_lo
	v_add_co_u32 v150, vcc_lo, v150, s2
	v_add_co_ci_u32_e64 v151, null, s3, v151, vcc_lo
	v_add_co_u32 v152, vcc_lo, v152, s2
	;; [unrolled: 2-line block ×61, first 2 shown]
	v_add_co_ci_u32_e64 v141, null, 0, v141, vcc_lo
	s_and_b32 vcc_lo, exec_lo, s30
	buffer_store_dword v12, off, s[36:39], 0 offset:44 ; 4-byte Folded Spill
	buffer_store_dword v0, off, s[36:39], 0 offset:8 ; 4-byte Folded Spill
	;; [unrolled: 1-line block ×3, first 2 shown]
	s_cbranch_vccz .LBB38_141
.LBB38_5:                               ; =>This Inner Loop Header: Depth=1
	s_add_u32 s30, s20, s24
	s_addc_u32 s31, 0, s25
	v_add_co_u32 v10, vcc_lo, s20, v140
	v_cmp_ge_i64_e64 s30, s[30:31], s[8:9]
	v_add_co_ci_u32_e64 v11, null, 0, v141, vcc_lo
                                        ; implicit-def: $vgpr0_vgpr1
                                        ; implicit-def: $vgpr16_vgpr17
                                        ; implicit-def: $vgpr18_vgpr19
                                        ; implicit-def: $vgpr12
                                        ; implicit-def: $vgpr20_vgpr21
                                        ; implicit-def: $vgpr2_vgpr3
	s_and_b32 vcc_lo, exec_lo, s30
	s_mov_b32 s30, -1
	s_cbranch_vccz .LBB38_73
; %bb.6:                                ;   in Loop: Header=BB38_5 Depth=1
	s_load_dword s30, s[22:23], 0xc
	s_clause 0x2
	buffer_load_dword v0, off, s[36:39], 0 offset:492
	buffer_load_dword v1, off, s[36:39], 0 offset:496
	buffer_load_dword v1, off, s[36:39], 0 offset:48
	v_mov_b32_e32 v20, 0
	v_mov_b32_e32 v14, 0
	;; [unrolled: 1-line block ×6, first 2 shown]
	s_waitcnt lgkmcnt(0)
	s_and_b32 s30, s30, 0xffff
	s_waitcnt vmcnt(0)
	v_mad_u32_u24 v0, v0, s30, v1
	s_mov_b32 s30, exec_lo
	v_and_b32_e32 v0, 31, v0
	v_add_co_u32 v0, vcc_lo, v10, v0
	v_add_co_ci_u32_e64 v1, null, 0, v11, vcc_lo
	v_cmpx_gt_i64_e64 s[8:9], v[0:1]
	s_cbranch_execz .LBB38_8
; %bb.7:                                ;   in Loop: Header=BB38_5 Depth=1
	v_lshlrev_b64 v[0:1], 3, v[0:1]
	v_add_co_u32 v2, vcc_lo, s16, v0
	v_add_co_ci_u32_e64 v3, null, s17, v1, vcc_lo
	v_add_co_u32 v0, vcc_lo, s18, v0
	v_add_co_ci_u32_e64 v1, null, s19, v1, vcc_lo
	global_load_dwordx2 v[12:13], v[2:3], off
	global_load_dwordx2 v[14:15], v[0:1], off
.LBB38_8:                               ;   in Loop: Header=BB38_5 Depth=1
	s_or_b32 exec_lo, exec_lo, s30
	v_cmp_gt_i64_e32 vcc_lo, s[8:9], v[10:11]
	v_mov_b32_e32 v44, 0
	v_mov_b32_e32 v45, 0
	s_and_b32 s31, s1, vcc_lo
	s_and_saveexec_b32 s30, s31
	s_cbranch_execz .LBB38_10
; %bb.9:                                ;   in Loop: Header=BB38_5 Depth=1
	s_clause 0x3
	buffer_load_dword v0, off, s[36:39], 0 offset:16
	buffer_load_dword v1, off, s[36:39], 0 offset:20
	;; [unrolled: 1-line block ×4, first 2 shown]
	s_waitcnt vmcnt(3)
	v_add_co_u32 v0, vcc_lo, v0, v8
	s_waitcnt vmcnt(2)
	v_add_co_ci_u32_e64 v1, null, v1, v9, vcc_lo
	s_waitcnt vmcnt(1)
	v_add_co_u32 v2, vcc_lo, v2, v8
	s_waitcnt vmcnt(0)
	v_add_co_ci_u32_e64 v3, null, v3, v9, vcc_lo
	global_load_dwordx2 v[20:21], v[0:1], off
	global_load_dwordx2 v[44:45], v[2:3], off
.LBB38_10:                              ;   in Loop: Header=BB38_5 Depth=1
	s_or_b32 exec_lo, exec_lo, s30
	v_add_co_u32 v0, vcc_lo, v10, 1
	v_add_co_ci_u32_e64 v1, null, 0, v11, vcc_lo
	v_mov_b32_e32 v22, 0
	v_mov_b32_e32 v24, 0
	;; [unrolled: 1-line block ×3, first 2 shown]
	v_cmp_gt_i64_e32 vcc_lo, s[8:9], v[0:1]
	v_mov_b32_e32 v0, 0
	v_mov_b32_e32 v25, 0
	;; [unrolled: 1-line block ×3, first 2 shown]
	buffer_store_dword v0, off, s[36:39], 0 offset:52 ; 4-byte Folded Spill
	buffer_store_dword v1, off, s[36:39], 0 offset:56 ; 4-byte Folded Spill
	s_and_b32 s31, s1, vcc_lo
	s_and_saveexec_b32 s30, s31
	s_cbranch_execz .LBB38_12
; %bb.11:                               ;   in Loop: Header=BB38_5 Depth=1
	v_add_co_u32 v0, vcc_lo, v143, v8
	v_add_co_ci_u32_e64 v1, null, v144, v9, vcc_lo
	v_add_co_u32 v2, vcc_lo, v145, v8
	v_add_co_ci_u32_e64 v3, null, v54, v9, vcc_lo
	global_load_dwordx2 v[24:25], v[0:1], off
	global_load_dwordx2 v[0:1], v[2:3], off
	s_waitcnt vmcnt(0)
	buffer_store_dword v0, off, s[36:39], 0 offset:52 ; 4-byte Folded Spill
	buffer_store_dword v1, off, s[36:39], 0 offset:56 ; 4-byte Folded Spill
.LBB38_12:                              ;   in Loop: Header=BB38_5 Depth=1
	s_or_b32 exec_lo, exec_lo, s30
	v_add_co_u32 v0, vcc_lo, v10, 2
	v_add_co_ci_u32_e64 v1, null, 0, v11, vcc_lo
	v_mov_b32_e32 v66, 0
	v_mov_b32_e32 v67, 0
	v_cmp_gt_i64_e32 vcc_lo, s[8:9], v[0:1]
	s_and_b32 s31, s1, vcc_lo
	s_and_saveexec_b32 s30, s31
	s_cbranch_execz .LBB38_14
; %bb.13:                               ;   in Loop: Header=BB38_5 Depth=1
	v_add_co_u32 v0, vcc_lo, v41, v8
	v_add_co_ci_u32_e64 v1, null, v46, v9, vcc_lo
	v_add_co_u32 v2, vcc_lo, v47, v8
	v_add_co_ci_u32_e64 v3, null, v142, v9, vcc_lo
	global_load_dwordx2 v[22:23], v[0:1], off
	global_load_dwordx2 v[66:67], v[2:3], off
.LBB38_14:                              ;   in Loop: Header=BB38_5 Depth=1
	s_or_b32 exec_lo, exec_lo, s30
	v_add_co_u32 v0, vcc_lo, v10, 3
	v_add_co_ci_u32_e64 v1, null, 0, v11, vcc_lo
	v_mov_b32_e32 v26, 0
	v_mov_b32_e32 v28, 0
	v_mov_b32_e32 v27, 0
	v_cmp_gt_i64_e32 vcc_lo, s[8:9], v[0:1]
	v_mov_b32_e32 v0, 0
	v_mov_b32_e32 v29, 0
	;; [unrolled: 1-line block ×3, first 2 shown]
	buffer_store_dword v0, off, s[36:39], 0 offset:60 ; 4-byte Folded Spill
	buffer_store_dword v1, off, s[36:39], 0 offset:64 ; 4-byte Folded Spill
	s_and_b32 s31, s1, vcc_lo
	s_and_saveexec_b32 s30, s31
	s_cbranch_execz .LBB38_16
; %bb.15:                               ;   in Loop: Header=BB38_5 Depth=1
	v_add_co_u32 v0, vcc_lo, v255, v8
	v_add_co_ci_u32_e64 v1, null, v34, v9, vcc_lo
	v_add_co_u32 v2, vcc_lo, v35, v8
	v_add_co_ci_u32_e64 v3, null, v40, v9, vcc_lo
	global_load_dwordx2 v[28:29], v[0:1], off
	global_load_dwordx2 v[0:1], v[2:3], off
	s_waitcnt vmcnt(0)
	buffer_store_dword v0, off, s[36:39], 0 offset:60 ; 4-byte Folded Spill
	buffer_store_dword v1, off, s[36:39], 0 offset:64 ; 4-byte Folded Spill
.LBB38_16:                              ;   in Loop: Header=BB38_5 Depth=1
	s_or_b32 exec_lo, exec_lo, s30
	v_add_co_u32 v0, vcc_lo, v10, 4
	v_add_co_ci_u32_e64 v1, null, 0, v11, vcc_lo
	v_mov_b32_e32 v60, 0
	v_mov_b32_e32 v61, 0
	v_cmp_gt_i64_e32 vcc_lo, s[8:9], v[0:1]
	s_and_b32 s31, s1, vcc_lo
	s_and_saveexec_b32 s30, s31
	s_cbranch_execz .LBB38_18
; %bb.17:                               ;   in Loop: Header=BB38_5 Depth=1
	v_add_co_u32 v0, vcc_lo, v251, v8
	v_add_co_ci_u32_e64 v1, null, v252, v9, vcc_lo
	v_add_co_u32 v2, vcc_lo, v253, v8
	v_add_co_ci_u32_e64 v3, null, v254, v9, vcc_lo
	global_load_dwordx2 v[26:27], v[0:1], off
	global_load_dwordx2 v[60:61], v[2:3], off
.LBB38_18:                              ;   in Loop: Header=BB38_5 Depth=1
	s_or_b32 exec_lo, exec_lo, s30
	v_add_co_u32 v0, vcc_lo, v10, 5
	v_add_co_ci_u32_e64 v1, null, 0, v11, vcc_lo
	v_mov_b32_e32 v30, 0
	v_mov_b32_e32 v32, 0
	;; [unrolled: 1-line block ×3, first 2 shown]
	v_cmp_gt_i64_e32 vcc_lo, s[8:9], v[0:1]
	v_mov_b32_e32 v31, 0
	v_mov_b32_e32 v33, 0
	;; [unrolled: 1-line block ×3, first 2 shown]
	s_and_b32 s31, s1, vcc_lo
	s_and_saveexec_b32 s30, s31
	s_cbranch_execz .LBB38_20
; %bb.19:                               ;   in Loop: Header=BB38_5 Depth=1
	v_add_co_u32 v0, vcc_lo, v247, v8
	v_add_co_ci_u32_e64 v1, null, v248, v9, vcc_lo
	v_add_co_u32 v2, vcc_lo, v249, v8
	v_add_co_ci_u32_e64 v3, null, v250, v9, vcc_lo
	global_load_dwordx2 v[32:33], v[0:1], off
	global_load_dwordx2 v[68:69], v[2:3], off
.LBB38_20:                              ;   in Loop: Header=BB38_5 Depth=1
	s_or_b32 exec_lo, exec_lo, s30
	v_add_co_u32 v0, vcc_lo, v10, 6
	v_add_co_ci_u32_e64 v1, null, 0, v11, vcc_lo
	v_cmp_gt_i64_e32 vcc_lo, s[8:9], v[0:1]
	v_mov_b32_e32 v0, 0
	v_mov_b32_e32 v1, 0
	buffer_store_dword v0, off, s[36:39], 0 offset:68 ; 4-byte Folded Spill
	buffer_store_dword v1, off, s[36:39], 0 offset:72 ; 4-byte Folded Spill
	s_and_b32 s31, s1, vcc_lo
	s_and_saveexec_b32 s30, s31
	s_cbranch_execz .LBB38_22
; %bb.21:                               ;   in Loop: Header=BB38_5 Depth=1
	v_add_co_u32 v0, vcc_lo, v243, v8
	v_add_co_ci_u32_e64 v1, null, v244, v9, vcc_lo
	v_add_co_u32 v2, vcc_lo, v245, v8
	v_add_co_ci_u32_e64 v3, null, v246, v9, vcc_lo
	global_load_dwordx2 v[30:31], v[0:1], off
	global_load_dwordx2 v[0:1], v[2:3], off
	s_waitcnt vmcnt(0)
	buffer_store_dword v0, off, s[36:39], 0 offset:68 ; 4-byte Folded Spill
	buffer_store_dword v1, off, s[36:39], 0 offset:72 ; 4-byte Folded Spill
.LBB38_22:                              ;   in Loop: Header=BB38_5 Depth=1
	s_or_b32 exec_lo, exec_lo, s30
	v_add_co_u32 v0, vcc_lo, v10, 7
	v_add_co_ci_u32_e64 v1, null, 0, v11, vcc_lo
	v_mov_b32_e32 v36, 0
	v_mov_b32_e32 v42, 0
	;; [unrolled: 1-line block ×3, first 2 shown]
	v_cmp_gt_i64_e32 vcc_lo, s[8:9], v[0:1]
	v_mov_b32_e32 v0, 0
	v_mov_b32_e32 v43, 0
	;; [unrolled: 1-line block ×3, first 2 shown]
	buffer_store_dword v0, off, s[36:39], 0 offset:76 ; 4-byte Folded Spill
	buffer_store_dword v1, off, s[36:39], 0 offset:80 ; 4-byte Folded Spill
	s_and_b32 s31, s1, vcc_lo
	s_and_saveexec_b32 s30, s31
	s_cbranch_execz .LBB38_24
; %bb.23:                               ;   in Loop: Header=BB38_5 Depth=1
	v_add_co_u32 v0, vcc_lo, v239, v8
	v_add_co_ci_u32_e64 v1, null, v240, v9, vcc_lo
	v_add_co_u32 v2, vcc_lo, v241, v8
	v_add_co_ci_u32_e64 v3, null, v242, v9, vcc_lo
	global_load_dwordx2 v[42:43], v[0:1], off
	global_load_dwordx2 v[0:1], v[2:3], off
	s_waitcnt vmcnt(0)
	buffer_store_dword v0, off, s[36:39], 0 offset:76 ; 4-byte Folded Spill
	buffer_store_dword v1, off, s[36:39], 0 offset:80 ; 4-byte Folded Spill
.LBB38_24:                              ;   in Loop: Header=BB38_5 Depth=1
	s_or_b32 exec_lo, exec_lo, s30
	v_add_co_u32 v0, vcc_lo, v10, 8
	v_add_co_ci_u32_e64 v1, null, 0, v11, vcc_lo
	v_cmp_gt_i64_e32 vcc_lo, s[8:9], v[0:1]
	v_mov_b32_e32 v0, 0
	v_mov_b32_e32 v1, 0
	buffer_store_dword v0, off, s[36:39], 0 offset:84 ; 4-byte Folded Spill
	buffer_store_dword v1, off, s[36:39], 0 offset:88 ; 4-byte Folded Spill
	s_and_b32 s31, s1, vcc_lo
	s_and_saveexec_b32 s30, s31
	s_cbranch_execz .LBB38_26
; %bb.25:                               ;   in Loop: Header=BB38_5 Depth=1
	v_add_co_u32 v0, vcc_lo, v235, v8
	v_add_co_ci_u32_e64 v1, null, v236, v9, vcc_lo
	v_add_co_u32 v2, vcc_lo, v237, v8
	v_add_co_ci_u32_e64 v3, null, v238, v9, vcc_lo
	global_load_dwordx2 v[36:37], v[0:1], off
	global_load_dwordx2 v[0:1], v[2:3], off
	s_waitcnt vmcnt(0)
	buffer_store_dword v0, off, s[36:39], 0 offset:84 ; 4-byte Folded Spill
	buffer_store_dword v1, off, s[36:39], 0 offset:88 ; 4-byte Folded Spill
.LBB38_26:                              ;   in Loop: Header=BB38_5 Depth=1
	s_or_b32 exec_lo, exec_lo, s30
	v_add_co_u32 v0, vcc_lo, v10, 9
	v_add_co_ci_u32_e64 v1, null, 0, v11, vcc_lo
	v_mov_b32_e32 v50, 0
	v_mov_b32_e32 v52, 0
	;; [unrolled: 1-line block ×3, first 2 shown]
	v_cmp_gt_i64_e32 vcc_lo, s[8:9], v[0:1]
	v_mov_b32_e32 v0, 0
	v_mov_b32_e32 v53, 0
	;; [unrolled: 1-line block ×3, first 2 shown]
	buffer_store_dword v0, off, s[36:39], 0 offset:92 ; 4-byte Folded Spill
	buffer_store_dword v1, off, s[36:39], 0 offset:96 ; 4-byte Folded Spill
	s_and_b32 s31, s1, vcc_lo
	s_and_saveexec_b32 s30, s31
	s_cbranch_execz .LBB38_28
; %bb.27:                               ;   in Loop: Header=BB38_5 Depth=1
	v_add_co_u32 v0, vcc_lo, v231, v8
	v_add_co_ci_u32_e64 v1, null, v232, v9, vcc_lo
	v_add_co_u32 v2, vcc_lo, v233, v8
	v_add_co_ci_u32_e64 v3, null, v234, v9, vcc_lo
	global_load_dwordx2 v[52:53], v[0:1], off
	global_load_dwordx2 v[0:1], v[2:3], off
	s_waitcnt vmcnt(0)
	buffer_store_dword v0, off, s[36:39], 0 offset:92 ; 4-byte Folded Spill
	buffer_store_dword v1, off, s[36:39], 0 offset:96 ; 4-byte Folded Spill
.LBB38_28:                              ;   in Loop: Header=BB38_5 Depth=1
	s_or_b32 exec_lo, exec_lo, s30
	v_add_co_u32 v0, vcc_lo, v10, 10
	v_add_co_ci_u32_e64 v1, null, 0, v11, vcc_lo
	v_cmp_gt_i64_e32 vcc_lo, s[8:9], v[0:1]
	v_mov_b32_e32 v0, 0
	v_mov_b32_e32 v1, 0
	buffer_store_dword v0, off, s[36:39], 0 offset:100 ; 4-byte Folded Spill
	buffer_store_dword v1, off, s[36:39], 0 offset:104 ; 4-byte Folded Spill
	s_and_b32 s31, s1, vcc_lo
	s_and_saveexec_b32 s30, s31
	s_cbranch_execz .LBB38_30
; %bb.29:                               ;   in Loop: Header=BB38_5 Depth=1
	v_add_co_u32 v0, vcc_lo, v227, v8
	v_add_co_ci_u32_e64 v1, null, v228, v9, vcc_lo
	v_add_co_u32 v2, vcc_lo, v229, v8
	v_add_co_ci_u32_e64 v3, null, v230, v9, vcc_lo
	global_load_dwordx2 v[50:51], v[0:1], off
	global_load_dwordx2 v[0:1], v[2:3], off
	s_waitcnt vmcnt(0)
	buffer_store_dword v0, off, s[36:39], 0 offset:100 ; 4-byte Folded Spill
	buffer_store_dword v1, off, s[36:39], 0 offset:104 ; 4-byte Folded Spill
.LBB38_30:                              ;   in Loop: Header=BB38_5 Depth=1
	s_or_b32 exec_lo, exec_lo, s30
	v_add_co_u32 v0, vcc_lo, v10, 11
	v_add_co_ci_u32_e64 v1, null, 0, v11, vcc_lo
	v_mov_b32_e32 v56, 0
	v_mov_b32_e32 v62, 0
	v_mov_b32_e32 v74, 0
	v_cmp_gt_i64_e32 vcc_lo, s[8:9], v[0:1]
	v_mov_b32_e32 v57, 0
	v_mov_b32_e32 v63, 0
	v_mov_b32_e32 v75, 0
	s_and_b32 s31, s1, vcc_lo
	s_and_saveexec_b32 s30, s31
	s_cbranch_execz .LBB38_32
; %bb.31:                               ;   in Loop: Header=BB38_5 Depth=1
	v_add_co_u32 v0, vcc_lo, v223, v8
	v_add_co_ci_u32_e64 v1, null, v224, v9, vcc_lo
	v_add_co_u32 v2, vcc_lo, v225, v8
	v_add_co_ci_u32_e64 v3, null, v226, v9, vcc_lo
	global_load_dwordx2 v[62:63], v[0:1], off
	global_load_dwordx2 v[74:75], v[2:3], off
.LBB38_32:                              ;   in Loop: Header=BB38_5 Depth=1
	s_or_b32 exec_lo, exec_lo, s30
	v_add_co_u32 v0, vcc_lo, v10, 12
	v_add_co_ci_u32_e64 v1, null, 0, v11, vcc_lo
	v_mov_b32_e32 v76, 0
	v_mov_b32_e32 v77, 0
	v_cmp_gt_i64_e32 vcc_lo, s[8:9], v[0:1]
	s_and_b32 s31, s1, vcc_lo
	s_and_saveexec_b32 s30, s31
	s_cbranch_execz .LBB38_34
; %bb.33:                               ;   in Loop: Header=BB38_5 Depth=1
	v_add_co_u32 v0, vcc_lo, v219, v8
	v_add_co_ci_u32_e64 v1, null, v220, v9, vcc_lo
	v_add_co_u32 v2, vcc_lo, v221, v8
	v_add_co_ci_u32_e64 v3, null, v222, v9, vcc_lo
	global_load_dwordx2 v[56:57], v[0:1], off
	global_load_dwordx2 v[76:77], v[2:3], off
.LBB38_34:                              ;   in Loop: Header=BB38_5 Depth=1
	s_or_b32 exec_lo, exec_lo, s30
	v_add_co_u32 v0, vcc_lo, v10, 13
	v_add_co_ci_u32_e64 v1, null, 0, v11, vcc_lo
	v_mov_b32_e32 v64, 0
	v_mov_b32_e32 v70, 0
	v_mov_b32_e32 v82, 0
	v_cmp_gt_i64_e32 vcc_lo, s[8:9], v[0:1]
	v_mov_b32_e32 v65, 0
	v_mov_b32_e32 v71, 0
	v_mov_b32_e32 v83, 0
	s_and_b32 s31, s1, vcc_lo
	s_and_saveexec_b32 s30, s31
	s_cbranch_execz .LBB38_36
; %bb.35:                               ;   in Loop: Header=BB38_5 Depth=1
	v_add_co_u32 v0, vcc_lo, v215, v8
	v_add_co_ci_u32_e64 v1, null, v216, v9, vcc_lo
	v_add_co_u32 v2, vcc_lo, v217, v8
	v_add_co_ci_u32_e64 v3, null, v218, v9, vcc_lo
	global_load_dwordx2 v[70:71], v[0:1], off
	global_load_dwordx2 v[82:83], v[2:3], off
.LBB38_36:                              ;   in Loop: Header=BB38_5 Depth=1
	s_or_b32 exec_lo, exec_lo, s30
	v_add_co_u32 v0, vcc_lo, v10, 14
	v_add_co_ci_u32_e64 v1, null, 0, v11, vcc_lo
	v_mov_b32_e32 v84, 0
	v_mov_b32_e32 v85, 0
	v_cmp_gt_i64_e32 vcc_lo, s[8:9], v[0:1]
	s_and_b32 s31, s1, vcc_lo
	s_and_saveexec_b32 s30, s31
	s_cbranch_execz .LBB38_38
; %bb.37:                               ;   in Loop: Header=BB38_5 Depth=1
	v_add_co_u32 v0, vcc_lo, v211, v8
	v_add_co_ci_u32_e64 v1, null, v212, v9, vcc_lo
	v_add_co_u32 v2, vcc_lo, v213, v8
	v_add_co_ci_u32_e64 v3, null, v214, v9, vcc_lo
	global_load_dwordx2 v[64:65], v[0:1], off
	global_load_dwordx2 v[84:85], v[2:3], off
.LBB38_38:                              ;   in Loop: Header=BB38_5 Depth=1
	;; [unrolled: 38-line block ×10, first 2 shown]
	s_or_b32 exec_lo, exec_lo, s30
	v_add_co_u32 v16, vcc_lo, v10, 31
	v_add_co_ci_u32_e64 v17, null, 0, v11, vcc_lo
	v_mov_b32_e32 v18, 0
	v_mov_b32_e32 v19, 0
	v_cmp_gt_i64_e32 vcc_lo, s[8:9], v[16:17]
	v_mov_b32_e32 v16, 0
	v_mov_b32_e32 v17, 0
	s_and_b32 s31, s1, vcc_lo
	s_and_saveexec_b32 s30, s31
	s_cbranch_execz .LBB38_72
; %bb.71:                               ;   in Loop: Header=BB38_5 Depth=1
	s_clause 0x3
	buffer_load_dword v16, off, s[36:39], 0 offset:32
	buffer_load_dword v17, off, s[36:39], 0 offset:36
	;; [unrolled: 1-line block ×4, first 2 shown]
	s_waitcnt vmcnt(3)
	v_add_co_u32 v16, vcc_lo, v16, v8
	s_waitcnt vmcnt(2)
	v_add_co_ci_u32_e64 v17, null, v17, v9, vcc_lo
	s_waitcnt vmcnt(1)
	v_add_co_u32 v18, vcc_lo, v18, v8
	s_waitcnt vmcnt(0)
	v_add_co_ci_u32_e64 v19, null, v19, v9, vcc_lo
	global_load_dwordx2 v[16:17], v[16:17], off
	global_load_dwordx2 v[18:19], v[18:19], off
.LBB38_72:                              ;   in Loop: Header=BB38_5 Depth=1
	s_or_b32 exec_lo, exec_lo, s30
	s_waitcnt vmcnt(1)
	ds_bpermute_b32 v38, v7, v12
	ds_bpermute_b32 v39, v7, v13
	ds_bpermute_b32 v48, v7, v12 offset:4
	ds_bpermute_b32 v49, v7, v13 offset:4
	s_mov_b32 s30, 0
	s_waitcnt vmcnt(0) lgkmcnt(2)
	v_add_f64 v[38:39], v[44:45], -v[38:39]
	s_clause 0x3
	buffer_load_dword v44, off, s[36:39], 0 offset:52
	buffer_load_dword v45, off, s[36:39], 0 offset:56
	;; [unrolled: 1-line block ×4, first 2 shown]
	v_mul_f64 v[38:39], v[20:21], v[38:39]
	s_waitcnt vmcnt(2) lgkmcnt(0)
	v_add_f64 v[48:49], v[44:45], -v[48:49]
	ds_bpermute_b32 v44, v7, v14
	ds_bpermute_b32 v45, v7, v15
	s_waitcnt vmcnt(0) lgkmcnt(0)
	v_fma_f64 v[38:39], v[38:39], v[44:45], v[58:59]
	v_mul_f64 v[44:45], v[24:25], v[48:49]
	ds_bpermute_b32 v48, v7, v14 offset:4
	ds_bpermute_b32 v49, v7, v15 offset:4
	s_waitcnt lgkmcnt(0)
	v_fma_f64 v[38:39], v[44:45], v[48:49], v[38:39]
	ds_bpermute_b32 v44, v7, v12 offset:8
	ds_bpermute_b32 v45, v7, v13 offset:8
	;; [unrolled: 1-line block ×4, first 2 shown]
	s_waitcnt lgkmcnt(2)
	v_add_f64 v[44:45], v[66:67], -v[44:45]
	v_mul_f64 v[44:45], v[22:23], v[44:45]
	s_waitcnt lgkmcnt(0)
	v_fma_f64 v[38:39], v[44:45], v[48:49], v[38:39]
	s_clause 0x1
	buffer_load_dword v48, off, s[36:39], 0 offset:60
	buffer_load_dword v49, off, s[36:39], 0 offset:64
	ds_bpermute_b32 v44, v7, v12 offset:12
	ds_bpermute_b32 v45, v7, v13 offset:12
	s_waitcnt vmcnt(0) lgkmcnt(0)
	v_add_f64 v[44:45], v[48:49], -v[44:45]
	ds_bpermute_b32 v48, v7, v14 offset:12
	ds_bpermute_b32 v49, v7, v15 offset:12
	v_mul_f64 v[44:45], v[28:29], v[44:45]
	s_waitcnt lgkmcnt(0)
	v_fma_f64 v[38:39], v[44:45], v[48:49], v[38:39]
	s_clause 0x1
	buffer_load_dword v44, off, s[36:39], 0
	buffer_load_dword v45, off, s[36:39], 0 offset:4
	s_waitcnt vmcnt(0)
	v_add_f64 v[20:21], v[44:45], v[20:21]
	s_clause 0x3
	buffer_load_dword v44, off, s[36:39], 0 offset:68
	buffer_load_dword v45, off, s[36:39], 0 offset:72
	;; [unrolled: 1-line block ×4, first 2 shown]
	v_add_f64 v[20:21], v[20:21], v[24:25]
	ds_bpermute_b32 v24, v7, v12 offset:16
	ds_bpermute_b32 v25, v7, v13 offset:16
	s_waitcnt lgkmcnt(0)
	v_add_f64 v[24:25], v[60:61], -v[24:25]
	v_add_f64 v[20:21], v[20:21], v[22:23]
	ds_bpermute_b32 v22, v7, v12 offset:20
	ds_bpermute_b32 v23, v7, v13 offset:20
	v_mul_f64 v[24:25], v[26:27], v[24:25]
	v_add_f64 v[20:21], v[20:21], v[28:29]
	ds_bpermute_b32 v28, v7, v12 offset:24
	ds_bpermute_b32 v29, v7, v13 offset:24
	s_waitcnt lgkmcnt(2)
	v_add_f64 v[22:23], v[68:69], -v[22:23]
	v_add_f64 v[20:21], v[20:21], v[26:27]
	ds_bpermute_b32 v26, v7, v12 offset:28
	ds_bpermute_b32 v27, v7, v13 offset:28
	v_mul_f64 v[22:23], v[32:33], v[22:23]
	v_add_f64 v[20:21], v[20:21], v[32:33]
	ds_bpermute_b32 v32, v7, v12 offset:36
	ds_bpermute_b32 v33, v7, v13 offset:36
	v_add_f64 v[20:21], v[20:21], v[30:31]
	v_add_f64 v[20:21], v[20:21], v[42:43]
	;; [unrolled: 1-line block ×9, first 2 shown]
	s_waitcnt vmcnt(2) lgkmcnt(4)
	v_add_f64 v[28:29], v[44:45], -v[28:29]
	ds_bpermute_b32 v44, v7, v14 offset:16
	ds_bpermute_b32 v45, v7, v15 offset:16
	s_waitcnt vmcnt(0) lgkmcnt(4)
	v_add_f64 v[26:27], v[48:49], -v[26:27]
	v_add_f64 v[20:21], v[20:21], v[78:79]
	s_waitcnt lgkmcnt(0)
	v_fma_f64 v[24:25], v[24:25], v[44:45], v[38:39]
	ds_bpermute_b32 v38, v7, v14 offset:20
	ds_bpermute_b32 v39, v7, v15 offset:20
	v_mul_f64 v[28:29], v[30:31], v[28:29]
	ds_bpermute_b32 v44, v7, v12 offset:32
	ds_bpermute_b32 v45, v7, v13 offset:32
	v_mul_f64 v[26:27], v[42:43], v[26:27]
	v_add_f64 v[20:21], v[20:21], v[72:73]
	s_waitcnt lgkmcnt(2)
	v_fma_f64 v[22:23], v[22:23], v[38:39], v[24:25]
	s_clause 0x3
	buffer_load_dword v38, off, s[36:39], 0 offset:84
	buffer_load_dword v39, off, s[36:39], 0 offset:88
	;; [unrolled: 1-line block ×4, first 2 shown]
	ds_bpermute_b32 v24, v7, v14 offset:24
	ds_bpermute_b32 v25, v7, v15 offset:24
	v_add_f64 v[20:21], v[20:21], v[86:87]
	s_waitcnt lgkmcnt(0)
	v_fma_f64 v[22:23], v[28:29], v[24:25], v[22:23]
	ds_bpermute_b32 v24, v7, v14 offset:28
	ds_bpermute_b32 v25, v7, v15 offset:28
	;; [unrolled: 1-line block ×4, first 2 shown]
	v_add_f64 v[20:21], v[20:21], v[80:81]
	s_waitcnt lgkmcnt(2)
	v_fma_f64 v[22:23], v[26:27], v[24:25], v[22:23]
	ds_bpermute_b32 v24, v7, v14 offset:32
	ds_bpermute_b32 v25, v7, v15 offset:32
	;; [unrolled: 1-line block ×4, first 2 shown]
	v_add_f64 v[20:21], v[20:21], v[94:95]
	s_waitcnt lgkmcnt(0)
	v_add_f64 v[26:27], v[74:75], -v[26:27]
	v_add_f64 v[20:21], v[20:21], v[88:89]
	v_mul_f64 v[26:27], v[62:63], v[26:27]
	v_add_f64 v[20:21], v[20:21], v[102:103]
	v_add_f64 v[20:21], v[20:21], v[96:97]
	;; [unrolled: 1-line block ×10, first 2 shown]
	s_waitcnt vmcnt(2)
	v_add_f64 v[38:39], v[38:39], -v[44:45]
	s_waitcnt vmcnt(0)
	v_add_f64 v[30:31], v[30:31], -v[32:33]
	v_mul_f64 v[32:33], v[36:37], v[38:39]
	s_clause 0x1
	buffer_load_dword v38, off, s[36:39], 0 offset:100
	buffer_load_dword v39, off, s[36:39], 0 offset:104
	v_mul_f64 v[30:31], v[52:53], v[30:31]
	v_fma_f64 v[22:23], v[32:33], v[24:25], v[22:23]
	ds_bpermute_b32 v24, v7, v14 offset:36
	ds_bpermute_b32 v25, v7, v15 offset:36
	;; [unrolled: 1-line block ×4, first 2 shown]
	s_waitcnt lgkmcnt(2)
	v_fma_f64 v[22:23], v[30:31], v[24:25], v[22:23]
	ds_bpermute_b32 v24, v7, v14 offset:40
	ds_bpermute_b32 v25, v7, v15 offset:40
	s_waitcnt lgkmcnt(2)
	v_add_f64 v[32:33], v[76:77], -v[32:33]
	ds_bpermute_b32 v30, v7, v12 offset:52
	ds_bpermute_b32 v31, v7, v13 offset:52
	s_waitcnt lgkmcnt(0)
	v_add_f64 v[30:31], v[82:83], -v[30:31]
	v_mul_f64 v[32:33], v[56:57], v[32:33]
	v_mul_f64 v[30:31], v[70:71], v[30:31]
	s_waitcnt vmcnt(0)
	v_add_f64 v[28:29], v[38:39], -v[28:29]
	v_mul_f64 v[28:29], v[50:51], v[28:29]
	v_fma_f64 v[22:23], v[28:29], v[24:25], v[22:23]
	ds_bpermute_b32 v24, v7, v14 offset:44
	ds_bpermute_b32 v25, v7, v15 offset:44
	;; [unrolled: 1-line block ×4, first 2 shown]
	s_waitcnt lgkmcnt(2)
	v_fma_f64 v[22:23], v[26:27], v[24:25], v[22:23]
	ds_bpermute_b32 v24, v7, v14 offset:48
	ds_bpermute_b32 v25, v7, v15 offset:48
	s_waitcnt lgkmcnt(2)
	v_add_f64 v[28:29], v[84:85], -v[28:29]
	ds_bpermute_b32 v26, v7, v12 offset:60
	ds_bpermute_b32 v27, v7, v13 offset:60
	s_waitcnt lgkmcnt(2)
	v_fma_f64 v[22:23], v[32:33], v[24:25], v[22:23]
	ds_bpermute_b32 v24, v7, v14 offset:52
	ds_bpermute_b32 v25, v7, v15 offset:52
	s_waitcnt lgkmcnt(2)
	v_add_f64 v[26:27], v[90:91], -v[26:27]
	v_mul_f64 v[28:29], v[64:65], v[28:29]
	ds_bpermute_b32 v32, v7, v12 offset:64
	ds_bpermute_b32 v33, v7, v13 offset:64
	s_waitcnt lgkmcnt(2)
	v_fma_f64 v[22:23], v[30:31], v[24:25], v[22:23]
	ds_bpermute_b32 v24, v7, v14 offset:56
	ds_bpermute_b32 v25, v7, v15 offset:56
	v_mul_f64 v[26:27], v[78:79], v[26:27]
	s_waitcnt lgkmcnt(2)
	v_add_f64 v[32:33], v[92:93], -v[32:33]
	ds_bpermute_b32 v30, v7, v12 offset:68
	ds_bpermute_b32 v31, v7, v13 offset:68
	s_waitcnt lgkmcnt(2)
	v_fma_f64 v[22:23], v[28:29], v[24:25], v[22:23]
	ds_bpermute_b32 v24, v7, v14 offset:60
	ds_bpermute_b32 v25, v7, v15 offset:60
	ds_bpermute_b32 v28, v7, v12 offset:72
	s_waitcnt lgkmcnt(3)
	v_add_f64 v[30:31], v[98:99], -v[30:31]
	v_mul_f64 v[32:33], v[72:73], v[32:33]
	ds_bpermute_b32 v29, v7, v13 offset:72
	s_waitcnt lgkmcnt(2)
	v_fma_f64 v[22:23], v[26:27], v[24:25], v[22:23]
	ds_bpermute_b32 v24, v7, v14 offset:64
	ds_bpermute_b32 v25, v7, v15 offset:64
	ds_bpermute_b32 v26, v7, v12 offset:76
	s_waitcnt lgkmcnt(3)
	v_add_f64 v[28:29], v[100:101], -v[28:29]
	v_mul_f64 v[30:31], v[86:87], v[30:31]
	;; [unrolled: 9-line block ×13, first 2 shown]
	ds_bpermute_b32 v29, v7, v13 offset:120
	ds_bpermute_b32 v12, v7, v12 offset:124
	;; [unrolled: 1-line block ×3, first 2 shown]
	s_waitcnt lgkmcnt(4)
	v_fma_f64 v[22:23], v[26:27], v[24:25], v[22:23]
	ds_bpermute_b32 v24, v7, v14 offset:112
	ds_bpermute_b32 v25, v7, v15 offset:112
	s_waitcnt lgkmcnt(4)
	v_add_f64 v[26:27], v[138:139], -v[28:29]
	v_mul_f64 v[28:29], v[0:1], v[30:31]
	ds_bpermute_b32 v0, v7, v14 offset:124
	s_waitcnt lgkmcnt(1)
	v_fma_f64 v[2:3], v[2:3], v[24:25], v[22:23]
	ds_bpermute_b32 v22, v7, v14 offset:116
	ds_bpermute_b32 v23, v7, v15 offset:116
	v_mul_f64 v[24:25], v[134:135], v[26:27]
	s_waitcnt lgkmcnt(0)
	v_fma_f64 v[1:2], v[28:29], v[22:23], v[2:3]
	ds_bpermute_b32 v22, v7, v14 offset:120
	ds_bpermute_b32 v23, v7, v15 offset:120
	s_waitcnt lgkmcnt(0)
	v_fma_f64 v[2:3], v[24:25], v[22:23], v[1:2]
	ds_bpermute_b32 v1, v7, v15 offset:124
.LBB38_73:                              ;   in Loop: Header=BB38_5 Depth=1
	s_and_b32 vcc_lo, exec_lo, s30
	s_cbranch_vccz .LBB38_4
; %bb.74:                               ;   in Loop: Header=BB38_5 Depth=1
	s_load_dword s30, s[22:23], 0x0
	v_mov_b32_e32 v14, 0
	v_mov_b32_e32 v12, 0
	;; [unrolled: 1-line block ×4, first 2 shown]
	s_waitcnt lgkmcnt(0)
	s_cmp_lt_u32 s6, s30
	s_cselect_b32 s30, 12, 18
	s_add_u32 s30, s22, s30
	s_addc_u32 s31, s23, 0
	global_load_ushort v0, v7, s[30:31]
	s_clause 0x2
	buffer_load_dword v1, off, s[36:39], 0 offset:492
	buffer_load_dword v2, off, s[36:39], 0 offset:496
	;; [unrolled: 1-line block ×3, first 2 shown]
	s_mov_b32 s30, exec_lo
	s_waitcnt vmcnt(0)
	v_mad_u32_u24 v0, v1, v0, v2
	v_and_b32_e32 v0, 31, v0
	v_add_co_u32 v0, vcc_lo, v10, v0
	v_add_co_ci_u32_e64 v1, null, 0, v11, vcc_lo
	v_mov_b32_e32 v10, 0
	v_mov_b32_e32 v11, 0
	v_cmpx_gt_i64_e64 s[8:9], v[0:1]
	s_cbranch_execz .LBB38_76
; %bb.75:                               ;   in Loop: Header=BB38_5 Depth=1
	v_lshlrev_b64 v[0:1], 3, v[0:1]
	v_add_co_u32 v2, vcc_lo, s16, v0
	v_add_co_ci_u32_e64 v3, null, s17, v1, vcc_lo
	v_add_co_u32 v0, vcc_lo, s18, v0
	v_add_co_ci_u32_e64 v1, null, s19, v1, vcc_lo
	global_load_dwordx2 v[10:11], v[2:3], off
	global_load_dwordx2 v[12:13], v[0:1], off
.LBB38_76:                              ;   in Loop: Header=BB38_5 Depth=1
	s_or_b32 exec_lo, exec_lo, s30
	v_mov_b32_e32 v56, 0
	v_mov_b32_e32 v57, 0
	s_and_saveexec_b32 s30, s1
	s_cbranch_execz .LBB38_78
; %bb.77:                               ;   in Loop: Header=BB38_5 Depth=1
	s_clause 0x3
	buffer_load_dword v0, off, s[36:39], 0 offset:16
	buffer_load_dword v1, off, s[36:39], 0 offset:20
	;; [unrolled: 1-line block ×4, first 2 shown]
	s_waitcnt vmcnt(3)
	v_add_co_u32 v0, vcc_lo, v0, v8
	s_waitcnt vmcnt(2)
	v_add_co_ci_u32_e64 v1, null, v1, v9, vcc_lo
	s_waitcnt vmcnt(1)
	v_add_co_u32 v2, vcc_lo, v2, v8
	s_waitcnt vmcnt(0)
	v_add_co_ci_u32_e64 v3, null, v3, v9, vcc_lo
	global_load_dwordx2 v[14:15], v[0:1], off
	global_load_dwordx2 v[56:57], v[2:3], off
.LBB38_78:                              ;   in Loop: Header=BB38_5 Depth=1
	s_or_b32 exec_lo, exec_lo, s30
	v_mov_b32_e32 v20, 0
	v_mov_b32_e32 v22, 0
	;; [unrolled: 1-line block ×6, first 2 shown]
	buffer_store_dword v0, off, s[36:39], 0 offset:52 ; 4-byte Folded Spill
	buffer_store_dword v1, off, s[36:39], 0 offset:56 ; 4-byte Folded Spill
	s_and_saveexec_b32 s30, s1
	s_cbranch_execz .LBB38_80
; %bb.79:                               ;   in Loop: Header=BB38_5 Depth=1
	v_add_co_u32 v0, vcc_lo, v143, v8
	v_add_co_ci_u32_e64 v1, null, v144, v9, vcc_lo
	v_add_co_u32 v2, vcc_lo, v145, v8
	v_add_co_ci_u32_e64 v3, null, v54, v9, vcc_lo
	global_load_dwordx2 v[22:23], v[0:1], off
	global_load_dwordx2 v[0:1], v[2:3], off
	s_waitcnt vmcnt(0)
	buffer_store_dword v0, off, s[36:39], 0 offset:52 ; 4-byte Folded Spill
	buffer_store_dword v1, off, s[36:39], 0 offset:56 ; 4-byte Folded Spill
.LBB38_80:                              ;   in Loop: Header=BB38_5 Depth=1
	s_or_b32 exec_lo, exec_lo, s30
	v_mov_b32_e32 v0, 0
	v_mov_b32_e32 v1, 0
	buffer_store_dword v0, off, s[36:39], 0 offset:60 ; 4-byte Folded Spill
	buffer_store_dword v1, off, s[36:39], 0 offset:64 ; 4-byte Folded Spill
	s_and_saveexec_b32 s30, s1
	s_cbranch_execz .LBB38_82
; %bb.81:                               ;   in Loop: Header=BB38_5 Depth=1
	v_add_co_u32 v0, vcc_lo, v41, v8
	v_add_co_ci_u32_e64 v1, null, v46, v9, vcc_lo
	v_add_co_u32 v2, vcc_lo, v47, v8
	v_add_co_ci_u32_e64 v3, null, v142, v9, vcc_lo
	global_load_dwordx2 v[20:21], v[0:1], off
	global_load_dwordx2 v[0:1], v[2:3], off
	s_waitcnt vmcnt(0)
	buffer_store_dword v0, off, s[36:39], 0 offset:60 ; 4-byte Folded Spill
	buffer_store_dword v1, off, s[36:39], 0 offset:64 ; 4-byte Folded Spill
.LBB38_82:                              ;   in Loop: Header=BB38_5 Depth=1
	s_or_b32 exec_lo, exec_lo, s30
	v_mov_b32_e32 v24, 0
	v_mov_b32_e32 v28, 0
	;; [unrolled: 1-line block ×6, first 2 shown]
	s_and_saveexec_b32 s30, s1
	s_cbranch_execz .LBB38_84
; %bb.83:                               ;   in Loop: Header=BB38_5 Depth=1
	v_add_co_u32 v0, vcc_lo, v255, v8
	v_add_co_ci_u32_e64 v1, null, v34, v9, vcc_lo
	v_add_co_u32 v2, vcc_lo, v35, v8
	v_add_co_ci_u32_e64 v3, null, v40, v9, vcc_lo
	global_load_dwordx2 v[28:29], v[0:1], off
	global_load_dwordx2 v[146:147], v[2:3], off
.LBB38_84:                              ;   in Loop: Header=BB38_5 Depth=1
	s_or_b32 exec_lo, exec_lo, s30
	v_mov_b32_e32 v148, 0
	v_mov_b32_e32 v149, 0
	s_and_saveexec_b32 s30, s1
	s_cbranch_execz .LBB38_86
; %bb.85:                               ;   in Loop: Header=BB38_5 Depth=1
	v_add_co_u32 v0, vcc_lo, v251, v8
	v_add_co_ci_u32_e64 v1, null, v252, v9, vcc_lo
	v_add_co_u32 v2, vcc_lo, v253, v8
	v_add_co_ci_u32_e64 v3, null, v254, v9, vcc_lo
	global_load_dwordx2 v[24:25], v[0:1], off
	global_load_dwordx2 v[148:149], v[2:3], off
.LBB38_86:                              ;   in Loop: Header=BB38_5 Depth=1
	s_or_b32 exec_lo, exec_lo, s30
	v_mov_b32_e32 v26, 0
	v_mov_b32_e32 v32, 0
	;; [unrolled: 1-line block ×6, first 2 shown]
	buffer_store_dword v0, off, s[36:39], 0 offset:68 ; 4-byte Folded Spill
	buffer_store_dword v1, off, s[36:39], 0 offset:72 ; 4-byte Folded Spill
	s_and_saveexec_b32 s30, s1
	s_cbranch_execz .LBB38_88
; %bb.87:                               ;   in Loop: Header=BB38_5 Depth=1
	v_add_co_u32 v0, vcc_lo, v247, v8
	v_add_co_ci_u32_e64 v1, null, v248, v9, vcc_lo
	v_add_co_u32 v2, vcc_lo, v249, v8
	v_add_co_ci_u32_e64 v3, null, v250, v9, vcc_lo
	global_load_dwordx2 v[32:33], v[0:1], off
	global_load_dwordx2 v[0:1], v[2:3], off
	s_waitcnt vmcnt(0)
	buffer_store_dword v0, off, s[36:39], 0 offset:68 ; 4-byte Folded Spill
	buffer_store_dword v1, off, s[36:39], 0 offset:72 ; 4-byte Folded Spill
.LBB38_88:                              ;   in Loop: Header=BB38_5 Depth=1
	s_or_b32 exec_lo, exec_lo, s30
	v_mov_b32_e32 v58, 0
	v_mov_b32_e32 v59, 0
	s_and_saveexec_b32 s30, s1
	s_cbranch_execz .LBB38_90
; %bb.89:                               ;   in Loop: Header=BB38_5 Depth=1
	v_add_co_u32 v0, vcc_lo, v243, v8
	v_add_co_ci_u32_e64 v1, null, v244, v9, vcc_lo
	v_add_co_u32 v2, vcc_lo, v245, v8
	v_add_co_ci_u32_e64 v3, null, v246, v9, vcc_lo
	global_load_dwordx2 v[26:27], v[0:1], off
	global_load_dwordx2 v[58:59], v[2:3], off
.LBB38_90:                              ;   in Loop: Header=BB38_5 Depth=1
	s_or_b32 exec_lo, exec_lo, s30
	v_mov_b32_e32 v30, 0
	v_mov_b32_e32 v38, 0
	;; [unrolled: 1-line block ×6, first 2 shown]
	s_and_saveexec_b32 s30, s1
	s_cbranch_execz .LBB38_92
; %bb.91:                               ;   in Loop: Header=BB38_5 Depth=1
	v_add_co_u32 v0, vcc_lo, v239, v8
	v_add_co_ci_u32_e64 v1, null, v240, v9, vcc_lo
	v_add_co_u32 v2, vcc_lo, v241, v8
	v_add_co_ci_u32_e64 v3, null, v242, v9, vcc_lo
	global_load_dwordx2 v[38:39], v[0:1], off
	global_load_dwordx2 v[62:63], v[2:3], off
.LBB38_92:                              ;   in Loop: Header=BB38_5 Depth=1
	s_or_b32 exec_lo, exec_lo, s30
	v_mov_b32_e32 v66, 0
	v_mov_b32_e32 v67, 0
	s_and_saveexec_b32 s30, s1
	s_cbranch_execz .LBB38_94
; %bb.93:                               ;   in Loop: Header=BB38_5 Depth=1
	v_add_co_u32 v0, vcc_lo, v235, v8
	v_add_co_ci_u32_e64 v1, null, v236, v9, vcc_lo
	v_add_co_u32 v2, vcc_lo, v237, v8
	v_add_co_ci_u32_e64 v3, null, v238, v9, vcc_lo
	global_load_dwordx2 v[30:31], v[0:1], off
	global_load_dwordx2 v[66:67], v[2:3], off
.LBB38_94:                              ;   in Loop: Header=BB38_5 Depth=1
	s_or_b32 exec_lo, exec_lo, s30
	v_mov_b32_e32 v36, 0
	v_mov_b32_e32 v44, 0
	v_mov_b32_e32 v70, 0
	v_mov_b32_e32 v37, 0
	v_mov_b32_e32 v45, 0
	v_mov_b32_e32 v71, 0
	s_and_saveexec_b32 s30, s1
	s_cbranch_execz .LBB38_96
; %bb.95:                               ;   in Loop: Header=BB38_5 Depth=1
	v_add_co_u32 v0, vcc_lo, v231, v8
	v_add_co_ci_u32_e64 v1, null, v232, v9, vcc_lo
	v_add_co_u32 v2, vcc_lo, v233, v8
	v_add_co_ci_u32_e64 v3, null, v234, v9, vcc_lo
	global_load_dwordx2 v[44:45], v[0:1], off
	global_load_dwordx2 v[70:71], v[2:3], off
.LBB38_96:                              ;   in Loop: Header=BB38_5 Depth=1
	s_or_b32 exec_lo, exec_lo, s30
	v_mov_b32_e32 v74, 0
	v_mov_b32_e32 v75, 0
	s_and_saveexec_b32 s30, s1
	s_cbranch_execz .LBB38_98
; %bb.97:                               ;   in Loop: Header=BB38_5 Depth=1
	v_add_co_u32 v0, vcc_lo, v227, v8
	v_add_co_ci_u32_e64 v1, null, v228, v9, vcc_lo
	v_add_co_u32 v2, vcc_lo, v229, v8
	v_add_co_ci_u32_e64 v3, null, v230, v9, vcc_lo
	global_load_dwordx2 v[36:37], v[0:1], off
	global_load_dwordx2 v[74:75], v[2:3], off
.LBB38_98:                              ;   in Loop: Header=BB38_5 Depth=1
	s_or_b32 exec_lo, exec_lo, s30
	v_mov_b32_e32 v42, 0
	v_mov_b32_e32 v52, 0
	;; [unrolled: 1-line block ×6, first 2 shown]
	s_and_saveexec_b32 s30, s1
	s_cbranch_execz .LBB38_100
; %bb.99:                               ;   in Loop: Header=BB38_5 Depth=1
	v_add_co_u32 v0, vcc_lo, v223, v8
	v_add_co_ci_u32_e64 v1, null, v224, v9, vcc_lo
	v_add_co_u32 v2, vcc_lo, v225, v8
	v_add_co_ci_u32_e64 v3, null, v226, v9, vcc_lo
	global_load_dwordx2 v[52:53], v[0:1], off
	global_load_dwordx2 v[78:79], v[2:3], off
.LBB38_100:                             ;   in Loop: Header=BB38_5 Depth=1
	s_or_b32 exec_lo, exec_lo, s30
	v_mov_b32_e32 v82, 0
	v_mov_b32_e32 v83, 0
	s_and_saveexec_b32 s30, s1
	s_cbranch_execz .LBB38_102
; %bb.101:                              ;   in Loop: Header=BB38_5 Depth=1
	v_add_co_u32 v0, vcc_lo, v219, v8
	v_add_co_ci_u32_e64 v1, null, v220, v9, vcc_lo
	v_add_co_u32 v2, vcc_lo, v221, v8
	v_add_co_ci_u32_e64 v3, null, v222, v9, vcc_lo
	global_load_dwordx2 v[42:43], v[0:1], off
	global_load_dwordx2 v[82:83], v[2:3], off
.LBB38_102:                             ;   in Loop: Header=BB38_5 Depth=1
	s_or_b32 exec_lo, exec_lo, s30
	v_mov_b32_e32 v48, 0
	v_mov_b32_e32 v64, 0
	v_mov_b32_e32 v86, 0
	v_mov_b32_e32 v49, 0
	v_mov_b32_e32 v65, 0
	v_mov_b32_e32 v87, 0
	s_and_saveexec_b32 s30, s1
	s_cbranch_execz .LBB38_104
; %bb.103:                              ;   in Loop: Header=BB38_5 Depth=1
	v_add_co_u32 v0, vcc_lo, v215, v8
	v_add_co_ci_u32_e64 v1, null, v216, v9, vcc_lo
	v_add_co_u32 v2, vcc_lo, v217, v8
	v_add_co_ci_u32_e64 v3, null, v218, v9, vcc_lo
	global_load_dwordx2 v[64:65], v[0:1], off
	global_load_dwordx2 v[86:87], v[2:3], off
.LBB38_104:                             ;   in Loop: Header=BB38_5 Depth=1
	s_or_b32 exec_lo, exec_lo, s30
	v_mov_b32_e32 v90, 0
	v_mov_b32_e32 v91, 0
	s_and_saveexec_b32 s30, s1
	s_cbranch_execz .LBB38_106
; %bb.105:                              ;   in Loop: Header=BB38_5 Depth=1
	v_add_co_u32 v0, vcc_lo, v211, v8
	v_add_co_ci_u32_e64 v1, null, v212, v9, vcc_lo
	v_add_co_u32 v2, vcc_lo, v213, v8
	v_add_co_ci_u32_e64 v3, null, v214, v9, vcc_lo
	global_load_dwordx2 v[48:49], v[0:1], off
	global_load_dwordx2 v[90:91], v[2:3], off
.LBB38_106:                             ;   in Loop: Header=BB38_5 Depth=1
	s_or_b32 exec_lo, exec_lo, s30
	v_mov_b32_e32 v60, 0
	v_mov_b32_e32 v72, 0
	v_mov_b32_e32 v94, 0
	v_mov_b32_e32 v61, 0
	v_mov_b32_e32 v73, 0
	v_mov_b32_e32 v95, 0
	s_and_saveexec_b32 s30, s1
	s_cbranch_execz .LBB38_108
; %bb.107:                              ;   in Loop: Header=BB38_5 Depth=1
	v_add_co_u32 v0, vcc_lo, v207, v8
	v_add_co_ci_u32_e64 v1, null, v208, v9, vcc_lo
	v_add_co_u32 v2, vcc_lo, v209, v8
	v_add_co_ci_u32_e64 v3, null, v210, v9, vcc_lo
	global_load_dwordx2 v[72:73], v[0:1], off
	global_load_dwordx2 v[94:95], v[2:3], off
.LBB38_108:                             ;   in Loop: Header=BB38_5 Depth=1
	;; [unrolled: 30-line block ×9, first 2 shown]
	s_or_b32 exec_lo, exec_lo, s30
	v_mov_b32_e32 v136, 0
	v_mov_b32_e32 v137, 0
	s_and_saveexec_b32 s30, s1
	s_cbranch_execz .LBB38_138
; %bb.137:                              ;   in Loop: Header=BB38_5 Depth=1
	v_add_co_u32 v16, vcc_lo, v150, v8
	v_add_co_ci_u32_e64 v17, null, v151, v9, vcc_lo
	v_add_co_u32 v18, vcc_lo, v152, v8
	v_add_co_ci_u32_e64 v19, null, v153, v9, vcc_lo
	global_load_dwordx2 v[124:125], v[16:17], off
	global_load_dwordx2 v[136:137], v[18:19], off
.LBB38_138:                             ;   in Loop: Header=BB38_5 Depth=1
	s_or_b32 exec_lo, exec_lo, s30
	v_mov_b32_e32 v16, 0
	v_mov_b32_e32 v18, 0
	v_mov_b32_e32 v17, 0
	v_mov_b32_e32 v19, 0
	s_and_saveexec_b32 s30, s1
	s_cbranch_execz .LBB38_3
; %bb.139:                              ;   in Loop: Header=BB38_5 Depth=1
	s_clause 0x3
	buffer_load_dword v16, off, s[36:39], 0 offset:32
	buffer_load_dword v17, off, s[36:39], 0 offset:36
	;; [unrolled: 1-line block ×4, first 2 shown]
	s_waitcnt vmcnt(3)
	v_add_co_u32 v16, vcc_lo, v16, v8
	s_waitcnt vmcnt(2)
	v_add_co_ci_u32_e64 v17, null, v17, v9, vcc_lo
	s_waitcnt vmcnt(1)
	v_add_co_u32 v18, vcc_lo, v18, v8
	s_waitcnt vmcnt(0)
	v_add_co_ci_u32_e64 v19, null, v19, v9, vcc_lo
	global_load_dwordx2 v[16:17], v[16:17], off
	global_load_dwordx2 v[18:19], v[18:19], off
	s_branch .LBB38_3
.LBB38_140:
                                        ; implicit-def: $vgpr0_vgpr1
                                        ; kill: killed $vgpr0_vgpr1
                                        ; implicit-def: $vgpr0_vgpr1
                                        ; kill: killed $vgpr0_vgpr1
	s_branch .LBB38_142
.LBB38_141:
	s_cbranch_execnz .LBB38_217
.LBB38_142:
	v_mov_b32_e32 v0, 0
	v_mov_b32_e32 v1, 0
	s_andn2_b32 vcc_lo, exec_lo, s28
	buffer_store_dword v0, off, s[36:39], 0 ; 4-byte Folded Spill
	buffer_store_dword v1, off, s[36:39], 0 offset:4 ; 4-byte Folded Spill
	v_mov_b32_e32 v0, 0
	v_mov_b32_e32 v1, 0
	buffer_store_dword v0, off, s[36:39], 0 offset:8 ; 4-byte Folded Spill
	buffer_store_dword v1, off, s[36:39], 0 offset:12 ; 4-byte Folded Spill
	s_cbranch_vccnz .LBB38_217
; %bb.143:
	s_clause 0x1
	buffer_load_dword v0, off, s[36:39], 0 offset:492
	buffer_load_dword v1, off, s[36:39], 0 offset:496
	s_add_u32 s2, s4, 64
	s_addc_u32 s3, s5, 0
	s_lshl_b64 s[22:23], s[20:21], 3
	s_waitcnt vmcnt(1)
	v_lshlrev_b32_e32 v191, 5, v0
	v_lshlrev_b32_e32 v0, 8, v0
	v_add_co_u32 v4, s1, v191, s20
	v_add_co_ci_u32_e64 v133, null, 0, 0, s1
	v_add_co_u32 v0, s1, v0, s22
	s_waitcnt vmcnt(0)
	v_add_co_ci_u32_e64 v1, null, 0, s23, s1
	v_mul_lo_u32 v5, s11, v4
	v_add_co_u32 v25, vcc_lo, v0, 8
	v_mul_lo_u32 v6, s10, v133
	v_add_co_ci_u32_e64 v9, null, 0, v1, vcc_lo
	v_mad_u64_u32 v[2:3], null, s10, v4, 0
	v_add_co_u32 v27, vcc_lo, v0, 16
	v_add_co_ci_u32_e64 v11, null, 0, v1, vcc_lo
	v_add_co_u32 v31, vcc_lo, v0, 24
	v_add_co_ci_u32_e64 v13, null, 0, v1, vcc_lo
	;; [unrolled: 2-line block ×4, first 2 shown]
	v_add3_u32 v3, v3, v6, v5
	v_add_co_u32 v5, vcc_lo, v0, 48
	v_add_co_ci_u32_e64 v6, null, 0, v1, vcc_lo
	v_add_co_u32 v43, vcc_lo, v0, 56
	v_add_co_ci_u32_e64 v21, null, 0, v1, vcc_lo
	;; [unrolled: 2-line block ×4, first 2 shown]
	v_mad_u64_u32 v[7:8], null, s10, v25, s[12:13]
	v_mul_lo_u32 v29, s10, v9
	v_mul_lo_u32 v30, s11, v25
	v_mad_u64_u32 v[9:10], null, s10, v27, s[12:13]
	v_mul_lo_u32 v32, s10, v11
	v_mul_lo_u32 v33, s11, v27
	;; [unrolled: 1-line block ×3, first 2 shown]
	v_mad_u64_u32 v[25:26], null, s10, v25, s[14:15]
	v_mad_u64_u32 v[27:28], null, s10, v27, s[14:15]
	v_mad_u64_u32 v[11:12], null, s10, v31, s[12:13]
	v_mul_lo_u32 v37, s10, v13
	v_mul_lo_u32 v38, s11, v31
	v_mad_u64_u32 v[13:14], null, s10, v34, s[12:13]
	v_mul_lo_u32 v39, s10, v15
	v_mul_lo_u32 v40, s11, v34
	v_add3_u32 v8, v30, v8, v29
	v_add3_u32 v10, v33, v10, v32
	;; [unrolled: 1-line block ×4, first 2 shown]
	v_mad_u64_u32 v[29:30], null, s10, v31, s[14:15]
	v_mad_u64_u32 v[31:32], null, s10, v34, s[14:15]
	;; [unrolled: 1-line block ×3, first 2 shown]
	v_mul_lo_u32 v41, s10, v17
	v_mul_lo_u32 v42, s11, v35
	v_mad_u64_u32 v[33:34], null, s10, v35, s[14:15]
	v_add3_u32 v12, v38, v12, v37
	v_add3_u32 v14, v40, v14, v39
	v_mad_u64_u32 v[17:18], null, s10, v5, s[12:13]
	v_mul_lo_u32 v6, s10, v6
	v_mul_lo_u32 v44, s11, v5
	v_mad_u64_u32 v[19:20], null, s10, v43, s[12:13]
	v_mul_lo_u32 v45, s10, v21
	v_mul_lo_u32 v47, s11, v43
	v_add3_u32 v30, v38, v30, v37
	v_add3_u32 v32, v40, v32, v39
	v_mad_u64_u32 v[37:38], null, s10, v5, s[14:15]
	v_mad_u64_u32 v[39:40], null, s10, v43, s[14:15]
	v_add_co_u32 v53, vcc_lo, 0x50, v0
	v_add_co_ci_u32_e64 v54, null, 0, v1, vcc_lo
	v_add3_u32 v16, v42, v16, v41
	v_mad_u64_u32 v[21:22], null, s10, v46, s[12:13]
	v_mul_lo_u32 v49, s10, v23
	v_mul_lo_u32 v50, s11, v46
	v_add3_u32 v34, v42, v34, v41
	v_mad_u64_u32 v[41:42], null, s10, v46, s[14:15]
	v_add_co_u32 v5, vcc_lo, 0x58, v0
	v_add_co_ci_u32_e64 v56, null, 0, v1, vcc_lo
	v_mad_u64_u32 v[23:24], null, s10, v48, s[12:13]
	v_mul_lo_u32 v52, s11, v48
	v_add3_u32 v18, v44, v18, v6
	v_add3_u32 v20, v47, v20, v45
	v_mad_u64_u32 v[35:36], null, s10, v53, s[12:13]
	v_mul_lo_u32 v54, s10, v54
	v_mul_lo_u32 v55, s11, v53
	v_add3_u32 v38, v44, v38, v6
	v_mad_u64_u32 v[43:44], null, s10, v48, s[14:15]
	v_add3_u32 v40, v47, v40, v45
	v_mad_u64_u32 v[47:48], null, s10, v53, s[14:15]
	;; [unrolled: 2-line block ×3, first 2 shown]
	v_mul_lo_u32 v6, s10, v56
	v_mul_lo_u32 v56, s11, v5
	v_add3_u32 v42, v50, v42, v49
	v_mad_u64_u32 v[49:50], null, s10, v5, s[14:15]
	v_add_co_u32 v5, vcc_lo, 0x60, v0
	v_add_co_ci_u32_e64 v53, null, 0, v1, vcc_lo
	v_add_co_u32 v57, vcc_lo, 0x68, v0
	v_add3_u32 v36, v55, v36, v54
	v_add3_u32 v48, v55, v48, v54
	v_add_co_ci_u32_e64 v55, null, 0, v1, vcc_lo
	v_add_co_u32 v61, vcc_lo, 0x70, v0
	v_add3_u32 v24, v52, v24, v51
	v_add3_u32 v44, v52, v44, v51
	;; [unrolled: 1-line block ×3, first 2 shown]
	v_mad_u64_u32 v[51:52], null, s10, v5, s[12:13]
	v_mul_lo_u32 v59, s10, v53
	v_add3_u32 v50, v56, v50, v6
	v_mul_lo_u32 v6, s11, v5
	v_mad_u64_u32 v[53:54], null, s10, v5, s[14:15]
	v_mul_lo_u32 v5, s10, v55
	v_mul_lo_u32 v60, s11, v57
	v_mad_u64_u32 v[55:56], null, s10, v57, s[12:13]
	v_mad_u64_u32 v[57:58], null, s10, v57, s[14:15]
	v_add_co_ci_u32_e64 v62, null, 0, v1, vcc_lo
	v_add_co_u32 v65, vcc_lo, 0x78, v0
	v_add_co_ci_u32_e64 v63, null, 0, v1, vcc_lo
	v_add_co_u32 v69, vcc_lo, 0x80, v0
	v_add3_u32 v52, v6, v52, v59
	v_add3_u32 v54, v6, v54, v59
	v_add3_u32 v56, v60, v56, v5
	v_add3_u32 v58, v60, v58, v5
	v_mul_lo_u32 v5, s10, v62
	v_mul_lo_u32 v6, s11, v61
	v_mad_u64_u32 v[59:60], null, s10, v61, s[12:13]
	v_mad_u64_u32 v[61:62], null, s10, v61, s[14:15]
	v_mul_lo_u32 v67, s10, v63
	v_mul_lo_u32 v68, s11, v65
	v_mad_u64_u32 v[63:64], null, s10, v65, s[12:13]
	v_mad_u64_u32 v[65:66], null, s10, v65, s[14:15]
	v_add_co_ci_u32_e64 v70, null, 0, v1, vcc_lo
	v_add_co_u32 v73, vcc_lo, 0x88, v0
	v_add_co_ci_u32_e64 v71, null, 0, v1, vcc_lo
	v_add_co_u32 v77, vcc_lo, 0x90, v0
	v_add3_u32 v60, v6, v60, v5
	v_add3_u32 v62, v6, v62, v5
	v_add3_u32 v64, v68, v64, v67
	v_add3_u32 v66, v68, v66, v67
	v_mul_lo_u32 v5, s10, v70
	v_mul_lo_u32 v6, s11, v69
	v_mad_u64_u32 v[67:68], null, s10, v69, s[12:13]
	v_mad_u64_u32 v[69:70], null, s10, v69, s[14:15]
	v_mul_lo_u32 v75, s10, v71
	v_mul_lo_u32 v76, s11, v73
	v_mad_u64_u32 v[71:72], null, s10, v73, s[12:13]
	v_mad_u64_u32 v[73:74], null, s10, v73, s[14:15]
	v_add_co_ci_u32_e64 v78, null, 0, v1, vcc_lo
	v_add_co_u32 v81, vcc_lo, 0x98, v0
	v_add_co_ci_u32_e64 v79, null, 0, v1, vcc_lo
	v_add_co_u32 v85, vcc_lo, 0xa0, v0
	v_add3_u32 v68, v6, v68, v5
	v_add3_u32 v70, v6, v70, v5
	v_add3_u32 v72, v76, v72, v75
	v_add3_u32 v74, v76, v74, v75
	v_mul_lo_u32 v5, s10, v78
	v_mul_lo_u32 v6, s11, v77
	v_mad_u64_u32 v[75:76], null, s10, v77, s[12:13]
	v_mad_u64_u32 v[77:78], null, s10, v77, s[14:15]
	v_mul_lo_u32 v83, s10, v79
	v_mul_lo_u32 v84, s11, v81
	v_mad_u64_u32 v[79:80], null, s10, v81, s[12:13]
	v_mad_u64_u32 v[81:82], null, s10, v81, s[14:15]
	v_add_co_ci_u32_e64 v86, null, 0, v1, vcc_lo
	v_add_co_u32 v89, vcc_lo, 0xa8, v0
	v_add_co_ci_u32_e64 v87, null, 0, v1, vcc_lo
	v_add_co_u32 v93, vcc_lo, 0xb0, v0
	v_add3_u32 v76, v6, v76, v5
	v_add3_u32 v78, v6, v78, v5
	v_add3_u32 v80, v84, v80, v83
	v_add3_u32 v82, v84, v82, v83
	v_mul_lo_u32 v5, s10, v86
	v_mul_lo_u32 v6, s11, v85
	v_mad_u64_u32 v[83:84], null, s10, v85, s[12:13]
	v_mad_u64_u32 v[85:86], null, s10, v85, s[14:15]
	v_mul_lo_u32 v91, s10, v87
	v_mul_lo_u32 v92, s11, v89
	v_mad_u64_u32 v[87:88], null, s10, v89, s[12:13]
	v_mad_u64_u32 v[89:90], null, s10, v89, s[14:15]
	v_add_co_ci_u32_e64 v94, null, 0, v1, vcc_lo
	v_add_co_u32 v97, vcc_lo, 0xb8, v0
	v_add_co_ci_u32_e64 v95, null, 0, v1, vcc_lo
	v_add_co_u32 v101, vcc_lo, 0xc0, v0
	v_add3_u32 v84, v6, v84, v5
	v_add3_u32 v86, v6, v86, v5
	v_add3_u32 v88, v92, v88, v91
	v_add3_u32 v90, v92, v90, v91
	v_mul_lo_u32 v5, s10, v94
	v_mul_lo_u32 v6, s11, v93
	v_mad_u64_u32 v[91:92], null, s10, v93, s[12:13]
	v_mad_u64_u32 v[93:94], null, s10, v93, s[14:15]
	v_mul_lo_u32 v99, s10, v95
	v_mul_lo_u32 v100, s11, v97
	v_mad_u64_u32 v[95:96], null, s10, v97, s[12:13]
	v_mad_u64_u32 v[97:98], null, s10, v97, s[14:15]
	v_add_co_ci_u32_e64 v102, null, 0, v1, vcc_lo
	v_add_co_u32 v105, vcc_lo, 0xc8, v0
	v_add_co_ci_u32_e64 v103, null, 0, v1, vcc_lo
	v_add_co_u32 v109, vcc_lo, 0xd0, v0
	v_add3_u32 v92, v6, v92, v5
	v_add3_u32 v94, v6, v94, v5
	v_add3_u32 v96, v100, v96, v99
	v_add3_u32 v98, v100, v98, v99
	v_mul_lo_u32 v5, s10, v102
	v_mul_lo_u32 v6, s11, v101
	v_mad_u64_u32 v[99:100], null, s10, v101, s[12:13]
	v_mad_u64_u32 v[101:102], null, s10, v101, s[14:15]
	v_mul_lo_u32 v107, s10, v103
	v_mul_lo_u32 v108, s11, v105
	v_mad_u64_u32 v[103:104], null, s10, v105, s[12:13]
	v_mad_u64_u32 v[105:106], null, s10, v105, s[14:15]
	v_add_co_ci_u32_e64 v110, null, 0, v1, vcc_lo
	v_add_co_u32 v113, vcc_lo, 0xd8, v0
	v_add_co_ci_u32_e64 v111, null, 0, v1, vcc_lo
	v_add3_u32 v100, v6, v100, v5
	v_add3_u32 v102, v6, v102, v5
	;; [unrolled: 1-line block ×4, first 2 shown]
	v_mul_lo_u32 v5, s10, v110
	v_mul_lo_u32 v6, s11, v109
	v_mad_u64_u32 v[107:108], null, s10, v109, s[12:13]
	v_mad_u64_u32 v[109:110], null, s10, v109, s[14:15]
	v_mul_lo_u32 v115, s10, v111
	v_mul_lo_u32 v116, s11, v113
	v_mad_u64_u32 v[111:112], null, s10, v113, s[12:13]
	v_mad_u64_u32 v[113:114], null, s10, v113, s[14:15]
	v_add_co_u32 v117, vcc_lo, 0xe0, v0
	v_add_co_ci_u32_e64 v118, null, 0, v1, vcc_lo
	v_add3_u32 v108, v6, v108, v5
	v_add3_u32 v110, v6, v110, v5
	;; [unrolled: 1-line block ×4, first 2 shown]
	v_mul_lo_u32 v5, s10, v118
	v_mul_lo_u32 v6, s11, v117
	v_mad_u64_u32 v[115:116], null, s10, v117, s[12:13]
	v_mad_u64_u32 v[117:118], null, s10, v117, s[14:15]
	s_load_dword s1, s[4:5], 0x44
	s_mov_b64 s[22:23], s[20:21]
	v_add3_u32 v116, v6, v116, v5
	v_add3_u32 v118, v6, v118, v5
	v_add_co_u32 v5, vcc_lo, 0xe8, v0
	v_add_co_ci_u32_e64 v6, null, 0, v1, vcc_lo
	v_mul_lo_u32 v123, s11, v5
	v_mad_u64_u32 v[119:120], null, s10, v5, s[12:13]
	v_mul_lo_u32 v6, s10, v6
	v_mad_u64_u32 v[121:122], null, s10, v5, s[14:15]
	v_add_co_u32 v5, vcc_lo, 0xf0, v0
	s_waitcnt lgkmcnt(0)
	s_lshl_b32 s1, s1, 5
	v_add3_u32 v120, v123, v120, v6
	v_add3_u32 v122, v123, v122, v6
	v_add_co_ci_u32_e64 v6, null, 0, v1, vcc_lo
	v_mul_lo_u32 v127, s11, v5
	v_mad_u64_u32 v[123:124], null, s10, v5, s[12:13]
	v_mul_lo_u32 v6, s10, v6
	v_mad_u64_u32 v[125:126], null, s10, v5, s[14:15]
	v_add_co_u32 v0, vcc_lo, 0xf8, v0
	v_add_co_ci_u32_e64 v1, null, 0, v1, vcc_lo
	v_add3_u32 v124, v127, v124, v6
	v_add3_u32 v126, v127, v126, v6
	v_mul_lo_u32 v1, s10, v1
	v_mul_lo_u32 v5, s11, v0
	v_mad_u64_u32 v[127:128], null, s10, v0, s[12:13]
	v_mad_u64_u32 v[129:130], null, s10, v0, s[14:15]
	v_add_co_u32 v0, vcc_lo, v4, 31
	v_add3_u32 v128, v5, v128, v1
	v_mul_lo_u32 v6, s11, v0
	v_add3_u32 v130, v5, v130, v1
	v_add_co_ci_u32_e64 v1, null, 0, v133, vcc_lo
	v_mul_lo_u32 v5, s10, v1
	v_mad_u64_u32 v[0:1], null, s10, v0, 0
	v_add3_u32 v1, v1, v5, v6
	v_add_co_u32 v5, vcc_lo, v4, 30
	v_add_co_ci_u32_e64 v6, null, 0, v133, vcc_lo
	v_lshlrev_b64 v[0:1], 3, v[0:1]
	v_mul_lo_u32 v132, s11, v5
	v_mul_lo_u32 v131, s10, v6
	v_mad_u64_u32 v[5:6], null, s10, v5, 0
	v_add3_u32 v6, v6, v131, v132
	v_add_co_u32 v131, vcc_lo, v4, 29
	v_add_co_ci_u32_e64 v132, null, 0, v133, vcc_lo
	v_mul_lo_u32 v135, s11, v131
	v_mul_lo_u32 v134, s10, v132
	v_mad_u64_u32 v[131:132], null, s10, v131, 0
	v_add3_u32 v132, v132, v134, v135
	v_add_co_u32 v134, vcc_lo, v4, 28
	v_add_co_ci_u32_e64 v135, null, 0, v133, vcc_lo
	v_mul_lo_u32 v137, s11, v134
	v_mul_lo_u32 v136, s10, v135
	v_mad_u64_u32 v[134:135], null, s10, v134, 0
	v_add3_u32 v135, v135, v136, v137
	v_add_co_u32 v136, vcc_lo, v4, 27
	v_add_co_ci_u32_e64 v137, null, 0, v133, vcc_lo
	v_mul_lo_u32 v139, s11, v136
	v_mul_lo_u32 v138, s10, v137
	v_mad_u64_u32 v[136:137], null, s10, v136, 0
	v_add3_u32 v137, v137, v138, v139
	v_add_co_u32 v138, vcc_lo, v4, 26
	v_add_co_ci_u32_e64 v139, null, 0, v133, vcc_lo
	v_mul_lo_u32 v141, s11, v138
	v_mul_lo_u32 v140, s10, v139
	v_mad_u64_u32 v[138:139], null, s10, v138, 0
	v_add3_u32 v139, v139, v140, v141
	v_add_co_u32 v140, vcc_lo, v4, 25
	v_add_co_ci_u32_e64 v141, null, 0, v133, vcc_lo
	v_mul_lo_u32 v143, s11, v140
	v_mul_lo_u32 v142, s10, v141
	v_mad_u64_u32 v[140:141], null, s10, v140, 0
	v_add3_u32 v141, v141, v142, v143
	v_add_co_u32 v142, vcc_lo, v4, 24
	v_add_co_ci_u32_e64 v143, null, 0, v133, vcc_lo
	v_mul_lo_u32 v145, s11, v142
	v_mul_lo_u32 v144, s10, v143
	v_mad_u64_u32 v[142:143], null, s10, v142, 0
	v_add3_u32 v143, v143, v144, v145
	v_add_co_u32 v144, vcc_lo, v4, 23
	v_add_co_ci_u32_e64 v145, null, 0, v133, vcc_lo
	v_mul_lo_u32 v147, s11, v144
	v_mul_lo_u32 v146, s10, v145
	v_mad_u64_u32 v[144:145], null, s10, v144, 0
	v_add3_u32 v145, v145, v146, v147
	v_add_co_u32 v146, vcc_lo, v4, 22
	v_add_co_ci_u32_e64 v147, null, 0, v133, vcc_lo
	v_mul_lo_u32 v149, s11, v146
	v_mul_lo_u32 v148, s10, v147
	v_mad_u64_u32 v[146:147], null, s10, v146, 0
	v_add3_u32 v147, v147, v148, v149
	v_add_co_u32 v148, vcc_lo, v4, 21
	v_add_co_ci_u32_e64 v149, null, 0, v133, vcc_lo
	v_mul_lo_u32 v151, s11, v148
	v_mul_lo_u32 v150, s10, v149
	v_mad_u64_u32 v[148:149], null, s10, v148, 0
	v_add3_u32 v149, v149, v150, v151
	v_add_co_u32 v150, vcc_lo, v4, 20
	v_add_co_ci_u32_e64 v151, null, 0, v133, vcc_lo
	v_mul_lo_u32 v153, s11, v150
	v_mul_lo_u32 v152, s10, v151
	v_mad_u64_u32 v[150:151], null, s10, v150, 0
	v_add3_u32 v151, v151, v152, v153
	v_add_co_u32 v152, vcc_lo, v4, 19
	v_add_co_ci_u32_e64 v153, null, 0, v133, vcc_lo
	v_mul_lo_u32 v155, s11, v152
	v_mul_lo_u32 v154, s10, v153
	v_mad_u64_u32 v[152:153], null, s10, v152, 0
	v_add3_u32 v153, v153, v154, v155
	v_add_co_u32 v154, vcc_lo, v4, 18
	v_add_co_ci_u32_e64 v155, null, 0, v133, vcc_lo
	v_mul_lo_u32 v157, s11, v154
	v_mul_lo_u32 v156, s10, v155
	v_mad_u64_u32 v[154:155], null, s10, v154, 0
	v_add3_u32 v155, v155, v156, v157
	v_add_co_u32 v156, vcc_lo, v4, 17
	v_add_co_ci_u32_e64 v157, null, 0, v133, vcc_lo
	v_mul_lo_u32 v159, s11, v156
	v_mul_lo_u32 v158, s10, v157
	v_mad_u64_u32 v[156:157], null, s10, v156, 0
	v_add3_u32 v157, v157, v158, v159
	v_add_co_u32 v158, vcc_lo, v4, 16
	v_add_co_ci_u32_e64 v159, null, 0, v133, vcc_lo
	v_mul_lo_u32 v161, s11, v158
	v_mul_lo_u32 v160, s10, v159
	v_mad_u64_u32 v[158:159], null, s10, v158, 0
	v_add3_u32 v159, v159, v160, v161
	v_add_co_u32 v160, vcc_lo, v4, 15
	v_add_co_ci_u32_e64 v161, null, 0, v133, vcc_lo
	v_mul_lo_u32 v163, s11, v160
	v_mul_lo_u32 v162, s10, v161
	v_mad_u64_u32 v[160:161], null, s10, v160, 0
	v_add3_u32 v161, v161, v162, v163
	v_add_co_u32 v162, vcc_lo, v4, 14
	v_add_co_ci_u32_e64 v163, null, 0, v133, vcc_lo
	v_mul_lo_u32 v165, s11, v162
	v_mul_lo_u32 v164, s10, v163
	v_mad_u64_u32 v[162:163], null, s10, v162, 0
	v_add3_u32 v163, v163, v164, v165
	v_add_co_u32 v164, vcc_lo, v4, 13
	v_add_co_ci_u32_e64 v165, null, 0, v133, vcc_lo
	v_mul_lo_u32 v167, s11, v164
	v_mul_lo_u32 v166, s10, v165
	v_mad_u64_u32 v[164:165], null, s10, v164, 0
	v_add3_u32 v165, v165, v166, v167
	v_add_co_u32 v166, vcc_lo, v4, 12
	v_add_co_ci_u32_e64 v167, null, 0, v133, vcc_lo
	v_mul_lo_u32 v169, s11, v166
	v_mul_lo_u32 v168, s10, v167
	v_mad_u64_u32 v[166:167], null, s10, v166, 0
	v_add3_u32 v167, v167, v168, v169
	v_add_co_u32 v168, vcc_lo, v4, 11
	v_add_co_ci_u32_e64 v169, null, 0, v133, vcc_lo
	v_mul_lo_u32 v171, s11, v168
	v_mul_lo_u32 v170, s10, v169
	v_mad_u64_u32 v[168:169], null, s10, v168, 0
	v_add3_u32 v169, v169, v170, v171
	v_add_co_u32 v170, vcc_lo, v4, 10
	v_add_co_ci_u32_e64 v171, null, 0, v133, vcc_lo
	v_mul_lo_u32 v172, s11, v170
	v_mad_u64_u32 v[173:174], null, s10, v170, 0
	v_mul_lo_u32 v171, s10, v171
	v_add_co_u32 v170, vcc_lo, v4, 9
	v_mad_u64_u32 v[176:177], null, s10, v170, 0
	v_add3_u32 v174, v174, v171, v172
	v_add_co_ci_u32_e64 v171, null, 0, v133, vcc_lo
	v_mul_lo_u32 v172, s11, v170
	v_add_co_u32 v170, vcc_lo, v4, 8
	v_mul_lo_u32 v171, s10, v171
	v_mad_u64_u32 v[178:179], null, s10, v170, 0
	v_add3_u32 v177, v177, v171, v172
	v_add_co_ci_u32_e64 v171, null, 0, v133, vcc_lo
	v_mul_lo_u32 v172, s11, v170
	v_add_co_u32 v170, vcc_lo, v4, 7
	v_mul_lo_u32 v171, s10, v171
	;; [unrolled: 6-line block ×6, first 2 shown]
	v_mad_u64_u32 v[189:190], null, s10, v170, 0
	v_add3_u32 v187, v187, v171, v172
	v_add_co_ci_u32_e64 v171, null, 0, v133, vcc_lo
	v_add_co_u32 v4, vcc_lo, v4, 2
	v_add_co_ci_u32_e64 v133, null, 0, v133, vcc_lo
	v_add_co_u32 v197, vcc_lo, v2, s10
	v_mul_lo_u32 v171, s10, v171
	v_mul_lo_u32 v172, s11, v170
	v_add_co_ci_u32_e64 v198, null, s11, v3, vcc_lo
	v_lshlrev_b64 v[2:3], 3, v[2:3]
	v_mul_lo_u32 v170, s11, v4
	v_mad_u64_u32 v[193:194], null, s10, v4, 0
	v_mul_lo_u32 v133, s10, v133
	v_add3_u32 v190, v190, v171, v172
	v_add_co_u32 v4, vcc_lo, s12, v2
	v_add_co_ci_u32_e64 v171, null, s13, v3, vcc_lo
	v_add_co_u32 v172, vcc_lo, s14, v2
	v_add_co_ci_u32_e64 v175, null, s15, v3, vcc_lo
	v_add_co_u32 v2, vcc_lo, s12, v0
	v_add3_u32 v194, v194, v133, v170
	buffer_store_dword v2, off, s[36:39], 0 offset:16 ; 4-byte Folded Spill
	v_add_co_ci_u32_e64 v2, null, s13, v1, vcc_lo
	v_add_co_u32 v0, vcc_lo, s14, v0
	buffer_store_dword v2, off, s[36:39], 0 offset:20 ; 4-byte Folded Spill
	buffer_store_dword v0, off, s[36:39], 0 offset:24 ; 4-byte Folded Spill
	v_add_co_ci_u32_e64 v0, null, s15, v1, vcc_lo
	buffer_store_dword v0, off, s[36:39], 0 offset:28 ; 4-byte Folded Spill
	v_lshlrev_b64 v[0:1], 3, v[5:6]
	v_add_co_u32 v2, vcc_lo, s12, v0
	buffer_store_dword v2, off, s[36:39], 0 offset:32 ; 4-byte Folded Spill
	v_add_co_ci_u32_e64 v2, null, s13, v1, vcc_lo
	v_add_co_u32 v0, vcc_lo, s14, v0
	buffer_store_dword v2, off, s[36:39], 0 offset:36 ; 4-byte Folded Spill
	buffer_store_dword v0, off, s[36:39], 0 offset:40 ; 4-byte Folded Spill
	v_add_co_ci_u32_e64 v0, null, s15, v1, vcc_lo
	buffer_store_dword v0, off, s[36:39], 0 offset:44 ; 4-byte Folded Spill
	v_lshlrev_b64 v[0:1], 3, v[131:132]
	v_mov_b32_e32 v132, 0
	v_add_co_u32 v2, vcc_lo, s12, v0
	buffer_store_dword v2, off, s[36:39], 0 offset:52 ; 4-byte Folded Spill
	v_add_co_ci_u32_e64 v2, null, s13, v1, vcc_lo
	v_add_co_u32 v0, vcc_lo, s14, v0
	buffer_store_dword v2, off, s[36:39], 0 offset:60 ; 4-byte Folded Spill
	buffer_store_dword v0, off, s[36:39], 0 offset:68 ; 4-byte Folded Spill
	v_add_co_ci_u32_e64 v0, null, s15, v1, vcc_lo
	buffer_store_dword v0, off, s[36:39], 0 offset:76 ; 4-byte Folded Spill
	v_lshlrev_b64 v[0:1], 3, v[134:135]
	v_add_co_u32 v2, vcc_lo, s12, v0
	buffer_store_dword v2, off, s[36:39], 0 offset:84 ; 4-byte Folded Spill
	v_add_co_ci_u32_e64 v2, null, s13, v1, vcc_lo
	v_add_co_u32 v0, vcc_lo, s14, v0
	buffer_store_dword v2, off, s[36:39], 0 offset:92 ; 4-byte Folded Spill
	buffer_store_dword v0, off, s[36:39], 0 offset:100 ; 4-byte Folded Spill
	v_add_co_ci_u32_e64 v0, null, s15, v1, vcc_lo
	buffer_store_dword v0, off, s[36:39], 0 offset:108 ; 4-byte Folded Spill
	v_lshlrev_b64 v[0:1], 3, v[136:137]
	;; [unrolled: 9-line block ×25, first 2 shown]
	v_mov_b32_e32 v187, v132
	v_add_co_u32 v2, vcc_lo, s12, v0
	buffer_store_dword v2, off, s[36:39], 0 offset:484 ; 4-byte Folded Spill
	v_add_co_ci_u32_e64 v2, null, s13, v1, vcc_lo
	v_add_co_u32 v188, vcc_lo, s14, v0
	v_add_co_ci_u32_e64 v0, null, s15, v1, vcc_lo
	buffer_store_dword v2, off, s[36:39], 0 offset:480 ; 4-byte Folded Spill
	buffer_store_dword v0, off, s[36:39], 0 offset:488 ; 4-byte Folded Spill
	v_lshlrev_b64 v[0:1], 3, v[189:190]
	v_add_co_u32 v215, vcc_lo, s12, v0
	v_add_co_ci_u32_e64 v216, null, s13, v1, vcc_lo
	v_add_co_u32 v176, vcc_lo, s14, v0
	v_add_co_ci_u32_e64 v255, null, s15, v1, vcc_lo
	v_lshlrev_b64 v[0:1], 3, v[193:194]
	v_add_co_u32 v179, vcc_lo, s12, v0
	v_add_co_ci_u32_e64 v180, null, s13, v1, vcc_lo
	v_add_co_u32 v183, vcc_lo, s14, v0
	v_add_co_ci_u32_e64 v219, null, s15, v1, vcc_lo
	v_lshlrev_b64 v[0:1], 3, v[197:198]
	v_add_co_u32 v220, vcc_lo, s12, v0
	v_add_co_ci_u32_e64 v223, null, s13, v1, vcc_lo
	v_add_co_u32 v224, vcc_lo, s14, v0
	buffer_load_dword v0, off, s[36:39], 0 offset:48 ; 4-byte Folded Reload
	v_add_co_ci_u32_e64 v184, null, s15, v1, vcc_lo
	s_mul_i32 s12, s11, s1
	s_mul_hi_u32 s13, s10, s1
	s_mov_b64 s[14:15], 31
	s_add_i32 s13, s13, s12
	s_mul_i32 s12, s10, s1
	s_lshl_b64 s[12:13], s[12:13], 3
	s_waitcnt vmcnt(0)
	v_add_nc_u32_e32 v131, s7, v0
	v_mov_b32_e32 v0, 0
	v_mov_b32_e32 v1, 0
	buffer_store_dword v0, off, s[36:39], 0 offset:8 ; 4-byte Folded Spill
	buffer_store_dword v1, off, s[36:39], 0 offset:12 ; 4-byte Folded Spill
	v_lshlrev_b64 v[133:134], 3, v[131:132]
	v_mov_b32_e32 v0, 0
	v_mov_b32_e32 v131, v191
	;; [unrolled: 1-line block ×3, first 2 shown]
	buffer_store_dword v0, off, s[36:39], 0 ; 4-byte Folded Spill
	buffer_store_dword v1, off, s[36:39], 0 offset:4 ; 4-byte Folded Spill
	s_branch .LBB38_146
.LBB38_144:                             ;   in Loop: Header=BB38_146 Depth=1
	s_or_b32 exec_lo, exec_lo, s7
	v_add_co_u32 v0, vcc_lo, v172, v133
	v_add_co_ci_u32_e64 v1, null, v175, v134, vcc_lo
	s_waitcnt vmcnt(1)
	ds_bpermute_b32 v2, v132, v135
	ds_bpermute_b32 v3, v132, v136
	s_waitcnt vmcnt(0)
	ds_bpermute_b32 v141, v132, v137 offset:4
	global_load_dwordx2 v[0:1], v[0:1], off
	ds_bpermute_b32 v142, v132, v138 offset:4
	ds_bpermute_b32 v143, v132, v137 offset:8
	;; [unrolled: 1-line block ×59, first 2 shown]
	s_waitcnt vmcnt(0) lgkmcnt(60)
	v_add_f64 v[0:1], v[0:1], -v[2:3]
	v_add_co_u32 v2, vcc_lo, v4, v133
	v_add_co_ci_u32_e64 v3, null, v171, v134, vcc_lo
	global_load_dwordx2 v[139:140], v[2:3], off
	s_clause 0x1
	buffer_load_dword v5, off, s[36:39], 0 offset:8
	buffer_load_dword v6, off, s[36:39], 0 offset:12
	ds_bpermute_b32 v2, v132, v137
	ds_bpermute_b32 v3, v132, v138
	s_waitcnt vmcnt(2)
	v_mul_f64 v[0:1], v[139:140], v[0:1]
	s_waitcnt vmcnt(0) lgkmcnt(0)
	v_fma_f64 v[0:1], v[0:1], v[2:3], v[5:6]
	v_add_co_u32 v2, vcc_lo, v25, v133
	v_add_co_ci_u32_e64 v3, null, v26, v134, vcc_lo
	ds_bpermute_b32 v5, v132, v135 offset:4
	ds_bpermute_b32 v6, v132, v136 offset:4
	global_load_dwordx2 v[2:3], v[2:3], off
	s_waitcnt vmcnt(0) lgkmcnt(0)
	v_add_f64 v[2:3], v[2:3], -v[5:6]
	v_add_co_u32 v5, vcc_lo, v7, v133
	v_add_co_ci_u32_e64 v6, null, v8, v134, vcc_lo
	global_load_dwordx2 v[5:6], v[5:6], off
	s_waitcnt vmcnt(0)
	v_mul_f64 v[2:3], v[5:6], v[2:3]
	v_fma_f64 v[0:1], v[2:3], v[141:142], v[0:1]
	v_add_co_u32 v2, vcc_lo, v27, v133
	v_add_co_ci_u32_e64 v3, null, v28, v134, vcc_lo
	ds_bpermute_b32 v141, v132, v135 offset:8
	ds_bpermute_b32 v142, v132, v136 offset:8
	global_load_dwordx2 v[2:3], v[2:3], off
	s_waitcnt vmcnt(0) lgkmcnt(0)
	v_add_f64 v[2:3], v[2:3], -v[141:142]
	v_add_co_u32 v141, vcc_lo, v9, v133
	v_add_co_ci_u32_e64 v142, null, v10, v134, vcc_lo
	global_load_dwordx2 v[141:142], v[141:142], off
	s_waitcnt vmcnt(0)
	v_mul_f64 v[2:3], v[141:142], v[2:3]
	;; [unrolled: 13-line block ×30, first 2 shown]
	v_fma_f64 v[159:160], v[161:162], v[227:228], v[159:160]
	s_clause 0x1
	buffer_load_dword v161, off, s[36:39], 0
	buffer_load_dword v162, off, s[36:39], 0 offset:4
	s_waitcnt vmcnt(0)
	v_add_f64 v[139:140], v[161:162], v[139:140]
	v_add_f64 v[5:6], v[139:140], v[5:6]
	ds_bpermute_b32 v139, v132, v137 offset:124
	ds_bpermute_b32 v140, v132, v138 offset:124
	ds_bpermute_b32 v137, v132, v135 offset:124
	ds_bpermute_b32 v138, v132, v136 offset:124
	v_add_f64 v[5:6], v[5:6], v[141:142]
	v_add_f64 v[5:6], v[5:6], v[143:144]
	;; [unrolled: 1-line block ×29, first 2 shown]
	v_add_co_u32 v0, vcc_lo, v127, v133
	v_add_co_ci_u32_e64 v1, null, v128, v134, vcc_lo
	v_add_co_u32 v5, vcc_lo, v129, v133
	v_add_co_ci_u32_e64 v6, null, v130, v134, vcc_lo
	global_load_dwordx2 v[253:254], v[0:1], off
	global_load_dwordx2 v[0:1], v[5:6], off
.LBB38_145:                             ;   in Loop: Header=BB38_146 Depth=1
	s_waitcnt vmcnt(0) lgkmcnt(0)
	v_add_f64 v[0:1], v[0:1], -v[137:138]
	v_add_co_u32 v4, vcc_lo, v4, s12
	v_add_co_ci_u32_e64 v171, null, s13, v171, vcc_lo
	v_add_co_u32 v172, vcc_lo, v172, s12
	v_add_co_ci_u32_e64 v175, null, s13, v175, vcc_lo
	;; [unrolled: 2-line block ×5, first 2 shown]
	v_add_co_u32 v13, vcc_lo, v13, s12
	v_mul_f64 v[0:1], v[253:254], v[0:1]
	v_add_co_ci_u32_e64 v14, null, s13, v14, vcc_lo
	v_add_co_u32 v15, vcc_lo, v15, s12
	v_add_co_ci_u32_e64 v16, null, s13, v16, vcc_lo
	v_add_co_u32 v17, vcc_lo, v17, s12
	;; [unrolled: 2-line block ×5, first 2 shown]
	v_add_co_ci_u32_e64 v24, null, s13, v24, vcc_lo
	v_fma_f64 v[0:1], v[0:1], v[139:140], v[159:160]
	v_add_co_u32 v35, vcc_lo, v35, s12
	v_add_co_ci_u32_e64 v36, null, s13, v36, vcc_lo
	v_add_co_u32 v45, vcc_lo, v45, s12
	v_add_co_ci_u32_e64 v46, null, s13, v46, vcc_lo
	;; [unrolled: 2-line block ×5, first 2 shown]
	buffer_store_dword v0, off, s[36:39], 0 offset:8 ; 4-byte Folded Spill
	buffer_store_dword v1, off, s[36:39], 0 offset:12 ; 4-byte Folded Spill
	v_add_f64 v[0:1], v[2:3], v[253:254]
	v_add_co_u32 v63, vcc_lo, v63, s12
	v_add_co_ci_u32_e64 v64, null, s13, v64, vcc_lo
	v_add_co_u32 v67, vcc_lo, v67, s12
	v_add_co_ci_u32_e64 v68, null, s13, v68, vcc_lo
	v_add_co_u32 v71, vcc_lo, v71, s12
	v_add_co_ci_u32_e64 v72, null, s13, v72, vcc_lo
	v_add_co_u32 v75, vcc_lo, v75, s12
	v_add_co_ci_u32_e64 v76, null, s13, v76, vcc_lo
	v_add_co_u32 v79, vcc_lo, v79, s12
	v_add_co_ci_u32_e64 v80, null, s13, v80, vcc_lo
	buffer_store_dword v0, off, s[36:39], 0 ; 4-byte Folded Spill
	buffer_store_dword v1, off, s[36:39], 0 offset:4 ; 4-byte Folded Spill
	buffer_load_dword v0, off, s[36:39], 0 offset:16 ; 4-byte Folded Reload
	v_add_co_u32 v83, vcc_lo, v83, s12
	v_add_co_ci_u32_e64 v84, null, s13, v84, vcc_lo
	v_add_co_u32 v87, vcc_lo, v87, s12
	v_add_co_ci_u32_e64 v88, null, s13, v88, vcc_lo
	;; [unrolled: 2-line block ×44, first 2 shown]
	s_add_u32 s22, s22, s1
	s_addc_u32 s23, s23, 0
	s_add_u32 s14, s14, s1
	v_cmp_ge_i64_e64 s7, s[22:23], s[8:9]
	s_addc_u32 s15, 0, s15
	s_waitcnt vmcnt(0)
	v_add_co_u32 v0, vcc_lo, v0, s12
	buffer_store_dword v0, off, s[36:39], 0 offset:16 ; 4-byte Folded Spill
	buffer_load_dword v0, off, s[36:39], 0 offset:20 ; 4-byte Folded Reload
	s_waitcnt vmcnt(0)
	v_add_co_ci_u32_e64 v0, null, s13, v0, vcc_lo
	buffer_store_dword v0, off, s[36:39], 0 offset:20 ; 4-byte Folded Spill
	buffer_load_dword v0, off, s[36:39], 0 offset:24 ; 4-byte Folded Reload
	s_waitcnt vmcnt(0)
	v_add_co_u32 v0, vcc_lo, v0, s12
	buffer_store_dword v0, off, s[36:39], 0 offset:24 ; 4-byte Folded Spill
	buffer_load_dword v0, off, s[36:39], 0 offset:28 ; 4-byte Folded Reload
	s_waitcnt vmcnt(0)
	v_add_co_ci_u32_e64 v0, null, s13, v0, vcc_lo
	buffer_store_dword v0, off, s[36:39], 0 offset:28 ; 4-byte Folded Spill
	buffer_load_dword v0, off, s[36:39], 0 offset:32 ; 4-byte Folded Reload
	;; [unrolled: 8-line block ×54, first 2 shown]
	s_waitcnt vmcnt(0)
	v_add_co_u32 v0, vcc_lo, v0, s12
	buffer_store_dword v0, off, s[36:39], 0 offset:484 ; 4-byte Folded Spill
	buffer_load_dword v0, off, s[36:39], 0 offset:480 ; 4-byte Folded Reload
	s_waitcnt vmcnt(0)
	v_add_co_ci_u32_e64 v0, null, s13, v0, vcc_lo
	v_add_co_u32 v188, vcc_lo, v188, s12
	buffer_store_dword v0, off, s[36:39], 0 offset:480 ; 4-byte Folded Spill
	buffer_load_dword v0, off, s[36:39], 0 offset:488 ; 4-byte Folded Reload
	s_waitcnt vmcnt(0)
	v_add_co_ci_u32_e64 v0, null, s13, v0, vcc_lo
	v_add_co_u32 v215, vcc_lo, v215, s12
	v_add_co_ci_u32_e64 v216, null, s13, v216, vcc_lo
	v_add_co_u32 v176, vcc_lo, v176, s12
	;; [unrolled: 2-line block ×6, first 2 shown]
	v_add_co_ci_u32_e64 v184, null, s13, v184, vcc_lo
	s_and_b32 vcc_lo, exec_lo, s7
	buffer_store_dword v0, off, s[36:39], 0 offset:488 ; 4-byte Folded Spill
	s_cbranch_vccnz .LBB38_217
.LBB38_146:                             ; =>This Inner Loop Header: Depth=1
	s_add_u32 s24, s20, s14
	s_addc_u32 s25, 0, s15
	v_add_co_u32 v135, vcc_lo, s20, v131
	v_cmp_ge_i64_e64 s7, s[24:25], s[8:9]
	v_add_co_ci_u32_e64 v136, null, 0, v187, vcc_lo
                                        ; implicit-def: $vgpr139_vgpr140
                                        ; implicit-def: $vgpr253_vgpr254
                                        ; implicit-def: $vgpr0_vgpr1
                                        ; implicit-def: $vgpr137
                                        ; implicit-def: $vgpr2_vgpr3
                                        ; implicit-def: $vgpr159_vgpr160
	s_and_b32 vcc_lo, exec_lo, s7
	s_mov_b32 s7, -1
	s_cbranch_vccz .LBB38_214
; %bb.147:                              ;   in Loop: Header=BB38_146 Depth=1
	s_load_dword s7, s[2:3], 0xc
	s_clause 0x2
	buffer_load_dword v0, off, s[36:39], 0 offset:492
	buffer_load_dword v1, off, s[36:39], 0 offset:496
	;; [unrolled: 1-line block ×3, first 2 shown]
	v_mov_b32_e32 v191, 0
	v_mov_b32_e32 v139, 0
	;; [unrolled: 1-line block ×6, first 2 shown]
	s_waitcnt lgkmcnt(0)
	s_and_b32 s7, s7, 0xffff
	s_waitcnt vmcnt(0)
	v_mad_u32_u24 v0, v0, s7, v1
	s_mov_b32 s7, exec_lo
	v_and_b32_e32 v0, 31, v0
	v_add_co_u32 v0, vcc_lo, v135, v0
	v_add_co_ci_u32_e64 v1, null, 0, v136, vcc_lo
	v_cmpx_gt_i64_e64 s[8:9], v[0:1]
	s_cbranch_execz .LBB38_149
; %bb.148:                              ;   in Loop: Header=BB38_146 Depth=1
	v_lshlrev_b64 v[0:1], 3, v[0:1]
	v_add_co_u32 v2, vcc_lo, s16, v0
	v_add_co_ci_u32_e64 v3, null, s17, v1, vcc_lo
	v_add_co_u32 v0, vcc_lo, s18, v0
	v_add_co_ci_u32_e64 v1, null, s19, v1, vcc_lo
	global_load_dwordx2 v[137:138], v[2:3], off
	global_load_dwordx2 v[139:140], v[0:1], off
.LBB38_149:                             ;   in Loop: Header=BB38_146 Depth=1
	s_or_b32 exec_lo, exec_lo, s7
	v_mov_b32_e32 v195, 0
	v_mov_b32_e32 v196, 0
	s_mov_b32 s7, exec_lo
	v_cmpx_gt_i64_e64 s[8:9], v[135:136]
	s_cbranch_execz .LBB38_151
; %bb.150:                              ;   in Loop: Header=BB38_146 Depth=1
	v_add_co_u32 v0, vcc_lo, v4, v133
	v_add_co_ci_u32_e64 v1, null, v171, v134, vcc_lo
	v_add_co_u32 v2, vcc_lo, v172, v133
	v_add_co_ci_u32_e64 v3, null, v175, v134, vcc_lo
	global_load_dwordx2 v[191:192], v[0:1], off
	global_load_dwordx2 v[195:196], v[2:3], off
.LBB38_151:                             ;   in Loop: Header=BB38_146 Depth=1
	s_or_b32 exec_lo, exec_lo, s7
	v_add_co_u32 v0, vcc_lo, v135, 1
	v_mov_b32_e32 v143, 0
	v_mov_b32_e32 v145, 0
	v_mov_b32_e32 v207, 0
	v_add_co_ci_u32_e64 v1, null, 0, v136, vcc_lo
	v_mov_b32_e32 v144, 0
	v_mov_b32_e32 v146, 0
	;; [unrolled: 1-line block ×3, first 2 shown]
	s_mov_b32 s7, exec_lo
	v_cmpx_gt_i64_e64 s[8:9], v[0:1]
	s_cbranch_execz .LBB38_153
; %bb.152:                              ;   in Loop: Header=BB38_146 Depth=1
	v_add_co_u32 v0, vcc_lo, v220, v133
	v_add_co_ci_u32_e64 v1, null, v223, v134, vcc_lo
	v_add_co_u32 v2, vcc_lo, v224, v133
	v_add_co_ci_u32_e64 v3, null, v184, v134, vcc_lo
	global_load_dwordx2 v[145:146], v[0:1], off
	global_load_dwordx2 v[207:208], v[2:3], off
.LBB38_153:                             ;   in Loop: Header=BB38_146 Depth=1
	s_or_b32 exec_lo, exec_lo, s7
	v_add_co_u32 v0, vcc_lo, v135, 2
	v_mov_b32_e32 v199, 0
	v_add_co_ci_u32_e64 v1, null, 0, v136, vcc_lo
	v_mov_b32_e32 v200, 0
	s_mov_b32 s7, exec_lo
	v_cmpx_gt_i64_e64 s[8:9], v[0:1]
	s_cbranch_execz .LBB38_155
; %bb.154:                              ;   in Loop: Header=BB38_146 Depth=1
	v_add_co_u32 v0, vcc_lo, v179, v133
	v_add_co_ci_u32_e64 v1, null, v180, v134, vcc_lo
	v_add_co_u32 v2, vcc_lo, v183, v133
	v_add_co_ci_u32_e64 v3, null, v219, v134, vcc_lo
	global_load_dwordx2 v[143:144], v[0:1], off
	global_load_dwordx2 v[199:200], v[2:3], off
.LBB38_155:                             ;   in Loop: Header=BB38_146 Depth=1
	s_or_b32 exec_lo, exec_lo, s7
	v_add_co_u32 v0, vcc_lo, v135, 3
	v_add_co_ci_u32_e64 v1, null, 0, v136, vcc_lo
	v_mov_b32_e32 v147, 0
	v_mov_b32_e32 v149, 0
	;; [unrolled: 1-line block ×3, first 2 shown]
	v_cmp_gt_i64_e32 vcc_lo, s[8:9], v[0:1]
	v_mov_b32_e32 v0, 0
	v_mov_b32_e32 v150, 0
	;; [unrolled: 1-line block ×3, first 2 shown]
	buffer_store_dword v0, off, s[36:39], 0 offset:500 ; 4-byte Folded Spill
	buffer_store_dword v1, off, s[36:39], 0 offset:504 ; 4-byte Folded Spill
	s_and_saveexec_b32 s7, vcc_lo
	s_cbranch_execz .LBB38_157
; %bb.156:                              ;   in Loop: Header=BB38_146 Depth=1
	v_add_co_u32 v0, vcc_lo, v215, v133
	v_add_co_ci_u32_e64 v1, null, v216, v134, vcc_lo
	v_add_co_u32 v2, vcc_lo, v176, v133
	v_add_co_ci_u32_e64 v3, null, v255, v134, vcc_lo
	global_load_dwordx2 v[149:150], v[0:1], off
	global_load_dwordx2 v[0:1], v[2:3], off
	s_waitcnt vmcnt(0)
	buffer_store_dword v0, off, s[36:39], 0 offset:500 ; 4-byte Folded Spill
	buffer_store_dword v1, off, s[36:39], 0 offset:504 ; 4-byte Folded Spill
.LBB38_157:                             ;   in Loop: Header=BB38_146 Depth=1
	s_or_b32 exec_lo, exec_lo, s7
	v_add_co_u32 v0, vcc_lo, v135, 4
	v_mov_b32_e32 v141, 0
	v_add_co_ci_u32_e64 v1, null, 0, v136, vcc_lo
	v_mov_b32_e32 v142, 0
	s_mov_b32 s7, exec_lo
	v_cmpx_gt_i64_e64 s[8:9], v[0:1]
	s_cbranch_execz .LBB38_159
; %bb.158:                              ;   in Loop: Header=BB38_146 Depth=1
	s_clause 0x2
	buffer_load_dword v0, off, s[36:39], 0 offset:484
	buffer_load_dword v3, off, s[36:39], 0 offset:488
	;; [unrolled: 1-line block ×3, first 2 shown]
	s_waitcnt vmcnt(2)
	v_add_co_u32 v0, vcc_lo, v0, v133
	s_waitcnt vmcnt(0)
	v_add_co_ci_u32_e64 v1, null, v1, v134, vcc_lo
	v_add_co_u32 v2, vcc_lo, v188, v133
	v_add_co_ci_u32_e64 v3, null, v3, v134, vcc_lo
	global_load_dwordx2 v[147:148], v[0:1], off
	global_load_dwordx2 v[141:142], v[2:3], off
.LBB38_159:                             ;   in Loop: Header=BB38_146 Depth=1
	s_or_b32 exec_lo, exec_lo, s7
	v_add_co_u32 v0, vcc_lo, v135, 5
	v_mov_b32_e32 v151, 0
	v_mov_b32_e32 v153, 0
	v_mov_b32_e32 v211, 0
	v_add_co_ci_u32_e64 v1, null, 0, v136, vcc_lo
	v_mov_b32_e32 v152, 0
	v_mov_b32_e32 v154, 0
	;; [unrolled: 1-line block ×3, first 2 shown]
	s_mov_b32 s7, exec_lo
	v_cmpx_gt_i64_e64 s[8:9], v[0:1]
	s_cbranch_execz .LBB38_161
; %bb.160:                              ;   in Loop: Header=BB38_146 Depth=1
	s_clause 0x3
	buffer_load_dword v0, off, s[36:39], 0 offset:468
	buffer_load_dword v2, off, s[36:39], 0 offset:476
	;; [unrolled: 1-line block ×4, first 2 shown]
	s_waitcnt vmcnt(3)
	v_add_co_u32 v0, vcc_lo, v0, v133
	s_waitcnt vmcnt(0)
	v_add_co_ci_u32_e64 v1, null, v1, v134, vcc_lo
	v_add_co_u32 v2, vcc_lo, v2, v133
	v_add_co_ci_u32_e64 v3, null, v3, v134, vcc_lo
	global_load_dwordx2 v[153:154], v[0:1], off
	global_load_dwordx2 v[211:212], v[2:3], off
.LBB38_161:                             ;   in Loop: Header=BB38_146 Depth=1
	s_or_b32 exec_lo, exec_lo, s7
	v_add_co_u32 v0, vcc_lo, v135, 6
	v_add_co_ci_u32_e64 v1, null, 0, v136, vcc_lo
	v_cmp_gt_i64_e32 vcc_lo, s[8:9], v[0:1]
	v_mov_b32_e32 v0, 0
	v_mov_b32_e32 v1, 0
	buffer_store_dword v0, off, s[36:39], 0 offset:508 ; 4-byte Folded Spill
	buffer_store_dword v1, off, s[36:39], 0 offset:512 ; 4-byte Folded Spill
	s_and_saveexec_b32 s7, vcc_lo
	s_cbranch_execz .LBB38_163
; %bb.162:                              ;   in Loop: Header=BB38_146 Depth=1
	s_clause 0x3
	buffer_load_dword v0, off, s[36:39], 0 offset:448
	buffer_load_dword v1, off, s[36:39], 0 offset:452
	buffer_load_dword v2, off, s[36:39], 0 offset:460
	buffer_load_dword v3, off, s[36:39], 0 offset:456
	s_waitcnt vmcnt(3)
	v_add_co_u32 v0, vcc_lo, v0, v133
	s_waitcnt vmcnt(2)
	v_add_co_ci_u32_e64 v1, null, v1, v134, vcc_lo
	s_waitcnt vmcnt(1)
	v_add_co_u32 v2, vcc_lo, v2, v133
	s_waitcnt vmcnt(0)
	v_add_co_ci_u32_e64 v3, null, v3, v134, vcc_lo
	global_load_dwordx2 v[151:152], v[0:1], off
	global_load_dwordx2 v[0:1], v[2:3], off
	s_waitcnt vmcnt(0)
	buffer_store_dword v0, off, s[36:39], 0 offset:508 ; 4-byte Folded Spill
	buffer_store_dword v1, off, s[36:39], 0 offset:512 ; 4-byte Folded Spill
.LBB38_163:                             ;   in Loop: Header=BB38_146 Depth=1
	s_or_b32 exec_lo, exec_lo, s7
	v_add_co_u32 v0, vcc_lo, v135, 7
	v_add_co_ci_u32_e64 v1, null, 0, v136, vcc_lo
	v_mov_b32_e32 v157, 0
	v_mov_b32_e32 v161, 0
	v_mov_b32_e32 v158, 0
	v_cmp_gt_i64_e32 vcc_lo, s[8:9], v[0:1]
	v_mov_b32_e32 v0, 0
	v_mov_b32_e32 v162, 0
	v_mov_b32_e32 v1, 0
	buffer_store_dword v0, off, s[36:39], 0 offset:516 ; 4-byte Folded Spill
	buffer_store_dword v1, off, s[36:39], 0 offset:520 ; 4-byte Folded Spill
	s_and_saveexec_b32 s7, vcc_lo
	s_cbranch_execz .LBB38_165
; %bb.164:                              ;   in Loop: Header=BB38_146 Depth=1
	s_clause 0x3
	buffer_load_dword v0, off, s[36:39], 0 offset:432
	buffer_load_dword v1, off, s[36:39], 0 offset:436
	buffer_load_dword v2, off, s[36:39], 0 offset:440
	buffer_load_dword v3, off, s[36:39], 0 offset:444
	s_waitcnt vmcnt(3)
	v_add_co_u32 v0, vcc_lo, v0, v133
	s_waitcnt vmcnt(2)
	v_add_co_ci_u32_e64 v1, null, v1, v134, vcc_lo
	s_waitcnt vmcnt(1)
	v_add_co_u32 v2, vcc_lo, v2, v133
	s_waitcnt vmcnt(0)
	v_add_co_ci_u32_e64 v3, null, v3, v134, vcc_lo
	global_load_dwordx2 v[161:162], v[0:1], off
	global_load_dwordx2 v[0:1], v[2:3], off
	s_waitcnt vmcnt(0)
	buffer_store_dword v0, off, s[36:39], 0 offset:516 ; 4-byte Folded Spill
	buffer_store_dword v1, off, s[36:39], 0 offset:520 ; 4-byte Folded Spill
.LBB38_165:                             ;   in Loop: Header=BB38_146 Depth=1
	s_or_b32 exec_lo, exec_lo, s7
	v_add_co_u32 v0, vcc_lo, v135, 8
	v_add_co_ci_u32_e64 v1, null, 0, v136, vcc_lo
	v_cmp_gt_i64_e32 vcc_lo, s[8:9], v[0:1]
	v_mov_b32_e32 v0, 0
	v_mov_b32_e32 v1, 0
	buffer_store_dword v0, off, s[36:39], 0 offset:524 ; 4-byte Folded Spill
	buffer_store_dword v1, off, s[36:39], 0 offset:528 ; 4-byte Folded Spill
	s_and_saveexec_b32 s7, vcc_lo
	s_cbranch_execz .LBB38_167
; %bb.166:                              ;   in Loop: Header=BB38_146 Depth=1
	s_clause 0x3
	buffer_load_dword v0, off, s[36:39], 0 offset:416
	buffer_load_dword v1, off, s[36:39], 0 offset:420
	buffer_load_dword v2, off, s[36:39], 0 offset:424
	buffer_load_dword v3, off, s[36:39], 0 offset:428
	s_waitcnt vmcnt(3)
	v_add_co_u32 v0, vcc_lo, v0, v133
	s_waitcnt vmcnt(2)
	v_add_co_ci_u32_e64 v1, null, v1, v134, vcc_lo
	s_waitcnt vmcnt(1)
	v_add_co_u32 v2, vcc_lo, v2, v133
	s_waitcnt vmcnt(0)
	v_add_co_ci_u32_e64 v3, null, v3, v134, vcc_lo
	global_load_dwordx2 v[157:158], v[0:1], off
	global_load_dwordx2 v[0:1], v[2:3], off
	s_waitcnt vmcnt(0)
	buffer_store_dword v0, off, s[36:39], 0 offset:524 ; 4-byte Folded Spill
	buffer_store_dword v1, off, s[36:39], 0 offset:528 ; 4-byte Folded Spill
.LBB38_167:                             ;   in Loop: Header=BB38_146 Depth=1
	s_or_b32 exec_lo, exec_lo, s7
	v_add_co_u32 v0, vcc_lo, v135, 9
	v_add_co_ci_u32_e64 v1, null, 0, v136, vcc_lo
	v_mov_b32_e32 v167, 0
	v_mov_b32_e32 v173, 0
	v_mov_b32_e32 v168, 0
	v_cmp_gt_i64_e32 vcc_lo, s[8:9], v[0:1]
	v_mov_b32_e32 v0, 0
	v_mov_b32_e32 v174, 0
	v_mov_b32_e32 v1, 0
	buffer_store_dword v0, off, s[36:39], 0 offset:532 ; 4-byte Folded Spill
	buffer_store_dword v1, off, s[36:39], 0 offset:536 ; 4-byte Folded Spill
	s_and_saveexec_b32 s7, vcc_lo
	s_cbranch_execz .LBB38_169
; %bb.168:                              ;   in Loop: Header=BB38_146 Depth=1
	s_clause 0x3
	buffer_load_dword v0, off, s[36:39], 0 offset:400
	buffer_load_dword v1, off, s[36:39], 0 offset:404
	buffer_load_dword v2, off, s[36:39], 0 offset:408
	buffer_load_dword v3, off, s[36:39], 0 offset:412
	s_waitcnt vmcnt(3)
	v_add_co_u32 v0, vcc_lo, v0, v133
	s_waitcnt vmcnt(2)
	v_add_co_ci_u32_e64 v1, null, v1, v134, vcc_lo
	s_waitcnt vmcnt(1)
	v_add_co_u32 v2, vcc_lo, v2, v133
	s_waitcnt vmcnt(0)
	v_add_co_ci_u32_e64 v3, null, v3, v134, vcc_lo
	global_load_dwordx2 v[173:174], v[0:1], off
	global_load_dwordx2 v[0:1], v[2:3], off
	s_waitcnt vmcnt(0)
	buffer_store_dword v0, off, s[36:39], 0 offset:532 ; 4-byte Folded Spill
	buffer_store_dword v1, off, s[36:39], 0 offset:536 ; 4-byte Folded Spill
.LBB38_169:                             ;   in Loop: Header=BB38_146 Depth=1
	s_or_b32 exec_lo, exec_lo, s7
	v_add_co_u32 v0, vcc_lo, v135, 10
	v_add_co_ci_u32_e64 v1, null, 0, v136, vcc_lo
	v_cmp_gt_i64_e32 vcc_lo, s[8:9], v[0:1]
	v_mov_b32_e32 v0, 0
	v_mov_b32_e32 v1, 0
	buffer_store_dword v0, off, s[36:39], 0 offset:540 ; 4-byte Folded Spill
	buffer_store_dword v1, off, s[36:39], 0 offset:544 ; 4-byte Folded Spill
	s_and_saveexec_b32 s7, vcc_lo
	s_cbranch_execz .LBB38_171
; %bb.170:                              ;   in Loop: Header=BB38_146 Depth=1
	s_clause 0x3
	buffer_load_dword v0, off, s[36:39], 0 offset:384
	buffer_load_dword v1, off, s[36:39], 0 offset:388
	buffer_load_dword v2, off, s[36:39], 0 offset:392
	buffer_load_dword v3, off, s[36:39], 0 offset:396
	s_waitcnt vmcnt(3)
	v_add_co_u32 v0, vcc_lo, v0, v133
	s_waitcnt vmcnt(2)
	v_add_co_ci_u32_e64 v1, null, v1, v134, vcc_lo
	s_waitcnt vmcnt(1)
	v_add_co_u32 v2, vcc_lo, v2, v133
	s_waitcnt vmcnt(0)
	v_add_co_ci_u32_e64 v3, null, v3, v134, vcc_lo
	global_load_dwordx2 v[167:168], v[0:1], off
	global_load_dwordx2 v[0:1], v[2:3], off
	s_waitcnt vmcnt(0)
	buffer_store_dword v0, off, s[36:39], 0 offset:540 ; 4-byte Folded Spill
	buffer_store_dword v1, off, s[36:39], 0 offset:544 ; 4-byte Folded Spill
.LBB38_171:                             ;   in Loop: Header=BB38_146 Depth=1
	s_or_b32 exec_lo, exec_lo, s7
	v_add_co_u32 v0, vcc_lo, v135, 11
	v_add_co_ci_u32_e64 v1, null, 0, v136, vcc_lo
	v_mov_b32_e32 v177, 0
	v_mov_b32_e32 v181, 0
	v_mov_b32_e32 v178, 0
	v_cmp_gt_i64_e32 vcc_lo, s[8:9], v[0:1]
	v_mov_b32_e32 v0, 0
	v_mov_b32_e32 v182, 0
	v_mov_b32_e32 v1, 0
	buffer_store_dword v0, off, s[36:39], 0 offset:548 ; 4-byte Folded Spill
	buffer_store_dword v1, off, s[36:39], 0 offset:552 ; 4-byte Folded Spill
	s_and_saveexec_b32 s7, vcc_lo
	s_cbranch_execz .LBB38_173
; %bb.172:                              ;   in Loop: Header=BB38_146 Depth=1
	s_clause 0x3
	buffer_load_dword v0, off, s[36:39], 0 offset:368
	buffer_load_dword v1, off, s[36:39], 0 offset:372
	buffer_load_dword v2, off, s[36:39], 0 offset:376
	buffer_load_dword v3, off, s[36:39], 0 offset:380
	s_waitcnt vmcnt(3)
	v_add_co_u32 v0, vcc_lo, v0, v133
	s_waitcnt vmcnt(2)
	v_add_co_ci_u32_e64 v1, null, v1, v134, vcc_lo
	s_waitcnt vmcnt(1)
	v_add_co_u32 v2, vcc_lo, v2, v133
	s_waitcnt vmcnt(0)
	v_add_co_ci_u32_e64 v3, null, v3, v134, vcc_lo
	global_load_dwordx2 v[181:182], v[0:1], off
	global_load_dwordx2 v[0:1], v[2:3], off
	s_waitcnt vmcnt(0)
	buffer_store_dword v0, off, s[36:39], 0 offset:548 ; 4-byte Folded Spill
	buffer_store_dword v1, off, s[36:39], 0 offset:552 ; 4-byte Folded Spill
.LBB38_173:                             ;   in Loop: Header=BB38_146 Depth=1
	s_or_b32 exec_lo, exec_lo, s7
	v_add_co_u32 v0, vcc_lo, v135, 12
	v_add_co_ci_u32_e64 v1, null, 0, v136, vcc_lo
	v_cmp_gt_i64_e32 vcc_lo, s[8:9], v[0:1]
	v_mov_b32_e32 v0, 0
	v_mov_b32_e32 v1, 0
	buffer_store_dword v0, off, s[36:39], 0 offset:556 ; 4-byte Folded Spill
	buffer_store_dword v1, off, s[36:39], 0 offset:560 ; 4-byte Folded Spill
	s_and_saveexec_b32 s7, vcc_lo
	s_cbranch_execz .LBB38_175
; %bb.174:                              ;   in Loop: Header=BB38_146 Depth=1
	s_clause 0x3
	buffer_load_dword v0, off, s[36:39], 0 offset:352
	buffer_load_dword v1, off, s[36:39], 0 offset:356
	buffer_load_dword v2, off, s[36:39], 0 offset:360
	buffer_load_dword v3, off, s[36:39], 0 offset:364
	s_waitcnt vmcnt(3)
	v_add_co_u32 v0, vcc_lo, v0, v133
	s_waitcnt vmcnt(2)
	v_add_co_ci_u32_e64 v1, null, v1, v134, vcc_lo
	s_waitcnt vmcnt(1)
	v_add_co_u32 v2, vcc_lo, v2, v133
	s_waitcnt vmcnt(0)
	v_add_co_ci_u32_e64 v3, null, v3, v134, vcc_lo
	global_load_dwordx2 v[177:178], v[0:1], off
	global_load_dwordx2 v[0:1], v[2:3], off
	s_waitcnt vmcnt(0)
	buffer_store_dword v0, off, s[36:39], 0 offset:556 ; 4-byte Folded Spill
	buffer_store_dword v1, off, s[36:39], 0 offset:560 ; 4-byte Folded Spill
.LBB38_175:                             ;   in Loop: Header=BB38_146 Depth=1
	s_or_b32 exec_lo, exec_lo, s7
	v_add_co_u32 v0, vcc_lo, v135, 13
	v_add_co_ci_u32_e64 v1, null, 0, v136, vcc_lo
	v_mov_b32_e32 v185, 0
	v_mov_b32_e32 v189, 0
	v_mov_b32_e32 v186, 0
	v_cmp_gt_i64_e32 vcc_lo, s[8:9], v[0:1]
	v_mov_b32_e32 v0, 0
	v_mov_b32_e32 v190, 0
	v_mov_b32_e32 v1, 0
	buffer_store_dword v0, off, s[36:39], 0 offset:564 ; 4-byte Folded Spill
	buffer_store_dword v1, off, s[36:39], 0 offset:568 ; 4-byte Folded Spill
	s_and_saveexec_b32 s7, vcc_lo
	s_cbranch_execz .LBB38_177
; %bb.176:                              ;   in Loop: Header=BB38_146 Depth=1
	s_clause 0x3
	buffer_load_dword v0, off, s[36:39], 0 offset:336
	buffer_load_dword v1, off, s[36:39], 0 offset:340
	buffer_load_dword v2, off, s[36:39], 0 offset:344
	buffer_load_dword v3, off, s[36:39], 0 offset:348
	s_waitcnt vmcnt(3)
	v_add_co_u32 v0, vcc_lo, v0, v133
	s_waitcnt vmcnt(2)
	v_add_co_ci_u32_e64 v1, null, v1, v134, vcc_lo
	s_waitcnt vmcnt(1)
	v_add_co_u32 v2, vcc_lo, v2, v133
	s_waitcnt vmcnt(0)
	v_add_co_ci_u32_e64 v3, null, v3, v134, vcc_lo
	global_load_dwordx2 v[189:190], v[0:1], off
	global_load_dwordx2 v[0:1], v[2:3], off
	s_waitcnt vmcnt(0)
	buffer_store_dword v0, off, s[36:39], 0 offset:564 ; 4-byte Folded Spill
	buffer_store_dword v1, off, s[36:39], 0 offset:568 ; 4-byte Folded Spill
.LBB38_177:                             ;   in Loop: Header=BB38_146 Depth=1
	s_or_b32 exec_lo, exec_lo, s7
	v_add_co_u32 v0, vcc_lo, v135, 14
	v_add_co_ci_u32_e64 v1, null, 0, v136, vcc_lo
	v_cmp_gt_i64_e32 vcc_lo, s[8:9], v[0:1]
	v_mov_b32_e32 v0, 0
	v_mov_b32_e32 v1, 0
	buffer_store_dword v0, off, s[36:39], 0 offset:572 ; 4-byte Folded Spill
	buffer_store_dword v1, off, s[36:39], 0 offset:576 ; 4-byte Folded Spill
	s_and_saveexec_b32 s7, vcc_lo
	s_cbranch_execz .LBB38_179
; %bb.178:                              ;   in Loop: Header=BB38_146 Depth=1
	s_clause 0x3
	buffer_load_dword v0, off, s[36:39], 0 offset:320
	buffer_load_dword v1, off, s[36:39], 0 offset:324
	buffer_load_dword v2, off, s[36:39], 0 offset:328
	buffer_load_dword v3, off, s[36:39], 0 offset:332
	s_waitcnt vmcnt(3)
	v_add_co_u32 v0, vcc_lo, v0, v133
	s_waitcnt vmcnt(2)
	v_add_co_ci_u32_e64 v1, null, v1, v134, vcc_lo
	s_waitcnt vmcnt(1)
	v_add_co_u32 v2, vcc_lo, v2, v133
	s_waitcnt vmcnt(0)
	v_add_co_ci_u32_e64 v3, null, v3, v134, vcc_lo
	global_load_dwordx2 v[185:186], v[0:1], off
	global_load_dwordx2 v[0:1], v[2:3], off
	s_waitcnt vmcnt(0)
	buffer_store_dword v0, off, s[36:39], 0 offset:572 ; 4-byte Folded Spill
	buffer_store_dword v1, off, s[36:39], 0 offset:576 ; 4-byte Folded Spill
.LBB38_179:                             ;   in Loop: Header=BB38_146 Depth=1
	s_or_b32 exec_lo, exec_lo, s7
	v_add_co_u32 v0, vcc_lo, v135, 15
	v_add_co_ci_u32_e64 v1, null, 0, v136, vcc_lo
	v_mov_b32_e32 v193, 0
	v_mov_b32_e32 v197, 0
	v_mov_b32_e32 v194, 0
	v_cmp_gt_i64_e32 vcc_lo, s[8:9], v[0:1]
	v_mov_b32_e32 v0, 0
	v_mov_b32_e32 v198, 0
	v_mov_b32_e32 v1, 0
	buffer_store_dword v0, off, s[36:39], 0 offset:580 ; 4-byte Folded Spill
	buffer_store_dword v1, off, s[36:39], 0 offset:584 ; 4-byte Folded Spill
	s_and_saveexec_b32 s7, vcc_lo
	s_cbranch_execz .LBB38_181
; %bb.180:                              ;   in Loop: Header=BB38_146 Depth=1
	s_clause 0x3
	buffer_load_dword v0, off, s[36:39], 0 offset:304
	buffer_load_dword v1, off, s[36:39], 0 offset:308
	buffer_load_dword v2, off, s[36:39], 0 offset:312
	buffer_load_dword v3, off, s[36:39], 0 offset:316
	s_waitcnt vmcnt(3)
	v_add_co_u32 v0, vcc_lo, v0, v133
	s_waitcnt vmcnt(2)
	v_add_co_ci_u32_e64 v1, null, v1, v134, vcc_lo
	s_waitcnt vmcnt(1)
	v_add_co_u32 v2, vcc_lo, v2, v133
	s_waitcnt vmcnt(0)
	v_add_co_ci_u32_e64 v3, null, v3, v134, vcc_lo
	global_load_dwordx2 v[197:198], v[0:1], off
	global_load_dwordx2 v[0:1], v[2:3], off
	s_waitcnt vmcnt(0)
	buffer_store_dword v0, off, s[36:39], 0 offset:580 ; 4-byte Folded Spill
	buffer_store_dword v1, off, s[36:39], 0 offset:584 ; 4-byte Folded Spill
.LBB38_181:                             ;   in Loop: Header=BB38_146 Depth=1
	s_or_b32 exec_lo, exec_lo, s7
	v_add_co_u32 v0, vcc_lo, v135, 16
	v_add_co_ci_u32_e64 v1, null, 0, v136, vcc_lo
	v_cmp_gt_i64_e32 vcc_lo, s[8:9], v[0:1]
	v_mov_b32_e32 v0, 0
	v_mov_b32_e32 v1, 0
	buffer_store_dword v0, off, s[36:39], 0 offset:588 ; 4-byte Folded Spill
	buffer_store_dword v1, off, s[36:39], 0 offset:592 ; 4-byte Folded Spill
	s_and_saveexec_b32 s7, vcc_lo
	s_cbranch_execz .LBB38_183
; %bb.182:                              ;   in Loop: Header=BB38_146 Depth=1
	s_clause 0x3
	buffer_load_dword v0, off, s[36:39], 0 offset:288
	buffer_load_dword v1, off, s[36:39], 0 offset:292
	buffer_load_dword v2, off, s[36:39], 0 offset:296
	buffer_load_dword v3, off, s[36:39], 0 offset:300
	s_waitcnt vmcnt(3)
	v_add_co_u32 v0, vcc_lo, v0, v133
	s_waitcnt vmcnt(2)
	v_add_co_ci_u32_e64 v1, null, v1, v134, vcc_lo
	s_waitcnt vmcnt(1)
	v_add_co_u32 v2, vcc_lo, v2, v133
	s_waitcnt vmcnt(0)
	v_add_co_ci_u32_e64 v3, null, v3, v134, vcc_lo
	global_load_dwordx2 v[193:194], v[0:1], off
	global_load_dwordx2 v[0:1], v[2:3], off
	s_waitcnt vmcnt(0)
	buffer_store_dword v0, off, s[36:39], 0 offset:588 ; 4-byte Folded Spill
	buffer_store_dword v1, off, s[36:39], 0 offset:592 ; 4-byte Folded Spill
.LBB38_183:                             ;   in Loop: Header=BB38_146 Depth=1
	s_or_b32 exec_lo, exec_lo, s7
	v_add_co_u32 v0, vcc_lo, v135, 17
	v_add_co_ci_u32_e64 v1, null, 0, v136, vcc_lo
	v_mov_b32_e32 v201, 0
	v_mov_b32_e32 v205, 0
	v_mov_b32_e32 v202, 0
	v_cmp_gt_i64_e32 vcc_lo, s[8:9], v[0:1]
	v_mov_b32_e32 v0, 0
	v_mov_b32_e32 v206, 0
	v_mov_b32_e32 v1, 0
	buffer_store_dword v0, off, s[36:39], 0 offset:596 ; 4-byte Folded Spill
	buffer_store_dword v1, off, s[36:39], 0 offset:600 ; 4-byte Folded Spill
	s_and_saveexec_b32 s7, vcc_lo
	s_cbranch_execz .LBB38_185
; %bb.184:                              ;   in Loop: Header=BB38_146 Depth=1
	s_clause 0x3
	buffer_load_dword v0, off, s[36:39], 0 offset:272
	buffer_load_dword v1, off, s[36:39], 0 offset:276
	buffer_load_dword v2, off, s[36:39], 0 offset:280
	buffer_load_dword v3, off, s[36:39], 0 offset:284
	s_waitcnt vmcnt(3)
	v_add_co_u32 v0, vcc_lo, v0, v133
	s_waitcnt vmcnt(2)
	v_add_co_ci_u32_e64 v1, null, v1, v134, vcc_lo
	s_waitcnt vmcnt(1)
	v_add_co_u32 v2, vcc_lo, v2, v133
	s_waitcnt vmcnt(0)
	v_add_co_ci_u32_e64 v3, null, v3, v134, vcc_lo
	global_load_dwordx2 v[205:206], v[0:1], off
	global_load_dwordx2 v[0:1], v[2:3], off
	s_waitcnt vmcnt(0)
	buffer_store_dword v0, off, s[36:39], 0 offset:596 ; 4-byte Folded Spill
	buffer_store_dword v1, off, s[36:39], 0 offset:600 ; 4-byte Folded Spill
.LBB38_185:                             ;   in Loop: Header=BB38_146 Depth=1
	s_or_b32 exec_lo, exec_lo, s7
	v_add_co_u32 v0, vcc_lo, v135, 18
	v_add_co_ci_u32_e64 v1, null, 0, v136, vcc_lo
	v_cmp_gt_i64_e32 vcc_lo, s[8:9], v[0:1]
	v_mov_b32_e32 v0, 0
	v_mov_b32_e32 v1, 0
	buffer_store_dword v0, off, s[36:39], 0 offset:604 ; 4-byte Folded Spill
	buffer_store_dword v1, off, s[36:39], 0 offset:608 ; 4-byte Folded Spill
	s_and_saveexec_b32 s7, vcc_lo
	s_cbranch_execz .LBB38_187
; %bb.186:                              ;   in Loop: Header=BB38_146 Depth=1
	s_clause 0x3
	buffer_load_dword v0, off, s[36:39], 0 offset:256
	buffer_load_dword v1, off, s[36:39], 0 offset:260
	;; [unrolled: 1-line block ×4, first 2 shown]
	s_waitcnt vmcnt(3)
	v_add_co_u32 v0, vcc_lo, v0, v133
	s_waitcnt vmcnt(2)
	v_add_co_ci_u32_e64 v1, null, v1, v134, vcc_lo
	s_waitcnt vmcnt(1)
	v_add_co_u32 v2, vcc_lo, v2, v133
	s_waitcnt vmcnt(0)
	v_add_co_ci_u32_e64 v3, null, v3, v134, vcc_lo
	global_load_dwordx2 v[201:202], v[0:1], off
	global_load_dwordx2 v[0:1], v[2:3], off
	s_waitcnt vmcnt(0)
	buffer_store_dword v0, off, s[36:39], 0 offset:604 ; 4-byte Folded Spill
	buffer_store_dword v1, off, s[36:39], 0 offset:608 ; 4-byte Folded Spill
.LBB38_187:                             ;   in Loop: Header=BB38_146 Depth=1
	s_or_b32 exec_lo, exec_lo, s7
	v_add_co_u32 v0, vcc_lo, v135, 19
	v_mov_b32_e32 v209, 0
	v_mov_b32_e32 v213, 0
	v_mov_b32_e32 v227, 0
	v_add_co_ci_u32_e64 v1, null, 0, v136, vcc_lo
	v_mov_b32_e32 v210, 0
	v_mov_b32_e32 v214, 0
	v_mov_b32_e32 v228, 0
	s_mov_b32 s7, exec_lo
	v_cmpx_gt_i64_e64 s[8:9], v[0:1]
	s_cbranch_execz .LBB38_189
; %bb.188:                              ;   in Loop: Header=BB38_146 Depth=1
	s_clause 0x3
	buffer_load_dword v0, off, s[36:39], 0 offset:240
	buffer_load_dword v1, off, s[36:39], 0 offset:244
	buffer_load_dword v2, off, s[36:39], 0 offset:248
	buffer_load_dword v3, off, s[36:39], 0 offset:252
	s_waitcnt vmcnt(3)
	v_add_co_u32 v0, vcc_lo, v0, v133
	s_waitcnt vmcnt(2)
	v_add_co_ci_u32_e64 v1, null, v1, v134, vcc_lo
	s_waitcnt vmcnt(1)
	v_add_co_u32 v2, vcc_lo, v2, v133
	s_waitcnt vmcnt(0)
	v_add_co_ci_u32_e64 v3, null, v3, v134, vcc_lo
	global_load_dwordx2 v[213:214], v[0:1], off
	global_load_dwordx2 v[227:228], v[2:3], off
.LBB38_189:                             ;   in Loop: Header=BB38_146 Depth=1
	s_or_b32 exec_lo, exec_lo, s7
	v_add_co_u32 v0, vcc_lo, v135, 20
	v_mov_b32_e32 v231, 0
	v_add_co_ci_u32_e64 v1, null, 0, v136, vcc_lo
	v_mov_b32_e32 v232, 0
	s_mov_b32 s7, exec_lo
	v_cmpx_gt_i64_e64 s[8:9], v[0:1]
	s_cbranch_execz .LBB38_191
; %bb.190:                              ;   in Loop: Header=BB38_146 Depth=1
	s_clause 0x3
	buffer_load_dword v0, off, s[36:39], 0 offset:224
	buffer_load_dword v1, off, s[36:39], 0 offset:228
	buffer_load_dword v2, off, s[36:39], 0 offset:232
	buffer_load_dword v3, off, s[36:39], 0 offset:236
	s_waitcnt vmcnt(3)
	v_add_co_u32 v0, vcc_lo, v0, v133
	s_waitcnt vmcnt(2)
	v_add_co_ci_u32_e64 v1, null, v1, v134, vcc_lo
	s_waitcnt vmcnt(1)
	v_add_co_u32 v2, vcc_lo, v2, v133
	s_waitcnt vmcnt(0)
	v_add_co_ci_u32_e64 v3, null, v3, v134, vcc_lo
	global_load_dwordx2 v[209:210], v[0:1], off
	global_load_dwordx2 v[231:232], v[2:3], off
.LBB38_191:                             ;   in Loop: Header=BB38_146 Depth=1
	s_or_b32 exec_lo, exec_lo, s7
	v_add_co_u32 v0, vcc_lo, v135, 21
	v_mov_b32_e32 v217, 0
	v_mov_b32_e32 v221, 0
	v_mov_b32_e32 v235, 0
	v_add_co_ci_u32_e64 v1, null, 0, v136, vcc_lo
	v_mov_b32_e32 v218, 0
	v_mov_b32_e32 v222, 0
	v_mov_b32_e32 v236, 0
	s_mov_b32 s7, exec_lo
	v_cmpx_gt_i64_e64 s[8:9], v[0:1]
	s_cbranch_execz .LBB38_193
; %bb.192:                              ;   in Loop: Header=BB38_146 Depth=1
	s_clause 0x3
	buffer_load_dword v0, off, s[36:39], 0 offset:208
	buffer_load_dword v1, off, s[36:39], 0 offset:212
	buffer_load_dword v2, off, s[36:39], 0 offset:216
	buffer_load_dword v3, off, s[36:39], 0 offset:220
	s_waitcnt vmcnt(3)
	v_add_co_u32 v0, vcc_lo, v0, v133
	s_waitcnt vmcnt(2)
	v_add_co_ci_u32_e64 v1, null, v1, v134, vcc_lo
	s_waitcnt vmcnt(1)
	v_add_co_u32 v2, vcc_lo, v2, v133
	s_waitcnt vmcnt(0)
	v_add_co_ci_u32_e64 v3, null, v3, v134, vcc_lo
	global_load_dwordx2 v[221:222], v[0:1], off
	global_load_dwordx2 v[235:236], v[2:3], off
.LBB38_193:                             ;   in Loop: Header=BB38_146 Depth=1
	s_or_b32 exec_lo, exec_lo, s7
	v_add_co_u32 v0, vcc_lo, v135, 22
	v_mov_b32_e32 v239, 0
	v_add_co_ci_u32_e64 v1, null, 0, v136, vcc_lo
	v_mov_b32_e32 v240, 0
	s_mov_b32 s7, exec_lo
	v_cmpx_gt_i64_e64 s[8:9], v[0:1]
	s_cbranch_execz .LBB38_195
; %bb.194:                              ;   in Loop: Header=BB38_146 Depth=1
	s_clause 0x3
	buffer_load_dword v0, off, s[36:39], 0 offset:192
	buffer_load_dword v1, off, s[36:39], 0 offset:196
	buffer_load_dword v2, off, s[36:39], 0 offset:200
	buffer_load_dword v3, off, s[36:39], 0 offset:204
	s_waitcnt vmcnt(3)
	v_add_co_u32 v0, vcc_lo, v0, v133
	s_waitcnt vmcnt(2)
	v_add_co_ci_u32_e64 v1, null, v1, v134, vcc_lo
	s_waitcnt vmcnt(1)
	v_add_co_u32 v2, vcc_lo, v2, v133
	s_waitcnt vmcnt(0)
	v_add_co_ci_u32_e64 v3, null, v3, v134, vcc_lo
	global_load_dwordx2 v[217:218], v[0:1], off
	global_load_dwordx2 v[239:240], v[2:3], off
.LBB38_195:                             ;   in Loop: Header=BB38_146 Depth=1
	;; [unrolled: 54-line block ×5, first 2 shown]
	s_or_b32 exec_lo, exec_lo, s7
	v_add_co_u32 v0, vcc_lo, v135, 29
	v_mov_b32_e32 v2, 0
	v_mov_b32_e32 v159, 0
	;; [unrolled: 1-line block ×3, first 2 shown]
	v_add_co_ci_u32_e64 v1, null, 0, v136, vcc_lo
	v_mov_b32_e32 v3, 0
	v_mov_b32_e32 v160, 0
	;; [unrolled: 1-line block ×3, first 2 shown]
	s_mov_b32 s7, exec_lo
	v_cmpx_gt_i64_e64 s[8:9], v[0:1]
	s_cbranch_execz .LBB38_209
; %bb.208:                              ;   in Loop: Header=BB38_146 Depth=1
	s_clause 0x2
	buffer_load_dword v0, off, s[36:39], 0 offset:52
	buffer_load_dword v1, off, s[36:39], 0 offset:60
	;; [unrolled: 1-line block ×3, first 2 shown]
	s_waitcnt vmcnt(2)
	v_add_co_u32 v0, vcc_lo, v0, v133
	s_waitcnt vmcnt(1)
	v_add_co_ci_u32_e64 v1, null, v1, v134, vcc_lo
	s_waitcnt vmcnt(0)
	v_add_co_u32 v165, vcc_lo, v5, v133
	buffer_load_dword v5, off, s[36:39], 0 offset:76 ; 4-byte Folded Reload
	s_waitcnt vmcnt(0)
	v_add_co_ci_u32_e64 v166, null, v5, v134, vcc_lo
	global_load_dwordx2 v[159:160], v[0:1], off
	global_load_dwordx2 v[165:166], v[165:166], off
.LBB38_209:                             ;   in Loop: Header=BB38_146 Depth=1
	s_or_b32 exec_lo, exec_lo, s7
	v_add_co_u32 v0, vcc_lo, v135, 30
	v_mov_b32_e32 v169, 0
	v_add_co_ci_u32_e64 v1, null, 0, v136, vcc_lo
	v_mov_b32_e32 v170, 0
	s_mov_b32 s7, exec_lo
	v_cmpx_gt_i64_e64 s[8:9], v[0:1]
	s_cbranch_execz .LBB38_211
; %bb.210:                              ;   in Loop: Header=BB38_146 Depth=1
	s_clause 0x2
	buffer_load_dword v0, off, s[36:39], 0 offset:32
	buffer_load_dword v1, off, s[36:39], 0 offset:36
	;; [unrolled: 1-line block ×3, first 2 shown]
	s_waitcnt vmcnt(2)
	v_add_co_u32 v0, vcc_lo, v0, v133
	s_waitcnt vmcnt(1)
	v_add_co_ci_u32_e64 v1, null, v1, v134, vcc_lo
	s_waitcnt vmcnt(0)
	v_add_co_u32 v169, vcc_lo, v2, v133
	buffer_load_dword v2, off, s[36:39], 0 offset:44 ; 4-byte Folded Reload
	s_waitcnt vmcnt(0)
	v_add_co_ci_u32_e64 v170, null, v2, v134, vcc_lo
	global_load_dwordx2 v[2:3], v[0:1], off
	global_load_dwordx2 v[169:170], v[169:170], off
.LBB38_211:                             ;   in Loop: Header=BB38_146 Depth=1
	s_or_b32 exec_lo, exec_lo, s7
	v_add_co_u32 v0, vcc_lo, v135, 31
	v_add_co_ci_u32_e64 v1, null, 0, v136, vcc_lo
	s_waitcnt vmcnt(0)
	v_mov_b32_e32 v204, v142
	v_mov_b32_e32 v253, 0
	;; [unrolled: 1-line block ×3, first 2 shown]
	v_cmp_gt_i64_e32 vcc_lo, s[8:9], v[0:1]
	v_mov_b32_e32 v0, 0
	v_mov_b32_e32 v254, 0
	;; [unrolled: 1-line block ×3, first 2 shown]
	s_and_saveexec_b32 s7, vcc_lo
	s_cbranch_execz .LBB38_213
; %bb.212:                              ;   in Loop: Header=BB38_146 Depth=1
	s_clause 0x3
	buffer_load_dword v0, off, s[36:39], 0 offset:16
	buffer_load_dword v1, off, s[36:39], 0 offset:20
	;; [unrolled: 1-line block ×4, first 2 shown]
	s_waitcnt vmcnt(3)
	v_add_co_u32 v0, vcc_lo, v0, v133
	s_waitcnt vmcnt(2)
	v_add_co_ci_u32_e64 v1, null, v1, v134, vcc_lo
	s_waitcnt vmcnt(1)
	v_add_co_u32 v5, vcc_lo, v5, v133
	s_waitcnt vmcnt(0)
	v_add_co_ci_u32_e64 v6, null, v6, v134, vcc_lo
	global_load_dwordx2 v[253:254], v[0:1], off
	global_load_dwordx2 v[0:1], v[5:6], off
.LBB38_213:                             ;   in Loop: Header=BB38_146 Depth=1
	s_or_b32 exec_lo, exec_lo, s7
	ds_bpermute_b32 v5, v132, v137
	ds_bpermute_b32 v6, v132, v138
	ds_bpermute_b32 v141, v132, v137 offset:4
	ds_bpermute_b32 v142, v132, v138 offset:4
	s_mov_b32 s7, 0
	s_waitcnt lgkmcnt(2)
	v_add_f64 v[5:6], v[195:196], -v[5:6]
	s_clause 0x1
	buffer_load_dword v195, off, s[36:39], 0 offset:8
	buffer_load_dword v196, off, s[36:39], 0 offset:12
	s_waitcnt lgkmcnt(0)
	v_add_f64 v[141:142], v[207:208], -v[141:142]
	v_mov_b32_e32 v208, v192
	v_mov_b32_e32 v207, v191
	v_mul_f64 v[5:6], v[191:192], v[5:6]
	ds_bpermute_b32 v191, v132, v139
	ds_bpermute_b32 v192, v132, v140
	v_mul_f64 v[141:142], v[145:146], v[141:142]
	s_waitcnt vmcnt(0) lgkmcnt(0)
	v_fma_f64 v[5:6], v[5:6], v[191:192], v[195:196]
	ds_bpermute_b32 v191, v132, v139 offset:4
	ds_bpermute_b32 v192, v132, v140 offset:4
	s_waitcnt lgkmcnt(0)
	v_fma_f64 v[5:6], v[141:142], v[191:192], v[5:6]
	ds_bpermute_b32 v141, v132, v137 offset:8
	ds_bpermute_b32 v142, v132, v138 offset:8
	;; [unrolled: 1-line block ×4, first 2 shown]
	s_waitcnt lgkmcnt(2)
	v_add_f64 v[141:142], v[199:200], -v[141:142]
	v_mul_f64 v[141:142], v[143:144], v[141:142]
	s_waitcnt lgkmcnt(0)
	v_fma_f64 v[5:6], v[141:142], v[191:192], v[5:6]
	s_clause 0x1
	buffer_load_dword v191, off, s[36:39], 0 offset:500
	buffer_load_dword v192, off, s[36:39], 0 offset:504
	ds_bpermute_b32 v141, v132, v137 offset:12
	ds_bpermute_b32 v142, v132, v138 offset:12
	s_waitcnt vmcnt(0) lgkmcnt(0)
	v_add_f64 v[141:142], v[191:192], -v[141:142]
	ds_bpermute_b32 v191, v132, v139 offset:12
	ds_bpermute_b32 v192, v132, v140 offset:12
	v_mul_f64 v[141:142], v[149:150], v[141:142]
	s_waitcnt lgkmcnt(0)
	v_fma_f64 v[5:6], v[141:142], v[191:192], v[5:6]
	s_clause 0x5
	buffer_load_dword v141, off, s[36:39], 0
	buffer_load_dword v142, off, s[36:39], 0 offset:4
	buffer_load_dword v191, off, s[36:39], 0 offset:508
	;; [unrolled: 1-line block ×5, first 2 shown]
	s_waitcnt vmcnt(4)
	v_add_f64 v[141:142], v[141:142], v[207:208]
	v_add_f64 v[141:142], v[141:142], v[145:146]
	ds_bpermute_b32 v145, v132, v137 offset:16
	ds_bpermute_b32 v146, v132, v138 offset:16
	s_waitcnt lgkmcnt(0)
	v_add_f64 v[145:146], v[203:204], -v[145:146]
	v_add_f64 v[141:142], v[141:142], v[143:144]
	ds_bpermute_b32 v143, v132, v137 offset:20
	ds_bpermute_b32 v144, v132, v138 offset:20
	v_mul_f64 v[145:146], v[147:148], v[145:146]
	v_add_f64 v[141:142], v[141:142], v[149:150]
	s_waitcnt lgkmcnt(0)
	v_add_f64 v[143:144], v[211:212], -v[143:144]
	ds_bpermute_b32 v149, v132, v137 offset:24
	ds_bpermute_b32 v150, v132, v138 offset:24
	v_add_f64 v[141:142], v[141:142], v[147:148]
	s_waitcnt vmcnt(2) lgkmcnt(0)
	v_add_f64 v[149:150], v[191:192], -v[149:150]
	v_mul_f64 v[143:144], v[153:154], v[143:144]
	ds_bpermute_b32 v191, v132, v139 offset:16
	ds_bpermute_b32 v192, v132, v140 offset:16
	;; [unrolled: 1-line block ×4, first 2 shown]
	v_add_f64 v[141:142], v[141:142], v[153:154]
	s_clause 0x1
	buffer_load_dword v153, off, s[36:39], 0 offset:524
	buffer_load_dword v154, off, s[36:39], 0 offset:528
	v_mul_f64 v[149:150], v[151:152], v[149:150]
	s_waitcnt lgkmcnt(2)
	v_fma_f64 v[5:6], v[145:146], v[191:192], v[5:6]
	ds_bpermute_b32 v191, v132, v137 offset:32
	ds_bpermute_b32 v192, v132, v138 offset:32
	;; [unrolled: 1-line block ×4, first 2 shown]
	s_waitcnt vmcnt(2) lgkmcnt(4)
	v_add_f64 v[147:148], v[195:196], -v[147:148]
	v_add_f64 v[141:142], v[141:142], v[151:152]
	s_clause 0x1
	buffer_load_dword v151, off, s[36:39], 0 offset:532
	buffer_load_dword v152, off, s[36:39], 0 offset:536
	s_waitcnt lgkmcnt(0)
	v_fma_f64 v[5:6], v[143:144], v[145:146], v[5:6]
	ds_bpermute_b32 v145, v132, v137 offset:36
	ds_bpermute_b32 v146, v132, v138 offset:36
	;; [unrolled: 1-line block ×4, first 2 shown]
	v_mul_f64 v[147:148], v[161:162], v[147:148]
	v_add_f64 v[141:142], v[141:142], v[161:162]
	s_waitcnt lgkmcnt(0)
	v_fma_f64 v[5:6], v[149:150], v[143:144], v[5:6]
	ds_bpermute_b32 v149, v132, v137 offset:40
	ds_bpermute_b32 v150, v132, v138 offset:40
	;; [unrolled: 1-line block ×4, first 2 shown]
	v_add_f64 v[141:142], v[141:142], v[157:158]
	s_waitcnt lgkmcnt(0)
	v_fma_f64 v[5:6], v[147:148], v[143:144], v[5:6]
	ds_bpermute_b32 v147, v132, v137 offset:44
	ds_bpermute_b32 v148, v132, v138 offset:44
	;; [unrolled: 1-line block ×4, first 2 shown]
	v_add_f64 v[141:142], v[141:142], v[173:174]
	v_add_f64 v[141:142], v[141:142], v[167:168]
	;; [unrolled: 1-line block ×11, first 2 shown]
	s_waitcnt vmcnt(2)
	v_add_f64 v[153:154], v[153:154], -v[191:192]
	v_add_f64 v[141:142], v[141:142], v[209:210]
	s_waitcnt vmcnt(0)
	v_add_f64 v[145:146], v[151:152], -v[145:146]
	v_mul_f64 v[151:152], v[157:158], v[153:154]
	s_clause 0x1
	buffer_load_dword v153, off, s[36:39], 0 offset:540
	buffer_load_dword v154, off, s[36:39], 0 offset:544
	v_add_f64 v[141:142], v[141:142], v[221:222]
	v_mul_f64 v[145:146], v[173:174], v[145:146]
	s_waitcnt lgkmcnt(0)
	v_fma_f64 v[5:6], v[151:152], v[143:144], v[5:6]
	ds_bpermute_b32 v151, v132, v137 offset:48
	ds_bpermute_b32 v152, v132, v138 offset:48
	;; [unrolled: 1-line block ×4, first 2 shown]
	v_add_f64 v[141:142], v[141:142], v[217:218]
	s_waitcnt lgkmcnt(0)
	v_fma_f64 v[5:6], v[145:146], v[143:144], v[5:6]
	ds_bpermute_b32 v145, v132, v137 offset:52
	ds_bpermute_b32 v146, v132, v138 offset:52
	;; [unrolled: 1-line block ×4, first 2 shown]
	v_add_f64 v[141:142], v[141:142], v[229:230]
	v_add_f64 v[141:142], v[141:142], v[225:226]
	;; [unrolled: 1-line block ×7, first 2 shown]
	s_waitcnt vmcnt(0)
	v_add_f64 v[149:150], v[153:154], -v[149:150]
	s_clause 0x1
	buffer_load_dword v153, off, s[36:39], 0 offset:548
	buffer_load_dword v154, off, s[36:39], 0 offset:552
	v_mul_f64 v[149:150], v[167:168], v[149:150]
	s_waitcnt lgkmcnt(0)
	v_fma_f64 v[5:6], v[149:150], v[143:144], v[5:6]
	ds_bpermute_b32 v149, v132, v137 offset:56
	ds_bpermute_b32 v150, v132, v138 offset:56
	ds_bpermute_b32 v143, v132, v139 offset:44
	ds_bpermute_b32 v144, v132, v140 offset:44
	s_waitcnt vmcnt(0)
	v_add_f64 v[147:148], v[153:154], -v[147:148]
	s_clause 0x1
	buffer_load_dword v153, off, s[36:39], 0 offset:556
	buffer_load_dword v154, off, s[36:39], 0 offset:560
	v_mul_f64 v[147:148], v[181:182], v[147:148]
	s_waitcnt lgkmcnt(0)
	v_fma_f64 v[5:6], v[147:148], v[143:144], v[5:6]
	ds_bpermute_b32 v147, v132, v137 offset:60
	ds_bpermute_b32 v148, v132, v138 offset:60
	ds_bpermute_b32 v143, v132, v139 offset:48
	ds_bpermute_b32 v144, v132, v140 offset:48
	s_waitcnt vmcnt(0)
	v_add_f64 v[151:152], v[153:154], -v[151:152]
	s_clause 0x1
	buffer_load_dword v153, off, s[36:39], 0 offset:564
	buffer_load_dword v154, off, s[36:39], 0 offset:568
	v_mul_f64 v[151:152], v[177:178], v[151:152]
	s_waitcnt lgkmcnt(0)
	v_fma_f64 v[5:6], v[151:152], v[143:144], v[5:6]
	ds_bpermute_b32 v151, v132, v137 offset:64
	ds_bpermute_b32 v152, v132, v138 offset:64
	ds_bpermute_b32 v143, v132, v139 offset:52
	ds_bpermute_b32 v144, v132, v140 offset:52
	s_waitcnt vmcnt(0)
	v_add_f64 v[145:146], v[153:154], -v[145:146]
	s_clause 0x1
	buffer_load_dword v153, off, s[36:39], 0 offset:572
	buffer_load_dword v154, off, s[36:39], 0 offset:576
	v_mul_f64 v[145:146], v[189:190], v[145:146]
	s_waitcnt lgkmcnt(0)
	v_fma_f64 v[5:6], v[145:146], v[143:144], v[5:6]
	ds_bpermute_b32 v145, v132, v137 offset:68
	ds_bpermute_b32 v146, v132, v138 offset:68
	ds_bpermute_b32 v143, v132, v139 offset:56
	ds_bpermute_b32 v144, v132, v140 offset:56
	s_waitcnt vmcnt(0)
	v_add_f64 v[149:150], v[153:154], -v[149:150]
	s_clause 0x1
	buffer_load_dword v153, off, s[36:39], 0 offset:580
	buffer_load_dword v154, off, s[36:39], 0 offset:584
	v_mul_f64 v[149:150], v[185:186], v[149:150]
	s_waitcnt lgkmcnt(0)
	v_fma_f64 v[5:6], v[149:150], v[143:144], v[5:6]
	ds_bpermute_b32 v143, v132, v139 offset:60
	ds_bpermute_b32 v144, v132, v140 offset:60
	ds_bpermute_b32 v149, v132, v137 offset:72
	ds_bpermute_b32 v150, v132, v138 offset:72
	s_waitcnt vmcnt(0)
	v_add_f64 v[147:148], v[153:154], -v[147:148]
	s_clause 0x1
	buffer_load_dword v153, off, s[36:39], 0 offset:588
	buffer_load_dword v154, off, s[36:39], 0 offset:592
	v_mul_f64 v[147:148], v[197:198], v[147:148]
	s_waitcnt lgkmcnt(2)
	v_fma_f64 v[5:6], v[147:148], v[143:144], v[5:6]
	ds_bpermute_b32 v143, v132, v139 offset:64
	ds_bpermute_b32 v144, v132, v140 offset:64
	ds_bpermute_b32 v147, v132, v137 offset:76
	ds_bpermute_b32 v148, v132, v138 offset:76
	s_waitcnt lgkmcnt(0)
	v_add_f64 v[147:148], v[227:228], -v[147:148]
	v_mul_f64 v[147:148], v[213:214], v[147:148]
	s_waitcnt vmcnt(0)
	v_add_f64 v[151:152], v[153:154], -v[151:152]
	s_clause 0x1
	buffer_load_dword v153, off, s[36:39], 0 offset:596
	buffer_load_dword v154, off, s[36:39], 0 offset:600
	v_mul_f64 v[151:152], v[193:194], v[151:152]
	v_fma_f64 v[5:6], v[151:152], v[143:144], v[5:6]
	ds_bpermute_b32 v143, v132, v139 offset:68
	ds_bpermute_b32 v144, v132, v140 offset:68
	;; [unrolled: 1-line block ×4, first 2 shown]
	s_waitcnt lgkmcnt(0)
	v_add_f64 v[151:152], v[231:232], -v[151:152]
	v_mul_f64 v[151:152], v[209:210], v[151:152]
	s_waitcnt vmcnt(0)
	v_add_f64 v[145:146], v[153:154], -v[145:146]
	s_clause 0x1
	buffer_load_dword v153, off, s[36:39], 0 offset:604
	buffer_load_dword v154, off, s[36:39], 0 offset:608
	v_mul_f64 v[145:146], v[205:206], v[145:146]
	v_fma_f64 v[5:6], v[145:146], v[143:144], v[5:6]
	ds_bpermute_b32 v143, v132, v139 offset:72
	ds_bpermute_b32 v144, v132, v140 offset:72
	ds_bpermute_b32 v145, v132, v137 offset:84
	ds_bpermute_b32 v146, v132, v138 offset:84
	s_waitcnt lgkmcnt(0)
	v_add_f64 v[145:146], v[235:236], -v[145:146]
	v_mul_f64 v[145:146], v[221:222], v[145:146]
	s_waitcnt vmcnt(0)
	v_add_f64 v[149:150], v[153:154], -v[149:150]
	v_mul_f64 v[149:150], v[201:202], v[149:150]
	v_fma_f64 v[5:6], v[149:150], v[143:144], v[5:6]
	ds_bpermute_b32 v143, v132, v139 offset:76
	ds_bpermute_b32 v144, v132, v140 offset:76
	;; [unrolled: 1-line block ×4, first 2 shown]
	s_waitcnt lgkmcnt(2)
	v_fma_f64 v[5:6], v[147:148], v[143:144], v[5:6]
	ds_bpermute_b32 v143, v132, v139 offset:80
	ds_bpermute_b32 v144, v132, v140 offset:80
	s_waitcnt lgkmcnt(2)
	v_add_f64 v[149:150], v[239:240], -v[149:150]
	ds_bpermute_b32 v147, v132, v137 offset:92
	ds_bpermute_b32 v148, v132, v138 offset:92
	s_waitcnt lgkmcnt(2)
	v_fma_f64 v[5:6], v[151:152], v[143:144], v[5:6]
	ds_bpermute_b32 v143, v132, v139 offset:84
	ds_bpermute_b32 v144, v132, v140 offset:84
	s_waitcnt lgkmcnt(2)
	v_add_f64 v[147:148], v[241:242], -v[147:148]
	v_mul_f64 v[149:150], v[217:218], v[149:150]
	ds_bpermute_b32 v151, v132, v137 offset:96
	ds_bpermute_b32 v152, v132, v138 offset:96
	s_waitcnt lgkmcnt(2)
	v_fma_f64 v[5:6], v[145:146], v[143:144], v[5:6]
	ds_bpermute_b32 v143, v132, v139 offset:88
	ds_bpermute_b32 v144, v132, v140 offset:88
	v_mul_f64 v[147:148], v[229:230], v[147:148]
	s_waitcnt lgkmcnt(2)
	v_add_f64 v[151:152], v[247:248], -v[151:152]
	ds_bpermute_b32 v145, v132, v137 offset:100
	ds_bpermute_b32 v146, v132, v138 offset:100
	s_waitcnt lgkmcnt(2)
	v_fma_f64 v[5:6], v[149:150], v[143:144], v[5:6]
	ds_bpermute_b32 v143, v132, v139 offset:92
	ds_bpermute_b32 v144, v132, v140 offset:92
	ds_bpermute_b32 v149, v132, v137 offset:104
	s_waitcnt lgkmcnt(3)
	v_add_f64 v[145:146], v[249:250], -v[145:146]
	v_mul_f64 v[151:152], v[225:226], v[151:152]
	ds_bpermute_b32 v150, v132, v138 offset:104
	s_waitcnt lgkmcnt(2)
	v_fma_f64 v[5:6], v[147:148], v[143:144], v[5:6]
	ds_bpermute_b32 v143, v132, v139 offset:96
	ds_bpermute_b32 v144, v132, v140 offset:96
	ds_bpermute_b32 v147, v132, v137 offset:108
	s_waitcnt lgkmcnt(3)
	v_add_f64 v[149:150], v[251:252], -v[149:150]
	v_mul_f64 v[145:146], v[237:238], v[145:146]
	;; [unrolled: 9-line block ×5, first 2 shown]
	ds_bpermute_b32 v150, v132, v138 offset:120
	ds_bpermute_b32 v137, v132, v137 offset:124
	;; [unrolled: 1-line block ×3, first 2 shown]
	s_waitcnt lgkmcnt(4)
	v_fma_f64 v[5:6], v[147:148], v[143:144], v[5:6]
	ds_bpermute_b32 v143, v132, v139 offset:112
	ds_bpermute_b32 v144, v132, v140 offset:112
	s_waitcnt lgkmcnt(4)
	v_add_f64 v[147:148], v[169:170], -v[149:150]
	v_mul_f64 v[145:146], v[159:160], v[145:146]
	s_waitcnt lgkmcnt(0)
	v_fma_f64 v[5:6], v[151:152], v[143:144], v[5:6]
	ds_bpermute_b32 v143, v132, v139 offset:116
	ds_bpermute_b32 v144, v132, v140 offset:116
	v_mul_f64 v[147:148], v[2:3], v[147:148]
	v_add_f64 v[2:3], v[141:142], v[2:3]
	s_waitcnt lgkmcnt(0)
	v_fma_f64 v[5:6], v[145:146], v[143:144], v[5:6]
	ds_bpermute_b32 v143, v132, v139 offset:120
	ds_bpermute_b32 v144, v132, v140 offset:120
	;; [unrolled: 1-line block ×4, first 2 shown]
	s_waitcnt lgkmcnt(2)
	v_fma_f64 v[159:160], v[147:148], v[143:144], v[5:6]
.LBB38_214:                             ;   in Loop: Header=BB38_146 Depth=1
	s_and_b32 vcc_lo, exec_lo, s7
	s_cbranch_vccz .LBB38_145
; %bb.215:                              ;   in Loop: Header=BB38_146 Depth=1
	s_load_dword s7, s[2:3], 0x0
	v_mov_b32_e32 v137, 0
	v_mov_b32_e32 v138, 0
	s_waitcnt lgkmcnt(0)
	s_cmp_lt_u32 s6, s7
	s_cselect_b32 s7, 12, 18
	s_add_u32 s24, s2, s7
	s_addc_u32 s25, s3, 0
	s_mov_b32 s7, exec_lo
	global_load_ushort v0, v132, s[24:25]
	s_clause 0x2
	buffer_load_dword v1, off, s[36:39], 0 offset:492
	buffer_load_dword v2, off, s[36:39], 0 offset:496
	;; [unrolled: 1-line block ×3, first 2 shown]
	s_waitcnt vmcnt(0)
	v_mad_u32_u24 v0, v1, v0, v2
	v_and_b32_e32 v0, 31, v0
	v_add_co_u32 v0, vcc_lo, v135, v0
	v_add_co_ci_u32_e64 v1, null, 0, v136, vcc_lo
	v_mov_b32_e32 v135, 0
	v_mov_b32_e32 v136, 0
	v_cmpx_gt_i64_e64 s[8:9], v[0:1]
	s_cbranch_execz .LBB38_144
; %bb.216:                              ;   in Loop: Header=BB38_146 Depth=1
	v_lshlrev_b64 v[0:1], 3, v[0:1]
	v_add_co_u32 v2, vcc_lo, s16, v0
	v_add_co_ci_u32_e64 v3, null, s17, v1, vcc_lo
	v_add_co_u32 v0, vcc_lo, s18, v0
	v_add_co_ci_u32_e64 v1, null, s19, v1, vcc_lo
	global_load_dwordx2 v[135:136], v[2:3], off
	global_load_dwordx2 v[137:138], v[0:1], off
	s_branch .LBB38_144
.LBB38_217:
	buffer_load_dword v0, off, s[36:39], 0 offset:48 ; 4-byte Folded Reload
	s_mov_b32 s7, 0
	s_mov_b32 s1, exec_lo
	s_lshl_b64 s[2:3], s[6:7], 5
	v_mov_b32_e32 v1, s3
	s_waitcnt vmcnt(0)
	v_or_b32_e32 v0, s2, v0
	v_cmpx_gt_i64_e64 s[10:11], v[0:1]
	s_cbranch_execz .LBB38_222
; %bb.218:
	s_clause 0x1
	s_load_dword s1, s[4:5], 0x4c
	s_load_dwordx4 s[4:7], s[4:5], 0x30
	s_clause 0x1
	buffer_load_dword v2, off, s[36:39], 0 offset:492
	buffer_load_dword v3, off, s[36:39], 0 offset:496
	s_waitcnt vmcnt(0)
	v_mov_b32_e32 v3, 0
	v_lshlrev_b64 v[0:1], 3, v[0:1]
	s_waitcnt lgkmcnt(0)
	s_lshr_b32 s1, s1, 16
	s_cmp_eq_u64 s[4:5], 0
	v_mad_u64_u32 v[2:3], null, s1, s0, v[2:3]
	v_mul_lo_u32 v3, v3, s10
	v_mul_lo_u32 v4, v2, s11
	s_cbranch_scc1 .LBB38_220
; %bb.219:
	s_clause 0x1
	buffer_load_dword v7, off, s[36:39], 0 offset:8
	buffer_load_dword v8, off, s[36:39], 0 offset:12
	v_mad_u64_u32 v[5:6], null, v2, s10, 0
	v_add3_u32 v6, v6, v4, v3
	v_lshlrev_b64 v[5:6], 3, v[5:6]
	v_add_co_u32 v5, vcc_lo, s4, v5
	v_add_co_ci_u32_e64 v6, null, s5, v6, vcc_lo
	v_add_co_u32 v5, vcc_lo, v5, v0
	v_add_co_ci_u32_e64 v6, null, v6, v1, vcc_lo
	s_waitcnt vmcnt(0)
	global_store_dwordx2 v[5:6], v[7:8], off
.LBB38_220:
	s_cmp_eq_u64 s[6:7], 0
	s_cbranch_scc1 .LBB38_222
; %bb.221:
	v_mad_u64_u32 v[5:6], null, v2, s10, 0
	v_add3_u32 v6, v6, v4, v3
	v_lshlrev_b64 v[2:3], 3, v[5:6]
	v_add_co_u32 v2, vcc_lo, s6, v2
	v_add_co_ci_u32_e64 v3, null, s7, v3, vcc_lo
	v_add_co_u32 v0, vcc_lo, v2, v0
	v_add_co_ci_u32_e64 v1, null, v3, v1, vcc_lo
	s_clause 0x1
	buffer_load_dword v2, off, s[36:39], 0
	buffer_load_dword v3, off, s[36:39], 0 offset:4
	s_waitcnt vmcnt(0)
	global_store_dwordx2 v[0:1], v[2:3], off
.LBB38_222:
	s_endpgm
	.section	.rodata,"a",@progbits
	.p2align	6, 0x0
	.amdhsa_kernel _ZN2at6native12_GLOBAL__N_135GammaBetaBackwardCUDAKernelTemplateIddLj32ELj1ELj32ELb1ELb0ELb0EEEvllPKT_S5_PKT0_S8_PS3_S9_
		.amdhsa_group_segment_fixed_size 0
		.amdhsa_private_segment_fixed_size 616
		.amdhsa_kernarg_size 320
		.amdhsa_user_sgpr_count 6
		.amdhsa_user_sgpr_private_segment_buffer 1
		.amdhsa_user_sgpr_dispatch_ptr 0
		.amdhsa_user_sgpr_queue_ptr 0
		.amdhsa_user_sgpr_kernarg_segment_ptr 1
		.amdhsa_user_sgpr_dispatch_id 0
		.amdhsa_user_sgpr_flat_scratch_init 0
		.amdhsa_user_sgpr_private_segment_size 0
		.amdhsa_wavefront_size32 1
		.amdhsa_uses_dynamic_stack 0
		.amdhsa_system_sgpr_private_segment_wavefront_offset 1
		.amdhsa_system_sgpr_workgroup_id_x 1
		.amdhsa_system_sgpr_workgroup_id_y 1
		.amdhsa_system_sgpr_workgroup_id_z 0
		.amdhsa_system_sgpr_workgroup_info 0
		.amdhsa_system_vgpr_workitem_id 1
		.amdhsa_next_free_vgpr 256
		.amdhsa_next_free_sgpr 40
		.amdhsa_reserve_vcc 1
		.amdhsa_reserve_flat_scratch 0
		.amdhsa_float_round_mode_32 0
		.amdhsa_float_round_mode_16_64 0
		.amdhsa_float_denorm_mode_32 3
		.amdhsa_float_denorm_mode_16_64 3
		.amdhsa_dx10_clamp 1
		.amdhsa_ieee_mode 1
		.amdhsa_fp16_overflow 0
		.amdhsa_workgroup_processor_mode 1
		.amdhsa_memory_ordered 1
		.amdhsa_forward_progress 1
		.amdhsa_shared_vgpr_count 0
		.amdhsa_exception_fp_ieee_invalid_op 0
		.amdhsa_exception_fp_denorm_src 0
		.amdhsa_exception_fp_ieee_div_zero 0
		.amdhsa_exception_fp_ieee_overflow 0
		.amdhsa_exception_fp_ieee_underflow 0
		.amdhsa_exception_fp_ieee_inexact 0
		.amdhsa_exception_int_div_zero 0
	.end_amdhsa_kernel
	.section	.text._ZN2at6native12_GLOBAL__N_135GammaBetaBackwardCUDAKernelTemplateIddLj32ELj1ELj32ELb1ELb0ELb0EEEvllPKT_S5_PKT0_S8_PS3_S9_,"axG",@progbits,_ZN2at6native12_GLOBAL__N_135GammaBetaBackwardCUDAKernelTemplateIddLj32ELj1ELj32ELb1ELb0ELb0EEEvllPKT_S5_PKT0_S8_PS3_S9_,comdat
.Lfunc_end38:
	.size	_ZN2at6native12_GLOBAL__N_135GammaBetaBackwardCUDAKernelTemplateIddLj32ELj1ELj32ELb1ELb0ELb0EEEvllPKT_S5_PKT0_S8_PS3_S9_, .Lfunc_end38-_ZN2at6native12_GLOBAL__N_135GammaBetaBackwardCUDAKernelTemplateIddLj32ELj1ELj32ELb1ELb0ELb0EEEvllPKT_S5_PKT0_S8_PS3_S9_
                                        ; -- End function
	.set _ZN2at6native12_GLOBAL__N_135GammaBetaBackwardCUDAKernelTemplateIddLj32ELj1ELj32ELb1ELb0ELb0EEEvllPKT_S5_PKT0_S8_PS3_S9_.num_vgpr, 256
	.set _ZN2at6native12_GLOBAL__N_135GammaBetaBackwardCUDAKernelTemplateIddLj32ELj1ELj32ELb1ELb0ELb0EEEvllPKT_S5_PKT0_S8_PS3_S9_.num_agpr, 0
	.set _ZN2at6native12_GLOBAL__N_135GammaBetaBackwardCUDAKernelTemplateIddLj32ELj1ELj32ELb1ELb0ELb0EEEvllPKT_S5_PKT0_S8_PS3_S9_.numbered_sgpr, 40
	.set _ZN2at6native12_GLOBAL__N_135GammaBetaBackwardCUDAKernelTemplateIddLj32ELj1ELj32ELb1ELb0ELb0EEEvllPKT_S5_PKT0_S8_PS3_S9_.num_named_barrier, 0
	.set _ZN2at6native12_GLOBAL__N_135GammaBetaBackwardCUDAKernelTemplateIddLj32ELj1ELj32ELb1ELb0ELb0EEEvllPKT_S5_PKT0_S8_PS3_S9_.private_seg_size, 616
	.set _ZN2at6native12_GLOBAL__N_135GammaBetaBackwardCUDAKernelTemplateIddLj32ELj1ELj32ELb1ELb0ELb0EEEvllPKT_S5_PKT0_S8_PS3_S9_.uses_vcc, 1
	.set _ZN2at6native12_GLOBAL__N_135GammaBetaBackwardCUDAKernelTemplateIddLj32ELj1ELj32ELb1ELb0ELb0EEEvllPKT_S5_PKT0_S8_PS3_S9_.uses_flat_scratch, 0
	.set _ZN2at6native12_GLOBAL__N_135GammaBetaBackwardCUDAKernelTemplateIddLj32ELj1ELj32ELb1ELb0ELb0EEEvllPKT_S5_PKT0_S8_PS3_S9_.has_dyn_sized_stack, 0
	.set _ZN2at6native12_GLOBAL__N_135GammaBetaBackwardCUDAKernelTemplateIddLj32ELj1ELj32ELb1ELb0ELb0EEEvllPKT_S5_PKT0_S8_PS3_S9_.has_recursion, 0
	.set _ZN2at6native12_GLOBAL__N_135GammaBetaBackwardCUDAKernelTemplateIddLj32ELj1ELj32ELb1ELb0ELb0EEEvllPKT_S5_PKT0_S8_PS3_S9_.has_indirect_call, 0
	.section	.AMDGPU.csdata,"",@progbits
; Kernel info:
; codeLenInByte = 38516
; TotalNumSgprs: 42
; NumVgprs: 256
; ScratchSize: 616
; MemoryBound: 0
; FloatMode: 240
; IeeeMode: 1
; LDSByteSize: 0 bytes/workgroup (compile time only)
; SGPRBlocks: 0
; VGPRBlocks: 31
; NumSGPRsForWavesPerEU: 42
; NumVGPRsForWavesPerEU: 256
; Occupancy: 4
; WaveLimiterHint : 0
; COMPUTE_PGM_RSRC2:SCRATCH_EN: 1
; COMPUTE_PGM_RSRC2:USER_SGPR: 6
; COMPUTE_PGM_RSRC2:TRAP_HANDLER: 0
; COMPUTE_PGM_RSRC2:TGID_X_EN: 1
; COMPUTE_PGM_RSRC2:TGID_Y_EN: 1
; COMPUTE_PGM_RSRC2:TGID_Z_EN: 0
; COMPUTE_PGM_RSRC2:TIDIG_COMP_CNT: 1
	.section	.text._ZN2at6native12_GLOBAL__N_135GammaBetaBackwardCUDAKernelTemplateIddLj32ELj1ELj8ELb1ELb1ELb0EEEvllPKT_S5_PKT0_S8_PS3_S9_,"axG",@progbits,_ZN2at6native12_GLOBAL__N_135GammaBetaBackwardCUDAKernelTemplateIddLj32ELj1ELj8ELb1ELb1ELb0EEEvllPKT_S5_PKT0_S8_PS3_S9_,comdat
	.globl	_ZN2at6native12_GLOBAL__N_135GammaBetaBackwardCUDAKernelTemplateIddLj32ELj1ELj8ELb1ELb1ELb0EEEvllPKT_S5_PKT0_S8_PS3_S9_ ; -- Begin function _ZN2at6native12_GLOBAL__N_135GammaBetaBackwardCUDAKernelTemplateIddLj32ELj1ELj8ELb1ELb1ELb0EEEvllPKT_S5_PKT0_S8_PS3_S9_
	.p2align	8
	.type	_ZN2at6native12_GLOBAL__N_135GammaBetaBackwardCUDAKernelTemplateIddLj32ELj1ELj8ELb1ELb1ELb0EEEvllPKT_S5_PKT0_S8_PS3_S9_,@function
_ZN2at6native12_GLOBAL__N_135GammaBetaBackwardCUDAKernelTemplateIddLj32ELj1ELj8ELb1ELb1ELb0EEEvllPKT_S5_PKT0_S8_PS3_S9_: ; @_ZN2at6native12_GLOBAL__N_135GammaBetaBackwardCUDAKernelTemplateIddLj32ELj1ELj8ELb1ELb1ELb0EEEvllPKT_S5_PKT0_S8_PS3_S9_
; %bb.0:
	s_load_dwordx4 s[16:19], s[4:5], 0x0
	s_lshl_b32 s2, s7, 3
	s_mov_b32 s3, 0
	s_waitcnt lgkmcnt(0)
	v_cmp_gt_i64_e64 s0, s[16:17], s[2:3]
	s_and_b32 vcc_lo, exec_lo, s0
	s_cbranch_vccnz .LBB39_2
; %bb.1:
	s_add_u32 s24, s4, 64
	s_addc_u32 s25, s5, 0
	s_mov_b32 s0, s3
	s_branch .LBB39_3
.LBB39_2:
	s_mov_b32 s0, -1
                                        ; implicit-def: $sgpr24_sgpr25
.LBB39_3:
	s_load_dwordx4 s[20:23], s[4:5], 0x30
	v_mov_b32_e32 v8, 0
	v_mov_b32_e32 v10, 0
	v_mov_b32_e32 v9, 0
	v_mov_b32_e32 v11, 0
	s_andn2_b32 vcc_lo, exec_lo, s0
	s_cbranch_vccnz .LBB39_10
; %bb.4:
	s_clause 0x2
	s_load_dword s0, s[4:5], 0x4c
	s_load_dword s1, s[4:5], 0x44
	s_load_dwordx8 s[8:15], s[4:5], 0x10
	v_lshlrev_b32_e32 v2, 3, v1
	s_add_u32 s24, s4, 64
	s_addc_u32 s25, s5, 0
	v_mov_b32_e32 v3, 0
	v_mov_b32_e32 v16, 8
	v_add_co_u32 v4, s4, v2, s2
	v_add_co_ci_u32_e64 v5, null, 0, 0, s4
	v_lshl_or_b32 v2, s6, 5, v0
	v_mul_lo_u32 v10, s19, v4
	v_mad_u64_u32 v[6:7], null, s18, v4, 0
	v_mul_lo_u32 v11, s18, v5
	v_mov_b32_e32 v17, 4
	v_mov_b32_e32 v18, 12
	;; [unrolled: 1-line block ×3, first 2 shown]
	s_waitcnt lgkmcnt(0)
	s_and_b32 s0, s0, 0xffff
	s_lshl_b32 s26, s1, 3
	v_mad_u32_u24 v8, v1, s0, v0
	s_mul_i32 s1, s19, s26
	v_add3_u32 v7, v7, v11, v10
	s_mul_hi_u32 s4, s18, s26
	v_mov_b32_e32 v20, 20
	v_and_b32_e32 v12, 31, v8
	v_lshlrev_b64 v[8:9], 3, v[2:3]
	v_lshlrev_b64 v[10:11], 3, v[6:7]
	v_mov_b32_e32 v21, 24
	v_mov_b32_e32 v22, 28
	v_add_co_u32 v4, vcc_lo, v4, v12
	v_add_co_ci_u32_e64 v5, null, 0, v5, vcc_lo
	v_add_co_u32 v2, vcc_lo, v10, v8
	v_add_co_ci_u32_e64 v23, null, v11, v9, vcc_lo
	v_lshlrev_b64 v[6:7], 3, v[4:5]
	v_mov_b32_e32 v10, 0
	v_mov_b32_e32 v8, 0
	v_cmp_gt_u32_e64 s0, 8, v12
	v_mov_b32_e32 v11, 0
	v_mov_b32_e32 v9, 0
	s_mov_b32 s27, 0
	s_add_i32 s29, s4, s1
	s_mul_i32 s28, s18, s26
	s_lshl_b64 s[4:5], s[26:27], 3
	s_lshl_b64 s[28:29], s[28:29], 3
	;; [unrolled: 1-line block ×3, first 2 shown]
	s_branch .LBB39_7
.LBB39_5:                               ;   in Loop: Header=BB39_7 Depth=1
	s_or_b32 exec_lo, exec_lo, s27
.LBB39_6:                               ;   in Loop: Header=BB39_7 Depth=1
	s_or_b32 exec_lo, exec_lo, s1
	v_add_co_u32 v24, vcc_lo, s10, v2
	v_add_co_ci_u32_e64 v25, null, s11, v23, vcc_lo
	v_add_co_u32 v28, vcc_lo, s8, v2
	v_add_co_ci_u32_e64 v29, null, s9, v23, vcc_lo
	global_load_dwordx2 v[26:27], v[24:25], off
	v_add_co_u32 v24, vcc_lo, v24, s30
	v_add_co_ci_u32_e64 v25, null, s31, v25, vcc_lo
	global_load_dwordx2 v[30:31], v[28:29], off
	global_load_dwordx2 v[32:33], v[24:25], off
	v_add_co_u32 v24, vcc_lo, v24, s30
	v_add_co_ci_u32_e64 v25, null, s31, v25, vcc_lo
	v_add_co_u32 v28, vcc_lo, v28, s30
	v_add_co_ci_u32_e64 v29, null, s31, v29, vcc_lo
	global_load_dwordx2 v[34:35], v[24:25], off
	global_load_dwordx2 v[36:37], v[28:29], off
	v_add_co_u32 v24, vcc_lo, v24, s30
	v_add_co_ci_u32_e64 v25, null, s31, v25, vcc_lo
	;; [unrolled: 6-line block ×7, first 2 shown]
	s_waitcnt vmcnt(16)
	ds_bpermute_b32 v56, v3, v14
	ds_bpermute_b32 v57, v3, v15
	s_waitcnt vmcnt(15)
	ds_bpermute_b32 v58, v3, v12
	global_load_dwordx2 v[28:29], v[28:29], off
	ds_bpermute_b32 v59, v3, v13
	s_add_u32 s2, s2, s26
	v_add_co_u32 v6, vcc_lo, v6, s4
	s_addc_u32 s3, s3, 0
	v_add_co_ci_u32_e64 v7, null, s5, v7, vcc_lo
	v_add_co_u32 v4, vcc_lo, v4, s26
	v_cmp_lt_i64_e64 s1, s[2:3], s[16:17]
	v_add_co_ci_u32_e64 v5, null, 0, v5, vcc_lo
	v_add_co_u32 v2, vcc_lo, v2, s28
	v_add_co_ci_u32_e64 v23, null, s29, v23, vcc_lo
	s_and_b32 vcc_lo, exec_lo, s1
	s_waitcnt vmcnt(15) lgkmcnt(2)
	v_add_f64 v[26:27], v[26:27], -v[56:57]
	ds_bpermute_b32 v56, v17, v14
	ds_bpermute_b32 v57, v17, v15
	s_waitcnt vmcnt(14)
	v_add_f64 v[8:9], v[8:9], v[30:31]
	s_waitcnt vmcnt(13) lgkmcnt(0)
	v_add_f64 v[32:33], v[32:33], -v[56:57]
	v_mul_f64 v[26:27], v[30:31], v[26:27]
	ds_bpermute_b32 v56, v16, v14
	ds_bpermute_b32 v57, v16, v15
	;; [unrolled: 1-line block ×4, first 2 shown]
	s_waitcnt vmcnt(11)
	v_add_f64 v[8:9], v[8:9], v[36:37]
	v_mul_f64 v[32:33], v[36:37], v[32:33]
	v_fma_f64 v[10:11], v[26:27], v[58:59], v[10:11]
	s_waitcnt lgkmcnt(2)
	v_add_f64 v[34:35], v[34:35], -v[56:57]
	ds_bpermute_b32 v26, v17, v12
	ds_bpermute_b32 v58, v18, v14
	;; [unrolled: 1-line block ×6, first 2 shown]
	s_waitcnt vmcnt(9)
	v_add_f64 v[8:9], v[8:9], v[40:41]
	v_mul_f64 v[34:35], v[40:41], v[34:35]
	s_waitcnt lgkmcnt(3)
	v_add_f64 v[38:39], v[38:39], -v[58:59]
	s_waitcnt lgkmcnt(2)
	v_fma_f64 v[10:11], v[32:33], v[26:27], v[10:11]
	ds_bpermute_b32 v26, v18, v12
	s_waitcnt vmcnt(8) lgkmcnt(1)
	v_add_f64 v[36:37], v[42:43], -v[56:57]
	ds_bpermute_b32 v32, v20, v14
	ds_bpermute_b32 v33, v20, v15
	;; [unrolled: 1-line block ×3, first 2 shown]
	s_waitcnt vmcnt(7)
	v_add_f64 v[8:9], v[8:9], v[44:45]
	v_mul_f64 v[38:39], v[44:45], v[38:39]
	v_fma_f64 v[10:11], v[34:35], v[30:31], v[10:11]
	ds_bpermute_b32 v30, v19, v12
	s_waitcnt vmcnt(6) lgkmcnt(2)
	v_add_f64 v[32:33], v[46:47], -v[32:33]
	s_waitcnt vmcnt(5)
	v_mul_f64 v[36:37], v[48:49], v[36:37]
	ds_bpermute_b32 v34, v21, v14
	ds_bpermute_b32 v35, v21, v15
	;; [unrolled: 1-line block ×3, first 2 shown]
	v_add_f64 v[8:9], v[8:9], v[48:49]
	ds_bpermute_b32 v14, v22, v14
	ds_bpermute_b32 v15, v22, v15
	s_waitcnt lgkmcnt(6)
	v_fma_f64 v[10:11], v[38:39], v[26:27], v[10:11]
	ds_bpermute_b32 v26, v20, v12
	s_waitcnt vmcnt(3)
	v_mul_f64 v[32:33], v[52:53], v[32:33]
	s_waitcnt lgkmcnt(4)
	v_add_f64 v[34:35], v[50:51], -v[34:35]
	ds_bpermute_b32 v27, v20, v13
	s_waitcnt vmcnt(2) lgkmcnt(2)
	v_add_f64 v[14:15], v[24:25], -v[14:15]
	v_add_f64 v[8:9], v[8:9], v[52:53]
	v_fma_f64 v[10:11], v[36:37], v[30:31], v[10:11]
	ds_bpermute_b32 v30, v21, v12
	ds_bpermute_b32 v31, v21, v13
	s_waitcnt vmcnt(1)
	v_mul_f64 v[24:25], v[54:55], v[34:35]
	ds_bpermute_b32 v12, v22, v12
	ds_bpermute_b32 v13, v22, v13
	s_waitcnt vmcnt(0)
	v_mul_f64 v[14:15], v[28:29], v[14:15]
	v_add_f64 v[8:9], v[8:9], v[54:55]
	s_waitcnt lgkmcnt(4)
	v_fma_f64 v[10:11], v[32:33], v[26:27], v[10:11]
	v_add_f64 v[8:9], v[8:9], v[28:29]
	s_waitcnt lgkmcnt(2)
	v_fma_f64 v[10:11], v[24:25], v[30:31], v[10:11]
	s_waitcnt lgkmcnt(0)
	v_fma_f64 v[10:11], v[14:15], v[12:13], v[10:11]
	s_cbranch_vccz .LBB39_10
.LBB39_7:                               ; =>This Inner Loop Header: Depth=1
	v_mov_b32_e32 v12, 0
	v_mov_b32_e32 v14, 0
	;; [unrolled: 1-line block ×4, first 2 shown]
	s_and_saveexec_b32 s1, s0
	s_cbranch_execz .LBB39_6
; %bb.8:                                ;   in Loop: Header=BB39_7 Depth=1
	v_mov_b32_e32 v14, 0
	v_mov_b32_e32 v12, 0
	;; [unrolled: 1-line block ×4, first 2 shown]
	s_mov_b32 s27, exec_lo
	v_cmpx_gt_i64_e64 s[16:17], v[4:5]
	s_cbranch_execz .LBB39_5
; %bb.9:                                ;   in Loop: Header=BB39_7 Depth=1
	v_add_co_u32 v12, vcc_lo, s12, v6
	v_add_co_ci_u32_e64 v13, null, s13, v7, vcc_lo
	v_add_co_u32 v24, vcc_lo, s14, v6
	v_add_co_ci_u32_e64 v25, null, s15, v7, vcc_lo
	global_load_dwordx2 v[14:15], v[12:13], off
	global_load_dwordx2 v[12:13], v[24:25], off
	s_branch .LBB39_5
.LBB39_10:
	s_load_dword s0, s[24:25], 0xc
	v_mov_b32_e32 v2, 0
	s_waitcnt lgkmcnt(0)
	s_lshr_b32 s0, s0, 16
	v_mad_u64_u32 v[1:2], null, s0, s7, v[1:2]
	s_mov_b32 s7, 0
	s_lshl_b64 s[0:1], s[6:7], 5
	s_cmp_eq_u64 s[20:21], 0
	v_or_b32_e32 v5, s0, v0
	v_mov_b32_e32 v6, s1
	v_mul_lo_u32 v0, v2, s18
	v_mul_lo_u32 v4, v1, s19
	v_lshlrev_b64 v[2:3], 3, v[5:6]
	s_cbranch_scc1 .LBB39_12
; %bb.11:
	v_mad_u64_u32 v[5:6], null, v1, s18, 0
	v_add3_u32 v6, v6, v4, v0
	v_lshlrev_b64 v[5:6], 3, v[5:6]
	v_add_co_u32 v5, vcc_lo, s20, v5
	v_add_co_ci_u32_e64 v6, null, s21, v6, vcc_lo
	v_add_co_u32 v5, vcc_lo, v5, v2
	v_add_co_ci_u32_e64 v6, null, v6, v3, vcc_lo
	global_store_dwordx2 v[5:6], v[10:11], off
.LBB39_12:
	s_cmp_eq_u64 s[22:23], 0
	s_cbranch_scc1 .LBB39_14
; %bb.13:
	v_mad_u64_u32 v[5:6], null, v1, s18, 0
	v_add3_u32 v6, v6, v4, v0
	v_lshlrev_b64 v[0:1], 3, v[5:6]
	v_add_co_u32 v0, vcc_lo, s22, v0
	v_add_co_ci_u32_e64 v1, null, s23, v1, vcc_lo
	v_add_co_u32 v0, vcc_lo, v0, v2
	v_add_co_ci_u32_e64 v1, null, v1, v3, vcc_lo
	global_store_dwordx2 v[0:1], v[8:9], off
.LBB39_14:
	s_endpgm
	.section	.rodata,"a",@progbits
	.p2align	6, 0x0
	.amdhsa_kernel _ZN2at6native12_GLOBAL__N_135GammaBetaBackwardCUDAKernelTemplateIddLj32ELj1ELj8ELb1ELb1ELb0EEEvllPKT_S5_PKT0_S8_PS3_S9_
		.amdhsa_group_segment_fixed_size 0
		.amdhsa_private_segment_fixed_size 0
		.amdhsa_kernarg_size 320
		.amdhsa_user_sgpr_count 6
		.amdhsa_user_sgpr_private_segment_buffer 1
		.amdhsa_user_sgpr_dispatch_ptr 0
		.amdhsa_user_sgpr_queue_ptr 0
		.amdhsa_user_sgpr_kernarg_segment_ptr 1
		.amdhsa_user_sgpr_dispatch_id 0
		.amdhsa_user_sgpr_flat_scratch_init 0
		.amdhsa_user_sgpr_private_segment_size 0
		.amdhsa_wavefront_size32 1
		.amdhsa_uses_dynamic_stack 0
		.amdhsa_system_sgpr_private_segment_wavefront_offset 0
		.amdhsa_system_sgpr_workgroup_id_x 1
		.amdhsa_system_sgpr_workgroup_id_y 1
		.amdhsa_system_sgpr_workgroup_id_z 0
		.amdhsa_system_sgpr_workgroup_info 0
		.amdhsa_system_vgpr_workitem_id 1
		.amdhsa_next_free_vgpr 60
		.amdhsa_next_free_sgpr 32
		.amdhsa_reserve_vcc 1
		.amdhsa_reserve_flat_scratch 0
		.amdhsa_float_round_mode_32 0
		.amdhsa_float_round_mode_16_64 0
		.amdhsa_float_denorm_mode_32 3
		.amdhsa_float_denorm_mode_16_64 3
		.amdhsa_dx10_clamp 1
		.amdhsa_ieee_mode 1
		.amdhsa_fp16_overflow 0
		.amdhsa_workgroup_processor_mode 1
		.amdhsa_memory_ordered 1
		.amdhsa_forward_progress 1
		.amdhsa_shared_vgpr_count 0
		.amdhsa_exception_fp_ieee_invalid_op 0
		.amdhsa_exception_fp_denorm_src 0
		.amdhsa_exception_fp_ieee_div_zero 0
		.amdhsa_exception_fp_ieee_overflow 0
		.amdhsa_exception_fp_ieee_underflow 0
		.amdhsa_exception_fp_ieee_inexact 0
		.amdhsa_exception_int_div_zero 0
	.end_amdhsa_kernel
	.section	.text._ZN2at6native12_GLOBAL__N_135GammaBetaBackwardCUDAKernelTemplateIddLj32ELj1ELj8ELb1ELb1ELb0EEEvllPKT_S5_PKT0_S8_PS3_S9_,"axG",@progbits,_ZN2at6native12_GLOBAL__N_135GammaBetaBackwardCUDAKernelTemplateIddLj32ELj1ELj8ELb1ELb1ELb0EEEvllPKT_S5_PKT0_S8_PS3_S9_,comdat
.Lfunc_end39:
	.size	_ZN2at6native12_GLOBAL__N_135GammaBetaBackwardCUDAKernelTemplateIddLj32ELj1ELj8ELb1ELb1ELb0EEEvllPKT_S5_PKT0_S8_PS3_S9_, .Lfunc_end39-_ZN2at6native12_GLOBAL__N_135GammaBetaBackwardCUDAKernelTemplateIddLj32ELj1ELj8ELb1ELb1ELb0EEEvllPKT_S5_PKT0_S8_PS3_S9_
                                        ; -- End function
	.set _ZN2at6native12_GLOBAL__N_135GammaBetaBackwardCUDAKernelTemplateIddLj32ELj1ELj8ELb1ELb1ELb0EEEvllPKT_S5_PKT0_S8_PS3_S9_.num_vgpr, 60
	.set _ZN2at6native12_GLOBAL__N_135GammaBetaBackwardCUDAKernelTemplateIddLj32ELj1ELj8ELb1ELb1ELb0EEEvllPKT_S5_PKT0_S8_PS3_S9_.num_agpr, 0
	.set _ZN2at6native12_GLOBAL__N_135GammaBetaBackwardCUDAKernelTemplateIddLj32ELj1ELj8ELb1ELb1ELb0EEEvllPKT_S5_PKT0_S8_PS3_S9_.numbered_sgpr, 32
	.set _ZN2at6native12_GLOBAL__N_135GammaBetaBackwardCUDAKernelTemplateIddLj32ELj1ELj8ELb1ELb1ELb0EEEvllPKT_S5_PKT0_S8_PS3_S9_.num_named_barrier, 0
	.set _ZN2at6native12_GLOBAL__N_135GammaBetaBackwardCUDAKernelTemplateIddLj32ELj1ELj8ELb1ELb1ELb0EEEvllPKT_S5_PKT0_S8_PS3_S9_.private_seg_size, 0
	.set _ZN2at6native12_GLOBAL__N_135GammaBetaBackwardCUDAKernelTemplateIddLj32ELj1ELj8ELb1ELb1ELb0EEEvllPKT_S5_PKT0_S8_PS3_S9_.uses_vcc, 1
	.set _ZN2at6native12_GLOBAL__N_135GammaBetaBackwardCUDAKernelTemplateIddLj32ELj1ELj8ELb1ELb1ELb0EEEvllPKT_S5_PKT0_S8_PS3_S9_.uses_flat_scratch, 0
	.set _ZN2at6native12_GLOBAL__N_135GammaBetaBackwardCUDAKernelTemplateIddLj32ELj1ELj8ELb1ELb1ELb0EEEvllPKT_S5_PKT0_S8_PS3_S9_.has_dyn_sized_stack, 0
	.set _ZN2at6native12_GLOBAL__N_135GammaBetaBackwardCUDAKernelTemplateIddLj32ELj1ELj8ELb1ELb1ELb0EEEvllPKT_S5_PKT0_S8_PS3_S9_.has_recursion, 0
	.set _ZN2at6native12_GLOBAL__N_135GammaBetaBackwardCUDAKernelTemplateIddLj32ELj1ELj8ELb1ELb1ELb0EEEvllPKT_S5_PKT0_S8_PS3_S9_.has_indirect_call, 0
	.section	.AMDGPU.csdata,"",@progbits
; Kernel info:
; codeLenInByte = 1752
; TotalNumSgprs: 34
; NumVgprs: 60
; ScratchSize: 0
; MemoryBound: 0
; FloatMode: 240
; IeeeMode: 1
; LDSByteSize: 0 bytes/workgroup (compile time only)
; SGPRBlocks: 0
; VGPRBlocks: 7
; NumSGPRsForWavesPerEU: 34
; NumVGPRsForWavesPerEU: 60
; Occupancy: 16
; WaveLimiterHint : 0
; COMPUTE_PGM_RSRC2:SCRATCH_EN: 0
; COMPUTE_PGM_RSRC2:USER_SGPR: 6
; COMPUTE_PGM_RSRC2:TRAP_HANDLER: 0
; COMPUTE_PGM_RSRC2:TGID_X_EN: 1
; COMPUTE_PGM_RSRC2:TGID_Y_EN: 1
; COMPUTE_PGM_RSRC2:TGID_Z_EN: 0
; COMPUTE_PGM_RSRC2:TIDIG_COMP_CNT: 1
	.section	.text._ZN2at6native12_GLOBAL__N_135GammaBetaBackwardCUDAKernelTemplateIddLj32ELj1ELj8ELb1ELb0ELb0EEEvllPKT_S5_PKT0_S8_PS3_S9_,"axG",@progbits,_ZN2at6native12_GLOBAL__N_135GammaBetaBackwardCUDAKernelTemplateIddLj32ELj1ELj8ELb1ELb0ELb0EEEvllPKT_S5_PKT0_S8_PS3_S9_,comdat
	.globl	_ZN2at6native12_GLOBAL__N_135GammaBetaBackwardCUDAKernelTemplateIddLj32ELj1ELj8ELb1ELb0ELb0EEEvllPKT_S5_PKT0_S8_PS3_S9_ ; -- Begin function _ZN2at6native12_GLOBAL__N_135GammaBetaBackwardCUDAKernelTemplateIddLj32ELj1ELj8ELb1ELb0ELb0EEEvllPKT_S5_PKT0_S8_PS3_S9_
	.p2align	8
	.type	_ZN2at6native12_GLOBAL__N_135GammaBetaBackwardCUDAKernelTemplateIddLj32ELj1ELj8ELb1ELb0ELb0EEEvllPKT_S5_PKT0_S8_PS3_S9_,@function
_ZN2at6native12_GLOBAL__N_135GammaBetaBackwardCUDAKernelTemplateIddLj32ELj1ELj8ELb1ELb0ELb0EEEvllPKT_S5_PKT0_S8_PS3_S9_: ; @_ZN2at6native12_GLOBAL__N_135GammaBetaBackwardCUDAKernelTemplateIddLj32ELj1ELj8ELb1ELb0ELb0EEEvllPKT_S5_PKT0_S8_PS3_S9_
; %bb.0:
	s_clause 0x1
	s_load_dwordx8 s[8:15], s[4:5], 0x0
	s_load_dwordx4 s[16:19], s[4:5], 0x20
	s_mov_b32 s0, s7
	s_lshl_b32 s7, s6, 5
	s_mov_b32 s21, 0
	s_or_b32 s20, s7, 31
	s_waitcnt lgkmcnt(0)
	v_cmp_le_i64_e64 s1, s[10:11], s[20:21]
	s_lshl_b32 s20, s0, 3
	v_cmp_gt_i64_e64 s28, s[8:9], s[20:21]
	s_and_b32 vcc_lo, exec_lo, s1
	v_cndmask_b32_e64 v2, 0, 1, s28
	v_cmp_ne_u32_e64 s1, 1, v2
	s_cbranch_vccz .LBB40_48
; %bb.1:
	v_mov_b32_e32 v35, 0
	v_mov_b32_e32 v37, 0
	;; [unrolled: 1-line block ×4, first 2 shown]
	s_and_b32 vcc_lo, exec_lo, s1
	s_cbranch_vccnz .LBB40_49
; %bb.2:
	v_lshlrev_b32_e32 v47, 3, v1
	v_mov_b32_e32 v2, 0
	v_add_nc_u32_e32 v3, s7, v0
	s_load_dword s2, s[4:5], 0x44
	s_add_u32 s22, s4, 64
	v_add_co_u32 v11, s1, v47, s20
	v_add_co_ci_u32_e64 v12, null, 0, 0, s1
	v_mov_b32_e32 v4, v2
	v_mul_lo_u32 v7, s11, v11
	v_mad_u64_u32 v[5:6], null, s10, v11, 0
	v_mul_lo_u32 v8, s10, v12
	v_cmp_gt_i64_e64 s1, s[10:11], v[3:4]
	v_lshlrev_b64 v[39:40], 3, v[3:4]
	s_addc_u32 s23, s5, 0
	v_mov_b32_e32 v37, 0
	v_mov_b32_e32 v35, 0
	;; [unrolled: 1-line block ×4, first 2 shown]
	v_add3_u32 v6, v6, v8, v7
	v_add_co_u32 v7, vcc_lo, v11, 7
	v_add_co_ci_u32_e64 v8, null, 0, v12, vcc_lo
	v_add_co_u32 v9, vcc_lo, v11, 6
	v_add_co_ci_u32_e64 v10, null, 0, v12, vcc_lo
	v_lshlrev_b64 v[3:4], 3, v[5:6]
	v_mul_lo_u32 v13, s11, v7
	v_mul_lo_u32 v14, s10, v8
	v_mad_u64_u32 v[7:8], null, s10, v7, 0
	v_mul_lo_u32 v15, s11, v9
	v_mul_lo_u32 v16, s10, v10
	v_mad_u64_u32 v[9:10], null, s10, v9, 0
	v_add_co_u32 v49, vcc_lo, s12, v3
	v_add_co_ci_u32_e64 v50, null, s13, v4, vcc_lo
	v_add_co_u32 v51, vcc_lo, s14, v3
	v_add3_u32 v8, v8, v14, v13
	v_add_co_ci_u32_e64 v52, null, s15, v4, vcc_lo
	v_add_co_u32 v13, vcc_lo, v11, 5
	v_add3_u32 v10, v10, v16, v15
	v_add_co_ci_u32_e64 v14, null, 0, v12, vcc_lo
	v_lshlrev_b64 v[3:4], 3, v[7:8]
	v_mul_lo_u32 v15, s11, v13
	v_lshlrev_b64 v[7:8], 3, v[9:10]
	v_mul_lo_u32 v14, s10, v14
	v_mad_u64_u32 v[9:10], null, s10, v13, 0
	v_add_co_u32 v53, vcc_lo, s12, v3
	v_add_co_ci_u32_e64 v54, null, s13, v4, vcc_lo
	v_add_co_u32 v55, vcc_lo, s14, v3
	s_waitcnt lgkmcnt(0)
	s_lshl_b32 s29, s2, 3
	v_add_co_ci_u32_e64 v56, null, s15, v4, vcc_lo
	v_add_co_u32 v57, vcc_lo, s12, v7
	v_add3_u32 v10, v10, v14, v15
	s_mul_i32 s2, s11, s29
	s_mul_hi_u32 s3, s10, s29
	v_add_co_ci_u32_e64 v58, null, s13, v8, vcc_lo
	v_add_co_u32 v13, vcc_lo, v11, 4
	s_add_i32 s25, s3, s2
	v_add_co_u32 v59, s2, s14, v7
	v_add_co_ci_u32_e64 v7, null, 0, v12, vcc_lo
	v_lshlrev_b64 v[3:4], 3, v[9:10]
	v_add_co_u32 v9, vcc_lo, v11, 3
	v_add_co_ci_u32_e64 v10, null, 0, v12, vcc_lo
	v_add_co_ci_u32_e64 v60, null, s15, v8, s2
	v_mul_lo_u32 v14, s11, v13
	v_mul_lo_u32 v15, s10, v7
	v_mad_u64_u32 v[7:8], null, s10, v13, 0
	v_mul_lo_u32 v13, s11, v9
	v_mul_lo_u32 v16, s10, v10
	v_mad_u64_u32 v[9:10], null, s10, v9, 0
	v_add_co_u32 v61, vcc_lo, s12, v3
	v_add_co_ci_u32_e64 v62, null, s13, v4, vcc_lo
	v_add3_u32 v8, v8, v15, v14
	v_add_co_u32 v63, vcc_lo, s14, v3
	v_add_co_ci_u32_e64 v64, null, s15, v4, vcc_lo
	v_add_co_u32 v11, vcc_lo, v11, 2
	v_add3_u32 v10, v10, v16, v13
	v_add_co_ci_u32_e64 v12, null, 0, v12, vcc_lo
	v_lshlrev_b64 v[3:4], 3, v[7:8]
	v_mul_lo_u32 v13, s11, v11
	v_lshlrev_b64 v[7:8], 3, v[9:10]
	v_mul_lo_u32 v12, s10, v12
	v_mad_u64_u32 v[9:10], null, s10, v11, 0
	v_add_co_u32 v65, vcc_lo, s12, v3
	v_add_co_ci_u32_e64 v66, null, s13, v4, vcc_lo
	v_add_co_u32 v67, vcc_lo, s14, v3
	v_add_co_ci_u32_e64 v68, null, s15, v4, vcc_lo
	;; [unrolled: 2-line block ×3, first 2 shown]
	v_add3_u32 v10, v10, v12, v13
	v_add_co_u32 v71, vcc_lo, s14, v7
	v_add_co_ci_u32_e64 v72, null, s15, v8, vcc_lo
	v_add_co_u32 v5, vcc_lo, v5, s10
	v_add_co_ci_u32_e64 v6, null, s11, v6, vcc_lo
	v_lshlrev_b64 v[3:4], 3, v[9:10]
	v_mov_b32_e32 v36, 0
	s_mul_i32 s24, s10, s29
	v_lshlrev_b64 v[5:6], 3, v[5:6]
	s_lshl_b64 s[2:3], s[24:25], 3
	s_mov_b64 s[24:25], 7
	v_add_co_u32 v73, vcc_lo, s12, v3
	v_add_co_ci_u32_e64 v74, null, s13, v4, vcc_lo
	v_add_co_u32 v75, vcc_lo, s14, v3
	v_add_co_ci_u32_e64 v76, null, s15, v4, vcc_lo
	;; [unrolled: 2-line block ×4, first 2 shown]
	s_mov_b64 s[26:27], s[20:21]
	s_branch .LBB40_5
.LBB40_3:                               ;   in Loop: Header=BB40_5 Depth=1
	s_or_b32 exec_lo, exec_lo, s30
	s_waitcnt vmcnt(1)
	ds_bpermute_b32 v41, v2, v43
	ds_bpermute_b32 v42, v2, v44
	ds_bpermute_b32 v81, v2, v43 offset:4
	ds_bpermute_b32 v82, v2, v44 offset:4
	s_waitcnt vmcnt(0) lgkmcnt(2)
	v_add_f64 v[19:20], v[19:20], -v[41:42]
	ds_bpermute_b32 v41, v2, v43 offset:8
	s_waitcnt lgkmcnt(1)
	v_add_f64 v[21:22], v[21:22], -v[81:82]
	ds_bpermute_b32 v42, v2, v44 offset:8
	ds_bpermute_b32 v81, v2, v45
	ds_bpermute_b32 v82, v2, v46
	v_mul_f64 v[19:20], v[3:4], v[19:20]
	v_add_f64 v[3:4], v[35:36], v[3:4]
	s_waitcnt lgkmcnt(2)
	v_add_f64 v[23:24], v[23:24], -v[41:42]
	v_mul_f64 v[21:22], v[5:6], v[21:22]
	ds_bpermute_b32 v35, v2, v43 offset:12
	ds_bpermute_b32 v36, v2, v44 offset:12
	;; [unrolled: 1-line block ×4, first 2 shown]
	s_waitcnt lgkmcnt(4)
	v_fma_f64 v[19:20], v[19:20], v[81:82], v[37:38]
	ds_bpermute_b32 v37, v2, v45 offset:4
	ds_bpermute_b32 v38, v2, v46 offset:4
	s_waitcnt lgkmcnt(4)
	v_add_f64 v[25:26], v[25:26], -v[35:36]
	v_add_f64 v[3:4], v[5:6], v[3:4]
	v_mul_f64 v[5:6], v[7:8], v[23:24]
	s_waitcnt lgkmcnt(2)
	v_add_f64 v[27:28], v[27:28], -v[41:42]
	ds_bpermute_b32 v23, v2, v43 offset:20
	ds_bpermute_b32 v24, v2, v44 offset:20
	s_waitcnt lgkmcnt(2)
	v_fma_f64 v[19:20], v[21:22], v[37:38], v[19:20]
	ds_bpermute_b32 v21, v2, v45 offset:8
	ds_bpermute_b32 v22, v2, v46 offset:8
	v_mul_f64 v[25:26], v[9:10], v[25:26]
	v_add_f64 v[3:4], v[7:8], v[3:4]
	ds_bpermute_b32 v7, v2, v45 offset:12
	ds_bpermute_b32 v8, v2, v46 offset:12
	s_waitcnt lgkmcnt(2)
	v_fma_f64 v[5:6], v[5:6], v[21:22], v[19:20]
	v_add_f64 v[21:22], v[29:30], -v[23:24]
	v_mul_f64 v[23:24], v[11:12], v[27:28]
	ds_bpermute_b32 v19, v2, v43 offset:24
	v_add_f64 v[3:4], v[9:10], v[3:4]
	ds_bpermute_b32 v20, v2, v44 offset:24
	s_waitcnt lgkmcnt(2)
	v_fma_f64 v[5:6], v[25:26], v[7:8], v[5:6]
	ds_bpermute_b32 v7, v2, v45 offset:16
	ds_bpermute_b32 v8, v2, v46 offset:16
	s_waitcnt lgkmcnt(2)
	v_add_f64 v[9:10], v[31:32], -v[19:20]
	v_mul_f64 v[19:20], v[13:14], v[21:22]
	v_add_f64 v[3:4], v[11:12], v[3:4]
	ds_bpermute_b32 v11, v2, v45 offset:24
	ds_bpermute_b32 v12, v2, v46 offset:24
	s_waitcnt lgkmcnt(2)
	v_fma_f64 v[5:6], v[23:24], v[7:8], v[5:6]
	ds_bpermute_b32 v7, v2, v45 offset:20
	ds_bpermute_b32 v8, v2, v46 offset:20
	v_mul_f64 v[9:10], v[15:16], v[9:10]
	ds_bpermute_b32 v45, v2, v45 offset:28
	v_add_f64 v[3:4], v[13:14], v[3:4]
	ds_bpermute_b32 v46, v2, v46 offset:28
	s_waitcnt lgkmcnt(2)
	v_fma_f64 v[7:8], v[19:20], v[7:8], v[5:6]
	v_add_f64 v[5:6], v[15:16], v[3:4]
	v_fma_f64 v[3:4], v[9:10], v[11:12], v[7:8]
	ds_bpermute_b32 v7, v2, v43 offset:28
	ds_bpermute_b32 v8, v2, v44 offset:28
.LBB40_4:                               ;   in Loop: Header=BB40_5 Depth=1
	s_waitcnt lgkmcnt(0)
	v_add_f64 v[7:8], v[33:34], -v[7:8]
	v_add_f64 v[35:36], v[5:6], v[17:18]
	v_add_co_u32 v49, vcc_lo, v49, s2
	v_add_co_ci_u32_e64 v50, null, s3, v50, vcc_lo
	v_add_co_u32 v51, vcc_lo, v51, s2
	v_add_co_ci_u32_e64 v52, null, s3, v52, vcc_lo
	v_add_co_u32 v53, vcc_lo, v53, s2
	v_add_co_ci_u32_e64 v54, null, s3, v54, vcc_lo
	v_add_co_u32 v55, vcc_lo, v55, s2
	v_add_co_ci_u32_e64 v56, null, s3, v56, vcc_lo
	v_add_co_u32 v57, vcc_lo, v57, s2
	v_add_co_ci_u32_e64 v58, null, s3, v58, vcc_lo
	v_mul_f64 v[5:6], v[17:18], v[7:8]
	v_add_co_u32 v59, vcc_lo, v59, s2
	v_add_co_ci_u32_e64 v60, null, s3, v60, vcc_lo
	v_add_co_u32 v61, vcc_lo, v61, s2
	v_add_co_ci_u32_e64 v62, null, s3, v62, vcc_lo
	;; [unrolled: 2-line block ×5, first 2 shown]
	v_add_co_u32 v69, vcc_lo, v69, s2
	v_fma_f64 v[37:38], v[5:6], v[45:46], v[3:4]
	v_add_co_ci_u32_e64 v70, null, s3, v70, vcc_lo
	v_add_co_u32 v71, vcc_lo, v71, s2
	v_add_co_ci_u32_e64 v72, null, s3, v72, vcc_lo
	v_add_co_u32 v73, vcc_lo, v73, s2
	;; [unrolled: 2-line block ×3, first 2 shown]
	s_add_u32 s26, s26, s29
	v_add_co_ci_u32_e64 v76, null, s3, v76, vcc_lo
	v_add_co_u32 v77, vcc_lo, v77, s2
	s_addc_u32 s27, s27, 0
	v_add_co_ci_u32_e64 v78, null, s3, v78, vcc_lo
	v_add_co_u32 v79, vcc_lo, v79, s2
	v_cmp_lt_i64_e64 s30, s[26:27], s[8:9]
	v_add_co_ci_u32_e64 v80, null, s3, v80, vcc_lo
	v_add_co_u32 v47, vcc_lo, v47, s29
	v_add_co_ci_u32_e64 v48, null, 0, v48, vcc_lo
	s_add_u32 s24, s24, s29
	s_addc_u32 s25, 0, s25
	s_and_b32 vcc_lo, exec_lo, s30
	s_cbranch_vccz .LBB40_49
.LBB40_5:                               ; =>This Inner Loop Header: Depth=1
	s_add_u32 s30, s20, s24
	s_addc_u32 s31, 0, s25
	v_add_co_u32 v41, vcc_lo, s20, v47
	v_cmp_ge_i64_e64 s30, s[30:31], s[8:9]
	v_add_co_ci_u32_e64 v42, null, 0, v48, vcc_lo
                                        ; implicit-def: $vgpr3_vgpr4_vgpr5_vgpr6_vgpr7_vgpr8_vgpr9_vgpr10_vgpr11_vgpr12_vgpr13_vgpr14_vgpr15_vgpr16_vgpr17_vgpr18
                                        ; implicit-def: $vgpr45_vgpr46
                                        ; implicit-def: $vgpr19_vgpr20_vgpr21_vgpr22_vgpr23_vgpr24_vgpr25_vgpr26_vgpr27_vgpr28_vgpr29_vgpr30_vgpr31_vgpr32_vgpr33_vgpr34
                                        ; implicit-def: $vgpr7
                                        ; implicit-def: $vgpr5_vgpr6
                                        ; implicit-def: $vgpr3_vgpr4
	s_and_b32 vcc_lo, exec_lo, s30
	s_mov_b32 s30, -1
	s_cbranch_vccz .LBB40_27
; %bb.6:                                ;   in Loop: Header=BB40_5 Depth=1
	s_load_dword s30, s[22:23], 0xc
	v_mov_b32_e32 v45, 0
	v_mov_b32_e32 v43, 0
	;; [unrolled: 1-line block ×4, first 2 shown]
	s_waitcnt lgkmcnt(0)
	s_and_b32 s30, s30, 0xffff
	v_mad_u32_u24 v3, v1, s30, v0
	s_mov_b32 s30, exec_lo
	v_and_b32_e32 v3, 31, v3
	v_cmpx_gt_u32_e32 8, v3
	s_cbranch_execz .LBB40_10
; %bb.7:                                ;   in Loop: Header=BB40_5 Depth=1
	v_add_co_u32 v3, vcc_lo, v41, v3
	v_mov_b32_e32 v43, 0
	v_mov_b32_e32 v45, 0
	v_add_co_ci_u32_e64 v4, null, 0, v42, vcc_lo
	v_mov_b32_e32 v44, 0
	v_mov_b32_e32 v46, 0
	s_mov_b32 s31, exec_lo
	v_cmpx_gt_i64_e64 s[8:9], v[3:4]
	s_cbranch_execz .LBB40_9
; %bb.8:                                ;   in Loop: Header=BB40_5 Depth=1
	v_lshlrev_b64 v[3:4], 3, v[3:4]
	v_add_co_u32 v5, vcc_lo, s16, v3
	v_add_co_ci_u32_e64 v6, null, s17, v4, vcc_lo
	v_add_co_u32 v3, vcc_lo, s18, v3
	v_add_co_ci_u32_e64 v4, null, s19, v4, vcc_lo
	global_load_dwordx2 v[43:44], v[5:6], off
	global_load_dwordx2 v[45:46], v[3:4], off
.LBB40_9:                               ;   in Loop: Header=BB40_5 Depth=1
	s_or_b32 exec_lo, exec_lo, s31
.LBB40_10:                              ;   in Loop: Header=BB40_5 Depth=1
	s_or_b32 exec_lo, exec_lo, s30
	v_mov_b32_e32 v17, v2
	v_mov_b32_e32 v3, v2
	v_mov_b32_e32 v4, v2
	v_mov_b32_e32 v5, v2
	v_mov_b32_e32 v6, v2
	v_mov_b32_e32 v7, v2
	v_mov_b32_e32 v8, v2
	v_mov_b32_e32 v9, v2
	v_mov_b32_e32 v10, v2
	v_mov_b32_e32 v11, v2
	v_mov_b32_e32 v12, v2
	v_mov_b32_e32 v13, v2
	v_mov_b32_e32 v14, v2
	v_mov_b32_e32 v15, v2
	v_mov_b32_e32 v16, v2
	v_cmp_gt_i64_e32 vcc_lo, s[8:9], v[41:42]
	v_mov_b32_e32 v34, v17
	v_mov_b32_e32 v31, v14
	;; [unrolled: 1-line block ×32, first 2 shown]
	s_and_b32 s31, s1, vcc_lo
	s_and_saveexec_b32 s30, s31
	s_cbranch_execz .LBB40_12
; %bb.11:                               ;   in Loop: Header=BB40_5 Depth=1
	v_add_co_u32 v3, vcc_lo, v49, v39
	v_add_co_ci_u32_e64 v4, null, v50, v40, vcc_lo
	v_add_co_u32 v5, vcc_lo, v51, v39
	v_add_co_ci_u32_e64 v6, null, v52, v40, vcc_lo
	global_load_dwordx2 v[3:4], v[3:4], off
	global_load_dwordx2 v[19:20], v[5:6], off
	v_mov_b32_e32 v5, v2
	v_mov_b32_e32 v6, v2
	;; [unrolled: 1-line block ×28, first 2 shown]
.LBB40_12:                              ;   in Loop: Header=BB40_5 Depth=1
	s_or_b32 exec_lo, exec_lo, s30
	v_add_co_u32 v81, vcc_lo, v41, 1
	v_add_co_ci_u32_e64 v82, null, 0, v42, vcc_lo
	v_cmp_gt_i64_e32 vcc_lo, s[8:9], v[81:82]
	s_and_b32 s31, s1, vcc_lo
	s_and_saveexec_b32 s30, s31
	s_cbranch_execz .LBB40_14
; %bb.13:                               ;   in Loop: Header=BB40_5 Depth=1
	v_add_co_u32 v5, vcc_lo, v77, v39
	v_add_co_ci_u32_e64 v6, null, v78, v40, vcc_lo
	v_add_co_u32 v21, vcc_lo, v79, v39
	v_add_co_ci_u32_e64 v22, null, v80, v40, vcc_lo
	global_load_dwordx2 v[5:6], v[5:6], off
	global_load_dwordx2 v[21:22], v[21:22], off
.LBB40_14:                              ;   in Loop: Header=BB40_5 Depth=1
	s_or_b32 exec_lo, exec_lo, s30
	v_add_co_u32 v81, vcc_lo, v41, 2
	v_add_co_ci_u32_e64 v82, null, 0, v42, vcc_lo
	v_cmp_gt_i64_e32 vcc_lo, s[8:9], v[81:82]
	s_and_b32 s31, s1, vcc_lo
	s_and_saveexec_b32 s30, s31
	s_cbranch_execz .LBB40_16
; %bb.15:                               ;   in Loop: Header=BB40_5 Depth=1
	v_add_co_u32 v7, vcc_lo, v73, v39
	v_add_co_ci_u32_e64 v8, null, v74, v40, vcc_lo
	v_add_co_u32 v23, vcc_lo, v75, v39
	v_add_co_ci_u32_e64 v24, null, v76, v40, vcc_lo
	global_load_dwordx2 v[7:8], v[7:8], off
	global_load_dwordx2 v[23:24], v[23:24], off
.LBB40_16:                              ;   in Loop: Header=BB40_5 Depth=1
	;; [unrolled: 15-line block ×7, first 2 shown]
	s_or_b32 exec_lo, exec_lo, s30
	s_waitcnt vmcnt(1)
	ds_bpermute_b32 v81, v2, v43
	ds_bpermute_b32 v82, v2, v44
	ds_bpermute_b32 v83, v2, v43 offset:4
	ds_bpermute_b32 v84, v2, v44 offset:4
	;; [unrolled: 1-line block ×4, first 2 shown]
	s_mov_b32 s30, 0
	s_waitcnt vmcnt(0) lgkmcnt(4)
	v_add_f64 v[19:20], v[19:20], -v[81:82]
	ds_bpermute_b32 v81, v2, v43 offset:8
	s_waitcnt lgkmcnt(3)
	v_add_f64 v[21:22], v[21:22], -v[83:84]
	ds_bpermute_b32 v82, v2, v44 offset:8
	ds_bpermute_b32 v83, v2, v45
	ds_bpermute_b32 v84, v2, v46
	s_waitcnt lgkmcnt(4)
	v_add_f64 v[25:26], v[25:26], -v[85:86]
	v_mul_f64 v[19:20], v[3:4], v[19:20]
	v_add_f64 v[3:4], v[35:36], v[3:4]
	s_waitcnt lgkmcnt(2)
	v_add_f64 v[23:24], v[23:24], -v[81:82]
	v_mul_f64 v[21:22], v[5:6], v[21:22]
	ds_bpermute_b32 v81, v2, v45 offset:4
	ds_bpermute_b32 v82, v2, v46 offset:4
	v_mul_f64 v[25:26], v[9:10], v[25:26]
	s_waitcnt lgkmcnt(2)
	v_fma_f64 v[19:20], v[19:20], v[83:84], v[37:38]
	v_add_f64 v[3:4], v[5:6], v[3:4]
	v_mul_f64 v[5:6], v[7:8], v[23:24]
	ds_bpermute_b32 v83, v2, v43 offset:16
	ds_bpermute_b32 v84, v2, v44 offset:16
	;; [unrolled: 1-line block ×4, first 2 shown]
	s_waitcnt lgkmcnt(4)
	v_fma_f64 v[19:20], v[21:22], v[81:82], v[19:20]
	ds_bpermute_b32 v21, v2, v45 offset:8
	ds_bpermute_b32 v22, v2, v46 offset:8
	s_waitcnt lgkmcnt(4)
	v_add_f64 v[27:28], v[27:28], -v[83:84]
	v_add_f64 v[3:4], v[7:8], v[3:4]
	ds_bpermute_b32 v7, v2, v45 offset:12
	ds_bpermute_b32 v8, v2, v46 offset:12
	s_waitcnt lgkmcnt(2)
	v_fma_f64 v[5:6], v[5:6], v[21:22], v[19:20]
	v_add_f64 v[21:22], v[29:30], -v[23:24]
	ds_bpermute_b32 v19, v2, v43 offset:24
	v_mul_f64 v[23:24], v[11:12], v[27:28]
	v_add_f64 v[3:4], v[9:10], v[3:4]
	ds_bpermute_b32 v20, v2, v44 offset:24
	s_waitcnt lgkmcnt(2)
	v_fma_f64 v[5:6], v[25:26], v[7:8], v[5:6]
	ds_bpermute_b32 v7, v2, v45 offset:16
	ds_bpermute_b32 v8, v2, v46 offset:16
	s_waitcnt lgkmcnt(2)
	v_add_f64 v[9:10], v[31:32], -v[19:20]
	v_mul_f64 v[19:20], v[13:14], v[21:22]
	v_add_f64 v[3:4], v[11:12], v[3:4]
	ds_bpermute_b32 v11, v2, v45 offset:24
	ds_bpermute_b32 v12, v2, v46 offset:24
	s_waitcnt lgkmcnt(2)
	v_fma_f64 v[5:6], v[23:24], v[7:8], v[5:6]
	ds_bpermute_b32 v7, v2, v45 offset:20
	ds_bpermute_b32 v8, v2, v46 offset:20
	v_mul_f64 v[9:10], v[15:16], v[9:10]
	ds_bpermute_b32 v45, v2, v45 offset:28
	v_add_f64 v[3:4], v[13:14], v[3:4]
	ds_bpermute_b32 v46, v2, v46 offset:28
	s_waitcnt lgkmcnt(2)
	v_fma_f64 v[7:8], v[19:20], v[7:8], v[5:6]
	v_add_f64 v[5:6], v[15:16], v[3:4]
	v_fma_f64 v[3:4], v[9:10], v[11:12], v[7:8]
	ds_bpermute_b32 v7, v2, v43 offset:28
	ds_bpermute_b32 v8, v2, v44 offset:28
.LBB40_27:                              ;   in Loop: Header=BB40_5 Depth=1
	s_and_b32 vcc_lo, exec_lo, s30
	s_cbranch_vccz .LBB40_4
; %bb.28:                               ;   in Loop: Header=BB40_5 Depth=1
	s_load_dword s30, s[22:23], 0x0
	s_waitcnt lgkmcnt(0)
	v_mov_b32_e32 v45, 0
	v_mov_b32_e32 v43, 0
	;; [unrolled: 1-line block ×4, first 2 shown]
	s_cmp_lt_u32 s6, s30
	s_cselect_b32 s30, 12, 18
	s_add_u32 s30, s22, s30
	s_addc_u32 s31, s23, 0
	global_load_ushort v3, v2, s[30:31]
	s_mov_b32 s30, exec_lo
	s_waitcnt vmcnt(0)
	v_mad_u32_u24 v3, v1, v3, v0
	v_and_b32_e32 v3, 31, v3
	v_cmpx_gt_u32_e32 8, v3
	s_cbranch_execz .LBB40_32
; %bb.29:                               ;   in Loop: Header=BB40_5 Depth=1
	v_add_co_u32 v3, vcc_lo, v41, v3
	v_mov_b32_e32 v43, 0
	v_mov_b32_e32 v45, 0
	v_add_co_ci_u32_e64 v4, null, 0, v42, vcc_lo
	v_mov_b32_e32 v44, 0
	v_mov_b32_e32 v46, 0
	s_mov_b32 s31, exec_lo
	v_cmpx_gt_i64_e64 s[8:9], v[3:4]
	s_cbranch_execz .LBB40_31
; %bb.30:                               ;   in Loop: Header=BB40_5 Depth=1
	v_lshlrev_b64 v[3:4], 3, v[3:4]
	v_add_co_u32 v5, vcc_lo, s16, v3
	v_add_co_ci_u32_e64 v6, null, s17, v4, vcc_lo
	v_add_co_u32 v3, vcc_lo, s18, v3
	v_add_co_ci_u32_e64 v4, null, s19, v4, vcc_lo
	global_load_dwordx2 v[43:44], v[5:6], off
	global_load_dwordx2 v[45:46], v[3:4], off
.LBB40_31:                              ;   in Loop: Header=BB40_5 Depth=1
	s_or_b32 exec_lo, exec_lo, s31
.LBB40_32:                              ;   in Loop: Header=BB40_5 Depth=1
	s_or_b32 exec_lo, exec_lo, s30
	v_mov_b32_e32 v17, v2
	v_mov_b32_e32 v3, v2
	;; [unrolled: 1-line block ×47, first 2 shown]
	s_and_saveexec_b32 s30, s1
	s_cbranch_execnz .LBB40_40
; %bb.33:                               ;   in Loop: Header=BB40_5 Depth=1
	s_or_b32 exec_lo, exec_lo, s30
	s_and_saveexec_b32 s30, s1
	s_cbranch_execnz .LBB40_41
.LBB40_34:                              ;   in Loop: Header=BB40_5 Depth=1
	s_or_b32 exec_lo, exec_lo, s30
	s_and_saveexec_b32 s30, s1
	s_cbranch_execnz .LBB40_42
.LBB40_35:                              ;   in Loop: Header=BB40_5 Depth=1
	s_or_b32 exec_lo, exec_lo, s30
	s_and_saveexec_b32 s30, s1
	s_cbranch_execnz .LBB40_43
.LBB40_36:                              ;   in Loop: Header=BB40_5 Depth=1
	s_or_b32 exec_lo, exec_lo, s30
	s_and_saveexec_b32 s30, s1
	s_cbranch_execnz .LBB40_44
.LBB40_37:                              ;   in Loop: Header=BB40_5 Depth=1
	s_or_b32 exec_lo, exec_lo, s30
	s_and_saveexec_b32 s30, s1
	s_cbranch_execnz .LBB40_45
.LBB40_38:                              ;   in Loop: Header=BB40_5 Depth=1
	s_or_b32 exec_lo, exec_lo, s30
	s_and_saveexec_b32 s30, s1
	s_cbranch_execnz .LBB40_46
.LBB40_39:                              ;   in Loop: Header=BB40_5 Depth=1
	s_or_b32 exec_lo, exec_lo, s30
	s_and_saveexec_b32 s30, s1
	s_cbranch_execz .LBB40_3
	s_branch .LBB40_47
.LBB40_40:                              ;   in Loop: Header=BB40_5 Depth=1
	v_add_co_u32 v3, vcc_lo, v49, v39
	v_add_co_ci_u32_e64 v4, null, v50, v40, vcc_lo
	v_add_co_u32 v5, vcc_lo, v51, v39
	v_add_co_ci_u32_e64 v6, null, v52, v40, vcc_lo
	global_load_dwordx2 v[3:4], v[3:4], off
	global_load_dwordx2 v[19:20], v[5:6], off
	v_mov_b32_e32 v5, v2
	v_mov_b32_e32 v6, v2
	;; [unrolled: 1-line block ×28, first 2 shown]
	s_or_b32 exec_lo, exec_lo, s30
	s_and_saveexec_b32 s30, s1
	s_cbranch_execz .LBB40_34
.LBB40_41:                              ;   in Loop: Header=BB40_5 Depth=1
	v_add_co_u32 v5, vcc_lo, v77, v39
	v_add_co_ci_u32_e64 v6, null, v78, v40, vcc_lo
	v_add_co_u32 v21, vcc_lo, v79, v39
	v_add_co_ci_u32_e64 v22, null, v80, v40, vcc_lo
	global_load_dwordx2 v[5:6], v[5:6], off
	global_load_dwordx2 v[21:22], v[21:22], off
	s_or_b32 exec_lo, exec_lo, s30
	s_and_saveexec_b32 s30, s1
	s_cbranch_execz .LBB40_35
.LBB40_42:                              ;   in Loop: Header=BB40_5 Depth=1
	v_add_co_u32 v7, vcc_lo, v73, v39
	v_add_co_ci_u32_e64 v8, null, v74, v40, vcc_lo
	v_add_co_u32 v23, vcc_lo, v75, v39
	v_add_co_ci_u32_e64 v24, null, v76, v40, vcc_lo
	global_load_dwordx2 v[7:8], v[7:8], off
	global_load_dwordx2 v[23:24], v[23:24], off
	s_or_b32 exec_lo, exec_lo, s30
	s_and_saveexec_b32 s30, s1
	s_cbranch_execz .LBB40_36
.LBB40_43:                              ;   in Loop: Header=BB40_5 Depth=1
	v_add_co_u32 v9, vcc_lo, v69, v39
	v_add_co_ci_u32_e64 v10, null, v70, v40, vcc_lo
	v_add_co_u32 v25, vcc_lo, v71, v39
	v_add_co_ci_u32_e64 v26, null, v72, v40, vcc_lo
	global_load_dwordx2 v[9:10], v[9:10], off
	global_load_dwordx2 v[25:26], v[25:26], off
	s_or_b32 exec_lo, exec_lo, s30
	s_and_saveexec_b32 s30, s1
	s_cbranch_execz .LBB40_37
.LBB40_44:                              ;   in Loop: Header=BB40_5 Depth=1
	v_add_co_u32 v11, vcc_lo, v65, v39
	v_add_co_ci_u32_e64 v12, null, v66, v40, vcc_lo
	v_add_co_u32 v27, vcc_lo, v67, v39
	v_add_co_ci_u32_e64 v28, null, v68, v40, vcc_lo
	global_load_dwordx2 v[11:12], v[11:12], off
	global_load_dwordx2 v[27:28], v[27:28], off
	s_or_b32 exec_lo, exec_lo, s30
	s_and_saveexec_b32 s30, s1
	s_cbranch_execz .LBB40_38
.LBB40_45:                              ;   in Loop: Header=BB40_5 Depth=1
	v_add_co_u32 v13, vcc_lo, v61, v39
	v_add_co_ci_u32_e64 v14, null, v62, v40, vcc_lo
	v_add_co_u32 v29, vcc_lo, v63, v39
	v_add_co_ci_u32_e64 v30, null, v64, v40, vcc_lo
	global_load_dwordx2 v[13:14], v[13:14], off
	global_load_dwordx2 v[29:30], v[29:30], off
	s_or_b32 exec_lo, exec_lo, s30
	s_and_saveexec_b32 s30, s1
	s_cbranch_execz .LBB40_39
.LBB40_46:                              ;   in Loop: Header=BB40_5 Depth=1
	v_add_co_u32 v15, vcc_lo, v57, v39
	v_add_co_ci_u32_e64 v16, null, v58, v40, vcc_lo
	v_add_co_u32 v31, vcc_lo, v59, v39
	v_add_co_ci_u32_e64 v32, null, v60, v40, vcc_lo
	global_load_dwordx2 v[15:16], v[15:16], off
	global_load_dwordx2 v[31:32], v[31:32], off
	s_or_b32 exec_lo, exec_lo, s30
	s_and_saveexec_b32 s30, s1
	s_cbranch_execz .LBB40_3
.LBB40_47:                              ;   in Loop: Header=BB40_5 Depth=1
	v_add_co_u32 v17, vcc_lo, v53, v39
	v_add_co_ci_u32_e64 v18, null, v54, v40, vcc_lo
	v_add_co_u32 v33, vcc_lo, v55, v39
	v_add_co_ci_u32_e64 v34, null, v56, v40, vcc_lo
	global_load_dwordx2 v[17:18], v[17:18], off
	global_load_dwordx2 v[33:34], v[33:34], off
	s_branch .LBB40_3
.LBB40_48:
                                        ; implicit-def: $vgpr35_vgpr36
                                        ; implicit-def: $vgpr37_vgpr38
	s_branch .LBB40_50
.LBB40_49:
	s_cbranch_execnz .LBB40_81
.LBB40_50:
	v_mov_b32_e32 v35, 0
	v_mov_b32_e32 v37, 0
	;; [unrolled: 1-line block ×4, first 2 shown]
	s_andn2_b32 vcc_lo, exec_lo, s28
	s_cbranch_vccnz .LBB40_81
; %bb.51:
	v_lshlrev_b32_e32 v75, 3, v1
	v_lshlrev_b32_e32 v4, 6, v1
	s_add_u32 s2, s4, 64
	s_addc_u32 s3, s5, 0
	s_lshl_b64 s[22:23], s[20:21], 3
	v_add_co_u32 v10, s1, v75, s20
	v_add_co_ci_u32_e64 v11, null, 0, 0, s1
	v_add_co_u32 v7, s1, v4, s22
	v_mul_lo_u32 v5, s11, v10
	v_mul_lo_u32 v6, s10, v11
	v_mad_u64_u32 v[2:3], null, s10, v10, 0
	v_add_co_ci_u32_e64 v8, null, 0, s23, s1
	v_mov_b32_e32 v37, 0
	v_mov_b32_e32 v35, 0
	;; [unrolled: 1-line block ×4, first 2 shown]
	v_add3_u32 v3, v3, v6, v5
	v_add_co_u32 v6, vcc_lo, v7, 8
	v_add_co_ci_u32_e64 v9, null, 0, v8, vcc_lo
	v_lshlrev_b64 v[4:5], 3, v[2:3]
	v_mad_u64_u32 v[39:40], null, s10, v6, s[12:13]
	v_mul_lo_u32 v9, s10, v9
	v_mul_lo_u32 v12, s11, v6
	v_mad_u64_u32 v[53:54], null, s10, v6, s[14:15]
	v_add_co_u32 v76, vcc_lo, s12, v4
	v_add_co_ci_u32_e64 v77, null, s13, v5, vcc_lo
	v_add_co_u32 v78, vcc_lo, s14, v4
	v_add_co_ci_u32_e64 v79, null, s15, v5, vcc_lo
	;; [unrolled: 2-line block ×4, first 2 shown]
	v_add_co_u32 v16, vcc_lo, v7, 32
	v_mad_u64_u32 v[41:42], null, s10, v4, s[12:13]
	v_mul_lo_u32 v5, s10, v5
	v_mul_lo_u32 v15, s11, v4
	v_add_co_ci_u32_e64 v18, null, 0, v8, vcc_lo
	v_add_co_u32 v19, vcc_lo, v7, 40
	v_mad_u64_u32 v[55:56], null, s10, v4, s[14:15]
	v_add_co_ci_u32_e64 v20, null, 0, v8, vcc_lo
	v_add_co_u32 v22, vcc_lo, v7, 48
	v_add_co_ci_u32_e64 v24, null, 0, v8, vcc_lo
	v_add_co_u32 v7, vcc_lo, v7, 56
	v_add_co_ci_u32_e64 v8, null, 0, v8, vcc_lo
	v_add_co_u32 v4, vcc_lo, v10, 7
	v_add3_u32 v42, v15, v42, v5
	v_add3_u32 v56, v15, v56, v5
	v_add_co_ci_u32_e64 v5, null, 0, v11, vcc_lo
	v_add3_u32 v40, v12, v40, v9
	v_add3_u32 v54, v12, v54, v9
	v_mul_lo_u32 v6, s11, v4
	v_mul_lo_u32 v9, s10, v5
	v_mad_u64_u32 v[4:5], null, s10, v4, 0
	v_mad_u64_u32 v[51:52], null, s10, v7, s[12:13]
	v_mul_lo_u32 v8, s10, v8
	v_mul_lo_u32 v26, s11, v7
	v_mad_u64_u32 v[65:66], null, s10, v7, s[14:15]
	v_add3_u32 v5, v5, v9, v6
	v_add_co_u32 v6, vcc_lo, v10, 6
	v_add_co_ci_u32_e64 v7, null, 0, v11, vcc_lo
	v_mad_u64_u32 v[43:44], null, s10, v13, s[12:13]
	v_mul_lo_u32 v14, s10, v14
	v_mul_lo_u32 v17, s11, v13
	v_add3_u32 v52, v26, v52, v8
	v_mad_u64_u32 v[57:58], null, s10, v13, s[14:15]
	v_add3_u32 v66, v26, v66, v8
	v_mul_lo_u32 v8, s11, v6
	v_mul_lo_u32 v9, s10, v7
	v_mad_u64_u32 v[6:7], null, s10, v6, 0
	v_lshlrev_b64 v[4:5], 3, v[4:5]
	v_add_co_u32 v12, vcc_lo, v10, 5
	v_add_co_ci_u32_e64 v13, null, 0, v11, vcc_lo
	v_add3_u32 v44, v17, v44, v14
	v_add_co_u32 v80, vcc_lo, s12, v4
	v_add3_u32 v58, v17, v58, v14
	v_add3_u32 v7, v7, v9, v8
	v_mul_lo_u32 v14, s11, v12
	v_mul_lo_u32 v13, s10, v13
	v_mad_u64_u32 v[8:9], null, s10, v12, 0
	v_add_co_ci_u32_e64 v81, null, s13, v5, vcc_lo
	v_add_co_u32 v12, vcc_lo, v10, 4
	v_add_co_ci_u32_e64 v15, null, 0, v11, vcc_lo
	v_add_co_u32 v82, vcc_lo, s14, v4
	v_add_co_ci_u32_e64 v83, null, s15, v5, vcc_lo
	v_lshlrev_b64 v[4:5], 3, v[6:7]
	v_add3_u32 v9, v9, v13, v14
	v_mul_lo_u32 v13, s11, v12
	v_mul_lo_u32 v14, s10, v15
	v_mad_u64_u32 v[6:7], null, s10, v12, 0
	v_lshlrev_b64 v[8:9], 3, v[8:9]
	v_add_co_u32 v84, vcc_lo, s12, v4
	v_add_co_ci_u32_e64 v85, null, s13, v5, vcc_lo
	v_add_co_u32 v86, vcc_lo, s14, v4
	v_add3_u32 v7, v7, v14, v13
	v_add_co_ci_u32_e64 v87, null, s15, v5, vcc_lo
	v_add_co_u32 v88, vcc_lo, s12, v8
	v_add_co_ci_u32_e64 v89, null, s13, v9, vcc_lo
	v_lshlrev_b64 v[4:5], 3, v[6:7]
	v_add_co_u32 v6, vcc_lo, v10, 3
	v_add_co_ci_u32_e64 v7, null, 0, v11, vcc_lo
	v_add_co_u32 v90, s1, s14, v8
	v_add_co_u32 v8, vcc_lo, v10, 2
	v_add_co_ci_u32_e64 v91, null, s15, v9, s1
	v_mul_lo_u32 v12, s11, v6
	v_add_co_ci_u32_e64 v9, null, 0, v11, vcc_lo
	v_mul_lo_u32 v10, s10, v7
	v_mad_u64_u32 v[6:7], null, s10, v6, 0
	v_mul_lo_u32 v11, s11, v8
	v_mul_lo_u32 v13, s10, v9
	v_mad_u64_u32 v[8:9], null, s10, v8, 0
	v_add_co_u32 v92, vcc_lo, s12, v4
	v_add3_u32 v7, v7, v10, v12
	s_load_dword s1, s[4:5], 0x44
	v_add_co_ci_u32_e64 v93, null, s13, v5, vcc_lo
	v_add_co_u32 v94, vcc_lo, s14, v4
	v_add_co_ci_u32_e64 v95, null, s15, v5, vcc_lo
	v_lshlrev_b64 v[4:5], 3, v[6:7]
	v_add3_u32 v9, v9, v13, v11
	v_add_co_u32 v2, vcc_lo, v2, s10
	v_add_co_ci_u32_e64 v3, null, s11, v3, vcc_lo
	v_lshlrev_b64 v[6:7], 3, v[8:9]
	v_add_co_u32 v96, vcc_lo, s12, v4
	v_add_co_ci_u32_e64 v97, null, s13, v5, vcc_lo
	v_add_co_u32 v98, vcc_lo, s14, v4
	v_lshlrev_b64 v[3:4], 3, v[2:3]
	v_mov_b32_e32 v2, 0
	v_mad_u64_u32 v[45:46], null, s10, v16, s[12:13]
	v_mul_lo_u32 v18, s10, v18
	v_mul_lo_u32 v21, s11, v16
	v_mad_u64_u32 v[47:48], null, s10, v19, s[12:13]
	v_mul_lo_u32 v20, s10, v20
	v_mul_lo_u32 v23, s11, v19
	;; [unrolled: 3-line block ×3, first 2 shown]
	v_mad_u64_u32 v[59:60], null, s10, v16, s[14:15]
	v_mad_u64_u32 v[61:62], null, s10, v19, s[14:15]
	;; [unrolled: 1-line block ×3, first 2 shown]
	v_add_co_ci_u32_e64 v99, null, s15, v5, vcc_lo
	v_add_co_u32 v100, vcc_lo, s12, v6
	v_add_co_ci_u32_e64 v101, null, s13, v7, vcc_lo
	v_add_co_u32 v102, vcc_lo, s14, v6
	v_add_nc_u32_e32 v5, s7, v0
	v_mov_b32_e32 v6, v2
	v_add_co_ci_u32_e64 v103, null, s15, v7, vcc_lo
	v_add_co_u32 v104, vcc_lo, s12, v3
	s_waitcnt lgkmcnt(0)
	s_lshl_b32 s1, s1, 3
	v_add_co_ci_u32_e64 v105, null, s13, v4, vcc_lo
	v_add_co_u32 v106, vcc_lo, s14, v3
	s_mul_i32 s7, s11, s1
	s_mul_hi_u32 s12, s10, s1
	v_lshlrev_b64 v[67:68], 3, v[5:6]
	v_add3_u32 v46, v21, v46, v18
	v_add3_u32 v48, v23, v48, v20
	;; [unrolled: 1-line block ×6, first 2 shown]
	v_add_co_ci_u32_e64 v107, null, s15, v4, vcc_lo
	v_mov_b32_e32 v108, v2
	s_add_i32 s13, s12, s7
	s_mul_i32 s12, s10, s1
	s_mov_b64 s[14:15], 7
	s_lshl_b64 s[12:13], s[12:13], 3
	s_mov_b64 s[22:23], s[20:21]
	s_branch .LBB40_55
.LBB40_52:                              ;   in Loop: Header=BB40_55 Depth=1
	s_or_b32 exec_lo, exec_lo, s21
.LBB40_53:                              ;   in Loop: Header=BB40_55 Depth=1
	s_or_b32 exec_lo, exec_lo, s7
	v_add_co_u32 v7, vcc_lo, v78, v67
	v_add_co_ci_u32_e64 v8, null, v79, v68, vcc_lo
	v_add_co_u32 v9, vcc_lo, v53, v67
	v_add_co_ci_u32_e64 v10, null, v54, v68, vcc_lo
	global_load_dwordx2 v[7:8], v[7:8], off
	v_add_co_u32 v11, vcc_lo, v76, v67
	v_add_co_ci_u32_e64 v12, null, v77, v68, vcc_lo
	global_load_dwordx2 v[9:10], v[9:10], off
	global_load_dwordx2 v[11:12], v[11:12], off
	v_add_co_u32 v13, vcc_lo, v55, v67
	v_add_co_ci_u32_e64 v14, null, v56, v68, vcc_lo
	v_add_co_u32 v15, vcc_lo, v39, v67
	v_add_co_ci_u32_e64 v16, null, v40, v68, vcc_lo
	global_load_dwordx2 v[13:14], v[13:14], off
	global_load_dwordx2 v[15:16], v[15:16], off
	v_add_co_u32 v17, vcc_lo, v57, v67
	v_add_co_ci_u32_e64 v18, null, v58, v68, vcc_lo
	;; [unrolled: 6-line block ×5, first 2 shown]
	v_add_co_u32 v31, vcc_lo, v63, v67
	v_add_co_ci_u32_e64 v32, null, v64, v68, vcc_lo
	v_add_co_u32 v33, vcc_lo, v65, v67
	v_add_co_ci_u32_e64 v34, null, v66, v68, vcc_lo
	global_load_dwordx2 v[31:32], v[31:32], off
	global_load_dwordx2 v[69:70], v[17:18], off
	;; [unrolled: 1-line block ×3, first 2 shown]
	v_add_co_u32 v17, vcc_lo, v49, v67
	v_add_co_ci_u32_e64 v18, null, v50, v68, vcc_lo
	v_add_co_u32 v71, vcc_lo, v51, v67
	v_add_co_ci_u32_e64 v72, null, v52, v68, vcc_lo
	global_load_dwordx2 v[73:74], v[17:18], off
	global_load_dwordx2 v[17:18], v[71:72], off
	s_waitcnt vmcnt(17)
	ds_bpermute_b32 v71, v2, v5
	ds_bpermute_b32 v72, v2, v6
	ds_bpermute_b32 v109, v2, v5 offset:4
	ds_bpermute_b32 v110, v2, v6 offset:4
	;; [unrolled: 1-line block ×4, first 2 shown]
	s_waitcnt vmcnt(15) lgkmcnt(4)
	v_add_f64 v[7:8], v[7:8], -v[71:72]
	ds_bpermute_b32 v71, v2, v5 offset:8
	ds_bpermute_b32 v72, v2, v6 offset:8
	s_waitcnt vmcnt(14) lgkmcnt(4)
	v_add_f64 v[9:10], v[9:10], -v[109:110]
	ds_bpermute_b32 v109, v2, v3
	ds_bpermute_b32 v110, v2, v4
	s_waitcnt vmcnt(12) lgkmcnt(2)
	v_add_f64 v[13:14], v[13:14], -v[71:72]
	v_mul_f64 v[7:8], v[11:12], v[7:8]
	v_add_f64 v[11:12], v[35:36], v[11:12]
	ds_bpermute_b32 v35, v2, v3 offset:4
	ds_bpermute_b32 v36, v2, v4 offset:4
	s_waitcnt vmcnt(11)
	v_mul_f64 v[9:10], v[15:16], v[9:10]
	s_waitcnt vmcnt(10)
	v_add_f64 v[21:22], v[21:22], -v[111:112]
	s_waitcnt vmcnt(9)
	v_mul_f64 v[13:14], v[19:20], v[13:14]
	s_waitcnt lgkmcnt(2)
	v_fma_f64 v[7:8], v[7:8], v[109:110], v[37:38]
	v_add_f64 v[11:12], v[11:12], v[15:16]
	ds_bpermute_b32 v37, v2, v5 offset:16
	ds_bpermute_b32 v38, v2, v6 offset:16
	;; [unrolled: 1-line block ×4, first 2 shown]
	s_waitcnt vmcnt(7)
	v_mul_f64 v[21:22], v[23:24], v[21:22]
	s_waitcnt lgkmcnt(4)
	v_fma_f64 v[7:8], v[9:10], v[35:36], v[7:8]
	ds_bpermute_b32 v9, v2, v3 offset:8
	ds_bpermute_b32 v10, v2, v4 offset:8
	s_waitcnt lgkmcnt(4)
	v_add_f64 v[25:26], v[25:26], -v[37:38]
	v_add_f64 v[11:12], v[11:12], v[19:20]
	s_waitcnt vmcnt(6) lgkmcnt(2)
	v_add_f64 v[15:16], v[29:30], -v[15:16]
	s_waitcnt lgkmcnt(0)
	v_fma_f64 v[7:8], v[13:14], v[9:10], v[7:8]
	ds_bpermute_b32 v9, v2, v3 offset:12
	ds_bpermute_b32 v10, v2, v4 offset:12
	s_waitcnt vmcnt(5)
	v_mul_f64 v[19:20], v[27:28], v[25:26]
	v_add_f64 v[11:12], v[11:12], v[23:24]
	ds_bpermute_b32 v13, v2, v5 offset:24
	ds_bpermute_b32 v14, v2, v6 offset:24
	ds_bpermute_b32 v5, v2, v5 offset:28
	ds_bpermute_b32 v6, v2, v6 offset:28
	s_waitcnt vmcnt(3)
	v_mul_f64 v[15:16], v[69:70], v[15:16]
	s_waitcnt lgkmcnt(4)
	v_fma_f64 v[7:8], v[21:22], v[9:10], v[7:8]
	ds_bpermute_b32 v9, v2, v3 offset:16
	ds_bpermute_b32 v10, v2, v4 offset:16
	;; [unrolled: 1-line block ×3, first 2 shown]
	s_waitcnt lgkmcnt(5)
	v_add_f64 v[13:14], v[31:32], -v[13:14]
	v_add_f64 v[11:12], v[11:12], v[27:28]
	s_waitcnt vmcnt(2) lgkmcnt(3)
	v_add_f64 v[5:6], v[33:34], -v[5:6]
	ds_bpermute_b32 v22, v2, v4 offset:20
	s_waitcnt lgkmcnt(2)
	v_fma_f64 v[7:8], v[19:20], v[9:10], v[7:8]
	ds_bpermute_b32 v9, v2, v3 offset:24
	ds_bpermute_b32 v10, v2, v4 offset:24
	s_waitcnt vmcnt(1)
	v_mul_f64 v[13:14], v[73:74], v[13:14]
	v_add_f64 v[11:12], v[11:12], v[69:70]
	s_waitcnt vmcnt(0)
	v_mul_f64 v[5:6], v[17:18], v[5:6]
	s_waitcnt lgkmcnt(2)
	v_fma_f64 v[7:8], v[15:16], v[21:22], v[7:8]
	ds_bpermute_b32 v15, v2, v3 offset:28
	ds_bpermute_b32 v16, v2, v4 offset:28
	v_add_f64 v[3:4], v[11:12], v[73:74]
	s_waitcnt lgkmcnt(0)
	v_mul_f64 v[5:6], v[5:6], v[15:16]
	v_fma_f64 v[7:8], v[13:14], v[9:10], v[7:8]
.LBB40_54:                              ;   in Loop: Header=BB40_55 Depth=1
	v_add_co_u32 v76, vcc_lo, v76, s12
	v_add_co_ci_u32_e64 v77, null, s13, v77, vcc_lo
	v_add_co_u32 v78, vcc_lo, v78, s12
	v_add_co_ci_u32_e64 v79, null, s13, v79, vcc_lo
	;; [unrolled: 2-line block ×22, first 2 shown]
	v_add_co_u32 v90, vcc_lo, v90, s12
	v_add_f64 v[37:38], v[7:8], v[5:6]
	v_add_f64 v[35:36], v[3:4], v[17:18]
	v_add_co_ci_u32_e64 v91, null, s13, v91, vcc_lo
	v_add_co_u32 v92, vcc_lo, v92, s12
	v_add_co_ci_u32_e64 v93, null, s13, v93, vcc_lo
	v_add_co_u32 v94, vcc_lo, v94, s12
	;; [unrolled: 2-line block ×5, first 2 shown]
	s_add_u32 s22, s22, s1
	v_add_co_ci_u32_e64 v101, null, s13, v101, vcc_lo
	v_add_co_u32 v102, vcc_lo, v102, s12
	s_addc_u32 s23, s23, 0
	v_add_co_ci_u32_e64 v103, null, s13, v103, vcc_lo
	v_add_co_u32 v104, vcc_lo, v104, s12
	v_cmp_ge_i64_e64 s7, s[22:23], s[8:9]
	v_add_co_ci_u32_e64 v105, null, s13, v105, vcc_lo
	v_add_co_u32 v106, vcc_lo, v106, s12
	v_add_co_ci_u32_e64 v107, null, s13, v107, vcc_lo
	s_add_u32 s14, s14, s1
	s_addc_u32 s15, 0, s15
	s_and_b32 vcc_lo, exec_lo, s7
	s_cbranch_vccnz .LBB40_81
.LBB40_55:                              ; =>This Inner Loop Header: Depth=1
	s_add_u32 s24, s20, s14
	s_addc_u32 s25, 0, s15
	v_add_co_u32 v69, vcc_lo, s20, v75
	v_cmp_ge_i64_e64 s7, s[24:25], s[8:9]
	v_add_co_ci_u32_e64 v70, null, 0, v108, vcc_lo
                                        ; implicit-def: $vgpr17_vgpr18
                                        ; implicit-def: $vgpr5_vgpr6
                                        ; implicit-def: $vgpr3_vgpr4
                                        ; implicit-def: $vgpr7_vgpr8
	s_and_b32 vcc_lo, exec_lo, s7
	s_mov_b32 s7, -1
	s_cbranch_vccz .LBB40_77
; %bb.56:                               ;   in Loop: Header=BB40_55 Depth=1
	s_load_dword s7, s[2:3], 0xc
	v_mov_b32_e32 v71, 0
	v_mov_b32_e32 v73, 0
	;; [unrolled: 1-line block ×4, first 2 shown]
	s_waitcnt lgkmcnt(0)
	s_and_b32 s7, s7, 0xffff
	v_mad_u32_u24 v3, v1, s7, v0
	s_mov_b32 s7, exec_lo
	v_and_b32_e32 v3, 31, v3
	v_cmpx_gt_u32_e32 8, v3
	s_cbranch_execz .LBB40_60
; %bb.57:                               ;   in Loop: Header=BB40_55 Depth=1
	v_add_co_u32 v3, vcc_lo, v69, v3
	v_mov_b32_e32 v73, 0
	v_mov_b32_e32 v71, 0
	v_add_co_ci_u32_e64 v4, null, 0, v70, vcc_lo
	v_mov_b32_e32 v74, 0
	v_mov_b32_e32 v72, 0
	s_mov_b32 s21, exec_lo
	v_cmpx_gt_i64_e64 s[8:9], v[3:4]
	s_cbranch_execz .LBB40_59
; %bb.58:                               ;   in Loop: Header=BB40_55 Depth=1
	v_lshlrev_b64 v[3:4], 3, v[3:4]
	v_add_co_u32 v5, vcc_lo, s16, v3
	v_add_co_ci_u32_e64 v6, null, s17, v4, vcc_lo
	v_add_co_u32 v3, vcc_lo, s18, v3
	v_add_co_ci_u32_e64 v4, null, s19, v4, vcc_lo
	global_load_dwordx2 v[73:74], v[5:6], off
	global_load_dwordx2 v[71:72], v[3:4], off
.LBB40_59:                              ;   in Loop: Header=BB40_55 Depth=1
	s_or_b32 exec_lo, exec_lo, s21
.LBB40_60:                              ;   in Loop: Header=BB40_55 Depth=1
	s_or_b32 exec_lo, exec_lo, s7
	v_mov_b32_e32 v17, v2
	v_mov_b32_e32 v3, v2
	;; [unrolled: 1-line block ×47, first 2 shown]
	s_mov_b32 s7, exec_lo
	v_cmpx_gt_i64_e64 s[8:9], v[69:70]
	s_cbranch_execz .LBB40_62
; %bb.61:                               ;   in Loop: Header=BB40_55 Depth=1
	v_add_co_u32 v3, vcc_lo, v76, v67
	v_add_co_ci_u32_e64 v4, null, v77, v68, vcc_lo
	v_add_co_u32 v5, vcc_lo, v78, v67
	v_add_co_ci_u32_e64 v6, null, v79, v68, vcc_lo
	global_load_dwordx2 v[3:4], v[3:4], off
	global_load_dwordx2 v[19:20], v[5:6], off
	v_mov_b32_e32 v5, v2
	v_mov_b32_e32 v6, v2
	;; [unrolled: 1-line block ×28, first 2 shown]
.LBB40_62:                              ;   in Loop: Header=BB40_55 Depth=1
	s_or_b32 exec_lo, exec_lo, s7
	v_add_co_u32 v109, vcc_lo, v69, 1
	v_add_co_ci_u32_e64 v110, null, 0, v70, vcc_lo
	s_mov_b32 s7, exec_lo
	v_cmpx_gt_i64_e64 s[8:9], v[109:110]
	s_cbranch_execz .LBB40_64
; %bb.63:                               ;   in Loop: Header=BB40_55 Depth=1
	v_add_co_u32 v5, vcc_lo, v104, v67
	v_add_co_ci_u32_e64 v6, null, v105, v68, vcc_lo
	v_add_co_u32 v21, vcc_lo, v106, v67
	v_add_co_ci_u32_e64 v22, null, v107, v68, vcc_lo
	global_load_dwordx2 v[5:6], v[5:6], off
	global_load_dwordx2 v[21:22], v[21:22], off
.LBB40_64:                              ;   in Loop: Header=BB40_55 Depth=1
	s_or_b32 exec_lo, exec_lo, s7
	v_add_co_u32 v109, vcc_lo, v69, 2
	v_add_co_ci_u32_e64 v110, null, 0, v70, vcc_lo
	s_mov_b32 s7, exec_lo
	v_cmpx_gt_i64_e64 s[8:9], v[109:110]
	s_cbranch_execz .LBB40_66
; %bb.65:                               ;   in Loop: Header=BB40_55 Depth=1
	v_add_co_u32 v7, vcc_lo, v100, v67
	v_add_co_ci_u32_e64 v8, null, v101, v68, vcc_lo
	v_add_co_u32 v23, vcc_lo, v102, v67
	v_add_co_ci_u32_e64 v24, null, v103, v68, vcc_lo
	global_load_dwordx2 v[7:8], v[7:8], off
	global_load_dwordx2 v[23:24], v[23:24], off
.LBB40_66:                              ;   in Loop: Header=BB40_55 Depth=1
	;; [unrolled: 14-line block ×7, first 2 shown]
	s_or_b32 exec_lo, exec_lo, s7
	s_waitcnt vmcnt(1)
	ds_bpermute_b32 v109, v2, v73
	ds_bpermute_b32 v110, v2, v74
	ds_bpermute_b32 v111, v2, v73 offset:4
	ds_bpermute_b32 v112, v2, v74 offset:4
	;; [unrolled: 1-line block ×4, first 2 shown]
	s_mov_b32 s7, 0
	s_waitcnt vmcnt(0) lgkmcnt(4)
	v_add_f64 v[19:20], v[19:20], -v[109:110]
	ds_bpermute_b32 v109, v2, v73 offset:8
	s_waitcnt lgkmcnt(3)
	v_add_f64 v[21:22], v[21:22], -v[111:112]
	ds_bpermute_b32 v110, v2, v74 offset:8
	ds_bpermute_b32 v111, v2, v71
	ds_bpermute_b32 v112, v2, v72
	s_waitcnt lgkmcnt(4)
	v_add_f64 v[25:26], v[25:26], -v[113:114]
	v_mul_f64 v[19:20], v[3:4], v[19:20]
	v_add_f64 v[3:4], v[35:36], v[3:4]
	s_waitcnt lgkmcnt(2)
	v_add_f64 v[23:24], v[23:24], -v[109:110]
	v_mul_f64 v[21:22], v[5:6], v[21:22]
	ds_bpermute_b32 v109, v2, v71 offset:4
	ds_bpermute_b32 v110, v2, v72 offset:4
	v_mul_f64 v[25:26], v[9:10], v[25:26]
	s_waitcnt lgkmcnt(2)
	v_fma_f64 v[19:20], v[19:20], v[111:112], v[37:38]
	v_add_f64 v[3:4], v[5:6], v[3:4]
	v_mul_f64 v[5:6], v[7:8], v[23:24]
	ds_bpermute_b32 v111, v2, v73 offset:16
	ds_bpermute_b32 v112, v2, v74 offset:16
	ds_bpermute_b32 v23, v2, v73 offset:20
	ds_bpermute_b32 v24, v2, v74 offset:20
	s_waitcnt lgkmcnt(4)
	v_fma_f64 v[19:20], v[21:22], v[109:110], v[19:20]
	ds_bpermute_b32 v21, v2, v71 offset:8
	ds_bpermute_b32 v22, v2, v72 offset:8
	s_waitcnt lgkmcnt(4)
	v_add_f64 v[27:28], v[27:28], -v[111:112]
	v_add_f64 v[3:4], v[7:8], v[3:4]
	ds_bpermute_b32 v7, v2, v71 offset:12
	ds_bpermute_b32 v8, v2, v72 offset:12
	s_waitcnt lgkmcnt(4)
	v_add_f64 v[23:24], v[29:30], -v[23:24]
	s_waitcnt lgkmcnt(2)
	v_fma_f64 v[5:6], v[5:6], v[21:22], v[19:20]
	ds_bpermute_b32 v19, v2, v71 offset:16
	ds_bpermute_b32 v21, v2, v73 offset:24
	v_mul_f64 v[27:28], v[11:12], v[27:28]
	v_add_f64 v[3:4], v[9:10], v[3:4]
	ds_bpermute_b32 v22, v2, v74 offset:24
	ds_bpermute_b32 v20, v2, v72 offset:16
	v_mul_f64 v[23:24], v[13:14], v[23:24]
	ds_bpermute_b32 v9, v2, v71 offset:20
	ds_bpermute_b32 v10, v2, v72 offset:20
	s_waitcnt lgkmcnt(6)
	v_fma_f64 v[5:6], v[25:26], v[7:8], v[5:6]
	ds_bpermute_b32 v7, v2, v73 offset:28
	ds_bpermute_b32 v8, v2, v74 offset:28
	s_waitcnt lgkmcnt(5)
	v_add_f64 v[21:22], v[31:32], -v[21:22]
	v_add_f64 v[3:4], v[11:12], v[3:4]
	ds_bpermute_b32 v11, v2, v71 offset:24
	ds_bpermute_b32 v12, v2, v72 offset:24
	s_waitcnt lgkmcnt(2)
	v_add_f64 v[7:8], v[33:34], -v[7:8]
	v_fma_f64 v[5:6], v[27:28], v[19:20], v[5:6]
	v_mul_f64 v[19:20], v[15:16], v[21:22]
	v_add_f64 v[3:4], v[13:14], v[3:4]
	ds_bpermute_b32 v13, v2, v71 offset:28
	ds_bpermute_b32 v14, v2, v72 offset:28
	v_fma_f64 v[5:6], v[23:24], v[9:10], v[5:6]
	v_mul_f64 v[9:10], v[17:18], v[7:8]
	v_add_f64 v[3:4], v[15:16], v[3:4]
	s_waitcnt lgkmcnt(2)
	v_fma_f64 v[7:8], v[19:20], v[11:12], v[5:6]
	s_waitcnt lgkmcnt(0)
	v_mul_f64 v[5:6], v[9:10], v[13:14]
.LBB40_77:                              ;   in Loop: Header=BB40_55 Depth=1
	s_and_b32 vcc_lo, exec_lo, s7
	s_cbranch_vccz .LBB40_54
; %bb.78:                               ;   in Loop: Header=BB40_55 Depth=1
	s_load_dword s7, s[2:3], 0x0
	v_mov_b32_e32 v5, 0
	v_mov_b32_e32 v6, 0
	s_waitcnt lgkmcnt(0)
	s_cmp_lt_u32 s6, s7
	s_cselect_b32 s7, 12, 18
	s_add_u32 s24, s2, s7
	s_addc_u32 s25, s3, 0
	s_mov_b32 s7, exec_lo
	global_load_ushort v3, v2, s[24:25]
	s_waitcnt vmcnt(0)
	v_mad_u32_u24 v3, v1, v3, v0
	v_and_b32_e32 v7, 31, v3
	v_mov_b32_e32 v3, 0
	v_mov_b32_e32 v4, 0
	v_cmpx_gt_u32_e32 8, v7
	s_cbranch_execz .LBB40_53
; %bb.79:                               ;   in Loop: Header=BB40_55 Depth=1
	v_add_co_u32 v7, vcc_lo, v69, v7
	v_mov_b32_e32 v5, 0
	v_mov_b32_e32 v3, 0
	v_add_co_ci_u32_e64 v8, null, 0, v70, vcc_lo
	v_mov_b32_e32 v6, 0
	v_mov_b32_e32 v4, 0
	s_mov_b32 s21, exec_lo
	v_cmpx_gt_i64_e64 s[8:9], v[7:8]
	s_cbranch_execz .LBB40_52
; %bb.80:                               ;   in Loop: Header=BB40_55 Depth=1
	v_lshlrev_b64 v[3:4], 3, v[7:8]
	v_add_co_u32 v5, vcc_lo, s16, v3
	v_add_co_ci_u32_e64 v6, null, s17, v4, vcc_lo
	v_add_co_u32 v3, vcc_lo, s18, v3
	v_add_co_ci_u32_e64 v4, null, s19, v4, vcc_lo
	global_load_dwordx2 v[5:6], v[5:6], off
	global_load_dwordx2 v[3:4], v[3:4], off
	s_branch .LBB40_52
.LBB40_81:
	s_mov_b32 s7, 0
	s_mov_b32 s1, exec_lo
	s_lshl_b64 s[2:3], s[6:7], 5
	v_or_b32_e32 v4, s2, v0
	v_mov_b32_e32 v5, s3
	v_cmpx_gt_i64_e64 s[10:11], v[4:5]
	s_cbranch_execz .LBB40_86
; %bb.82:
	s_clause 0x1
	s_load_dword s1, s[4:5], 0x4c
	s_load_dwordx4 s[4:7], s[4:5], 0x30
	v_mov_b32_e32 v2, 0
	s_waitcnt lgkmcnt(0)
	s_lshr_b32 s1, s1, 16
	s_cmp_eq_u64 s[4:5], 0
	v_mad_u64_u32 v[2:3], null, s1, s0, v[1:2]
	v_lshlrev_b64 v[0:1], 3, v[4:5]
	v_mul_lo_u32 v3, v3, s10
	v_mul_lo_u32 v6, v2, s11
	s_cbranch_scc1 .LBB40_84
; %bb.83:
	v_mad_u64_u32 v[4:5], null, v2, s10, 0
	v_add3_u32 v5, v5, v6, v3
	v_lshlrev_b64 v[4:5], 3, v[4:5]
	v_add_co_u32 v4, vcc_lo, s4, v4
	v_add_co_ci_u32_e64 v5, null, s5, v5, vcc_lo
	v_add_co_u32 v4, vcc_lo, v4, v0
	v_add_co_ci_u32_e64 v5, null, v5, v1, vcc_lo
	global_store_dwordx2 v[4:5], v[37:38], off
.LBB40_84:
	s_cmp_eq_u64 s[6:7], 0
	s_cbranch_scc1 .LBB40_86
; %bb.85:
	v_mad_u64_u32 v[4:5], null, v2, s10, 0
	v_add3_u32 v5, v5, v6, v3
	v_lshlrev_b64 v[2:3], 3, v[4:5]
	v_add_co_u32 v2, vcc_lo, s6, v2
	v_add_co_ci_u32_e64 v3, null, s7, v3, vcc_lo
	v_add_co_u32 v0, vcc_lo, v2, v0
	v_add_co_ci_u32_e64 v1, null, v3, v1, vcc_lo
	global_store_dwordx2 v[0:1], v[35:36], off
.LBB40_86:
	s_endpgm
	.section	.rodata,"a",@progbits
	.p2align	6, 0x0
	.amdhsa_kernel _ZN2at6native12_GLOBAL__N_135GammaBetaBackwardCUDAKernelTemplateIddLj32ELj1ELj8ELb1ELb0ELb0EEEvllPKT_S5_PKT0_S8_PS3_S9_
		.amdhsa_group_segment_fixed_size 0
		.amdhsa_private_segment_fixed_size 0
		.amdhsa_kernarg_size 320
		.amdhsa_user_sgpr_count 6
		.amdhsa_user_sgpr_private_segment_buffer 1
		.amdhsa_user_sgpr_dispatch_ptr 0
		.amdhsa_user_sgpr_queue_ptr 0
		.amdhsa_user_sgpr_kernarg_segment_ptr 1
		.amdhsa_user_sgpr_dispatch_id 0
		.amdhsa_user_sgpr_flat_scratch_init 0
		.amdhsa_user_sgpr_private_segment_size 0
		.amdhsa_wavefront_size32 1
		.amdhsa_uses_dynamic_stack 0
		.amdhsa_system_sgpr_private_segment_wavefront_offset 0
		.amdhsa_system_sgpr_workgroup_id_x 1
		.amdhsa_system_sgpr_workgroup_id_y 1
		.amdhsa_system_sgpr_workgroup_id_z 0
		.amdhsa_system_sgpr_workgroup_info 0
		.amdhsa_system_vgpr_workitem_id 1
		.amdhsa_next_free_vgpr 115
		.amdhsa_next_free_sgpr 32
		.amdhsa_reserve_vcc 1
		.amdhsa_reserve_flat_scratch 0
		.amdhsa_float_round_mode_32 0
		.amdhsa_float_round_mode_16_64 0
		.amdhsa_float_denorm_mode_32 3
		.amdhsa_float_denorm_mode_16_64 3
		.amdhsa_dx10_clamp 1
		.amdhsa_ieee_mode 1
		.amdhsa_fp16_overflow 0
		.amdhsa_workgroup_processor_mode 1
		.amdhsa_memory_ordered 1
		.amdhsa_forward_progress 1
		.amdhsa_shared_vgpr_count 0
		.amdhsa_exception_fp_ieee_invalid_op 0
		.amdhsa_exception_fp_denorm_src 0
		.amdhsa_exception_fp_ieee_div_zero 0
		.amdhsa_exception_fp_ieee_overflow 0
		.amdhsa_exception_fp_ieee_underflow 0
		.amdhsa_exception_fp_ieee_inexact 0
		.amdhsa_exception_int_div_zero 0
	.end_amdhsa_kernel
	.section	.text._ZN2at6native12_GLOBAL__N_135GammaBetaBackwardCUDAKernelTemplateIddLj32ELj1ELj8ELb1ELb0ELb0EEEvllPKT_S5_PKT0_S8_PS3_S9_,"axG",@progbits,_ZN2at6native12_GLOBAL__N_135GammaBetaBackwardCUDAKernelTemplateIddLj32ELj1ELj8ELb1ELb0ELb0EEEvllPKT_S5_PKT0_S8_PS3_S9_,comdat
.Lfunc_end40:
	.size	_ZN2at6native12_GLOBAL__N_135GammaBetaBackwardCUDAKernelTemplateIddLj32ELj1ELj8ELb1ELb0ELb0EEEvllPKT_S5_PKT0_S8_PS3_S9_, .Lfunc_end40-_ZN2at6native12_GLOBAL__N_135GammaBetaBackwardCUDAKernelTemplateIddLj32ELj1ELj8ELb1ELb0ELb0EEEvllPKT_S5_PKT0_S8_PS3_S9_
                                        ; -- End function
	.set _ZN2at6native12_GLOBAL__N_135GammaBetaBackwardCUDAKernelTemplateIddLj32ELj1ELj8ELb1ELb0ELb0EEEvllPKT_S5_PKT0_S8_PS3_S9_.num_vgpr, 115
	.set _ZN2at6native12_GLOBAL__N_135GammaBetaBackwardCUDAKernelTemplateIddLj32ELj1ELj8ELb1ELb0ELb0EEEvllPKT_S5_PKT0_S8_PS3_S9_.num_agpr, 0
	.set _ZN2at6native12_GLOBAL__N_135GammaBetaBackwardCUDAKernelTemplateIddLj32ELj1ELj8ELb1ELb0ELb0EEEvllPKT_S5_PKT0_S8_PS3_S9_.numbered_sgpr, 32
	.set _ZN2at6native12_GLOBAL__N_135GammaBetaBackwardCUDAKernelTemplateIddLj32ELj1ELj8ELb1ELb0ELb0EEEvllPKT_S5_PKT0_S8_PS3_S9_.num_named_barrier, 0
	.set _ZN2at6native12_GLOBAL__N_135GammaBetaBackwardCUDAKernelTemplateIddLj32ELj1ELj8ELb1ELb0ELb0EEEvllPKT_S5_PKT0_S8_PS3_S9_.private_seg_size, 0
	.set _ZN2at6native12_GLOBAL__N_135GammaBetaBackwardCUDAKernelTemplateIddLj32ELj1ELj8ELb1ELb0ELb0EEEvllPKT_S5_PKT0_S8_PS3_S9_.uses_vcc, 1
	.set _ZN2at6native12_GLOBAL__N_135GammaBetaBackwardCUDAKernelTemplateIddLj32ELj1ELj8ELb1ELb0ELb0EEEvllPKT_S5_PKT0_S8_PS3_S9_.uses_flat_scratch, 0
	.set _ZN2at6native12_GLOBAL__N_135GammaBetaBackwardCUDAKernelTemplateIddLj32ELj1ELj8ELb1ELb0ELb0EEEvllPKT_S5_PKT0_S8_PS3_S9_.has_dyn_sized_stack, 0
	.set _ZN2at6native12_GLOBAL__N_135GammaBetaBackwardCUDAKernelTemplateIddLj32ELj1ELj8ELb1ELb0ELb0EEEvllPKT_S5_PKT0_S8_PS3_S9_.has_recursion, 0
	.set _ZN2at6native12_GLOBAL__N_135GammaBetaBackwardCUDAKernelTemplateIddLj32ELj1ELj8ELb1ELb0ELb0EEEvllPKT_S5_PKT0_S8_PS3_S9_.has_indirect_call, 0
	.section	.AMDGPU.csdata,"",@progbits
; Kernel info:
; codeLenInByte = 9528
; TotalNumSgprs: 34
; NumVgprs: 115
; ScratchSize: 0
; MemoryBound: 1
; FloatMode: 240
; IeeeMode: 1
; LDSByteSize: 0 bytes/workgroup (compile time only)
; SGPRBlocks: 0
; VGPRBlocks: 14
; NumSGPRsForWavesPerEU: 34
; NumVGPRsForWavesPerEU: 115
; Occupancy: 8
; WaveLimiterHint : 0
; COMPUTE_PGM_RSRC2:SCRATCH_EN: 0
; COMPUTE_PGM_RSRC2:USER_SGPR: 6
; COMPUTE_PGM_RSRC2:TRAP_HANDLER: 0
; COMPUTE_PGM_RSRC2:TGID_X_EN: 1
; COMPUTE_PGM_RSRC2:TGID_Y_EN: 1
; COMPUTE_PGM_RSRC2:TGID_Z_EN: 0
; COMPUTE_PGM_RSRC2:TIDIG_COMP_CNT: 1
	.section	.text._ZN2at6native12_GLOBAL__N_135GammaBetaBackwardCUDAKernelTemplateIddLj32ELj8ELj64ELb0ELb1ELb0EEEvllPKT_S5_PKT0_S8_PS3_S9_,"axG",@progbits,_ZN2at6native12_GLOBAL__N_135GammaBetaBackwardCUDAKernelTemplateIddLj32ELj8ELj64ELb0ELb1ELb0EEEvllPKT_S5_PKT0_S8_PS3_S9_,comdat
	.globl	_ZN2at6native12_GLOBAL__N_135GammaBetaBackwardCUDAKernelTemplateIddLj32ELj8ELj64ELb0ELb1ELb0EEEvllPKT_S5_PKT0_S8_PS3_S9_ ; -- Begin function _ZN2at6native12_GLOBAL__N_135GammaBetaBackwardCUDAKernelTemplateIddLj32ELj8ELj64ELb0ELb1ELb0EEEvllPKT_S5_PKT0_S8_PS3_S9_
	.p2align	8
	.type	_ZN2at6native12_GLOBAL__N_135GammaBetaBackwardCUDAKernelTemplateIddLj32ELj8ELj64ELb0ELb1ELb0EEEvllPKT_S5_PKT0_S8_PS3_S9_,@function
_ZN2at6native12_GLOBAL__N_135GammaBetaBackwardCUDAKernelTemplateIddLj32ELj8ELj64ELb0ELb1ELb0EEEvllPKT_S5_PKT0_S8_PS3_S9_: ; @_ZN2at6native12_GLOBAL__N_135GammaBetaBackwardCUDAKernelTemplateIddLj32ELj8ELj64ELb0ELb1ELb0EEEvllPKT_S5_PKT0_S8_PS3_S9_
; %bb.0:
	s_load_dwordx4 s[20:23], s[4:5], 0x0
	s_lshl_b32 s2, s7, 6
	s_mov_b32 s3, 0
	s_waitcnt lgkmcnt(0)
	v_cmp_gt_i64_e64 s0, s[20:21], s[2:3]
	s_and_b32 vcc_lo, exec_lo, s0
	s_cbranch_vccnz .LBB41_2
; %bb.1:
	s_mov_b32 s0, s3
	s_branch .LBB41_3
.LBB41_2:
	s_mov_b32 s0, -1
.LBB41_3:
	s_load_dwordx4 s[16:19], s[4:5], 0x30
	v_mov_b32_e32 v8, 0
	v_mov_b32_e32 v12, 0
	;; [unrolled: 1-line block ×4, first 2 shown]
	s_andn2_b32 vcc_lo, exec_lo, s0
	s_cbranch_vccnz .LBB41_10
; %bb.4:
	s_clause 0x2
	s_load_dword s0, s[4:5], 0x4c
	s_load_dword s1, s[4:5], 0x44
	s_load_dwordx8 s[8:15], s[4:5], 0x10
	v_lshlrev_b32_e32 v2, 3, v1
	v_mov_b32_e32 v3, 0
	v_mov_b32_e32 v16, 8
	;; [unrolled: 1-line block ×4, first 2 shown]
	v_add_co_u32 v4, s4, v2, s2
	v_add_co_ci_u32_e64 v5, null, 0, 0, s4
	v_lshl_add_u32 v2, s6, 5, v0
	v_mul_lo_u32 v10, s23, v4
	v_mad_u64_u32 v[6:7], null, s22, v4, 0
	v_mul_lo_u32 v11, s22, v5
	v_mov_b32_e32 v19, 16
	v_mov_b32_e32 v20, 20
	;; [unrolled: 1-line block ×3, first 2 shown]
	s_waitcnt lgkmcnt(0)
	s_and_b32 s0, s0, 0xffff
	s_lshl_b32 s4, s1, 6
	v_mad_u32_u24 v8, v1, s0, v0
	s_mul_i32 s1, s23, s4
	v_add3_u32 v7, v7, v11, v10
	s_mul_hi_u32 s7, s22, s4
	v_mov_b32_e32 v22, 28
	v_and_b32_e32 v12, 31, v8
	v_lshlrev_b64 v[8:9], 3, v[2:3]
	v_lshlrev_b64 v[10:11], 3, v[6:7]
	s_mov_b32 s5, 0
	s_add_i32 s27, s7, s1
	v_add_co_u32 v4, vcc_lo, v4, v12
	v_add_co_ci_u32_e64 v5, null, 0, v5, vcc_lo
	v_add_co_u32 v2, vcc_lo, v10, v8
	v_cmp_gt_u32_e64 s0, 8, v12
	v_lshlrev_b64 v[6:7], 3, v[4:5]
	v_add_co_ci_u32_e64 v23, null, v11, v9, vcc_lo
	v_mov_b32_e32 v12, 0
	v_mov_b32_e32 v8, 0
	;; [unrolled: 1-line block ×4, first 2 shown]
	s_mul_i32 s26, s22, s4
	s_lshl_b64 s[24:25], s[4:5], 3
	s_lshl_b64 s[26:27], s[26:27], 3
	;; [unrolled: 1-line block ×3, first 2 shown]
	s_branch .LBB41_7
.LBB41_5:                               ;   in Loop: Header=BB41_7 Depth=1
	s_or_b32 exec_lo, exec_lo, s5
.LBB41_6:                               ;   in Loop: Header=BB41_7 Depth=1
	s_or_b32 exec_lo, exec_lo, s1
	v_add_co_u32 v24, vcc_lo, s10, v2
	v_add_co_ci_u32_e64 v25, null, s11, v23, vcc_lo
	v_add_co_u32 v28, vcc_lo, s8, v2
	v_add_co_ci_u32_e64 v29, null, s9, v23, vcc_lo
	global_load_dwordx2 v[26:27], v[24:25], off
	v_add_co_u32 v24, vcc_lo, v24, s22
	v_add_co_ci_u32_e64 v25, null, s23, v25, vcc_lo
	global_load_dwordx2 v[30:31], v[28:29], off
	global_load_dwordx2 v[32:33], v[24:25], off
	v_add_co_u32 v24, vcc_lo, v24, s22
	v_add_co_ci_u32_e64 v25, null, s23, v25, vcc_lo
	v_add_co_u32 v28, vcc_lo, v28, s22
	v_add_co_ci_u32_e64 v29, null, s23, v29, vcc_lo
	global_load_dwordx2 v[34:35], v[24:25], off
	global_load_dwordx2 v[36:37], v[28:29], off
	v_add_co_u32 v24, vcc_lo, v24, s22
	v_add_co_ci_u32_e64 v25, null, s23, v25, vcc_lo
	;; [unrolled: 6-line block ×7, first 2 shown]
	s_waitcnt vmcnt(16)
	ds_bpermute_b32 v56, v3, v14
	ds_bpermute_b32 v57, v3, v15
	s_waitcnt vmcnt(15)
	ds_bpermute_b32 v58, v3, v10
	global_load_dwordx2 v[28:29], v[28:29], off
	ds_bpermute_b32 v59, v3, v11
	s_add_u32 s2, s2, s4
	v_add_co_u32 v6, vcc_lo, v6, s24
	s_addc_u32 s3, s3, 0
	v_add_co_ci_u32_e64 v7, null, s25, v7, vcc_lo
	v_add_co_u32 v4, vcc_lo, v4, s4
	v_cmp_lt_i64_e64 s1, s[2:3], s[20:21]
	v_add_co_ci_u32_e64 v5, null, 0, v5, vcc_lo
	v_add_co_u32 v2, vcc_lo, v2, s26
	v_add_co_ci_u32_e64 v23, null, s27, v23, vcc_lo
	s_and_b32 vcc_lo, exec_lo, s1
	s_waitcnt vmcnt(15) lgkmcnt(2)
	v_add_f64 v[26:27], v[26:27], -v[56:57]
	ds_bpermute_b32 v56, v17, v14
	ds_bpermute_b32 v57, v17, v15
	s_waitcnt vmcnt(14)
	v_add_f64 v[8:9], v[8:9], v[30:31]
	s_waitcnt vmcnt(13) lgkmcnt(0)
	v_add_f64 v[32:33], v[32:33], -v[56:57]
	v_mul_f64 v[26:27], v[30:31], v[26:27]
	ds_bpermute_b32 v56, v16, v14
	ds_bpermute_b32 v57, v16, v15
	;; [unrolled: 1-line block ×4, first 2 shown]
	s_waitcnt vmcnt(11)
	v_add_f64 v[8:9], v[8:9], v[36:37]
	v_mul_f64 v[32:33], v[36:37], v[32:33]
	v_fma_f64 v[12:13], v[26:27], v[58:59], v[12:13]
	s_waitcnt lgkmcnt(2)
	v_add_f64 v[34:35], v[34:35], -v[56:57]
	ds_bpermute_b32 v26, v17, v10
	ds_bpermute_b32 v58, v18, v14
	;; [unrolled: 1-line block ×6, first 2 shown]
	s_waitcnt vmcnt(9)
	v_add_f64 v[8:9], v[8:9], v[40:41]
	v_mul_f64 v[34:35], v[40:41], v[34:35]
	s_waitcnt lgkmcnt(3)
	v_add_f64 v[38:39], v[38:39], -v[58:59]
	s_waitcnt lgkmcnt(2)
	v_fma_f64 v[12:13], v[32:33], v[26:27], v[12:13]
	ds_bpermute_b32 v26, v18, v10
	s_waitcnt vmcnt(8) lgkmcnt(1)
	v_add_f64 v[36:37], v[42:43], -v[56:57]
	ds_bpermute_b32 v32, v20, v14
	ds_bpermute_b32 v33, v20, v15
	;; [unrolled: 1-line block ×3, first 2 shown]
	s_waitcnt vmcnt(7)
	v_add_f64 v[8:9], v[8:9], v[44:45]
	v_mul_f64 v[38:39], v[44:45], v[38:39]
	v_fma_f64 v[12:13], v[34:35], v[30:31], v[12:13]
	ds_bpermute_b32 v30, v19, v10
	s_waitcnt vmcnt(6) lgkmcnt(2)
	v_add_f64 v[32:33], v[46:47], -v[32:33]
	s_waitcnt vmcnt(5)
	v_mul_f64 v[36:37], v[48:49], v[36:37]
	ds_bpermute_b32 v34, v21, v14
	ds_bpermute_b32 v35, v21, v15
	;; [unrolled: 1-line block ×3, first 2 shown]
	v_add_f64 v[8:9], v[8:9], v[48:49]
	ds_bpermute_b32 v14, v22, v14
	ds_bpermute_b32 v15, v22, v15
	s_waitcnt lgkmcnt(6)
	v_fma_f64 v[12:13], v[38:39], v[26:27], v[12:13]
	ds_bpermute_b32 v26, v20, v10
	s_waitcnt vmcnt(3)
	v_mul_f64 v[32:33], v[52:53], v[32:33]
	s_waitcnt lgkmcnt(4)
	v_add_f64 v[34:35], v[50:51], -v[34:35]
	ds_bpermute_b32 v27, v20, v11
	s_waitcnt vmcnt(2) lgkmcnt(2)
	v_add_f64 v[14:15], v[24:25], -v[14:15]
	v_add_f64 v[8:9], v[8:9], v[52:53]
	v_fma_f64 v[12:13], v[36:37], v[30:31], v[12:13]
	ds_bpermute_b32 v30, v21, v10
	ds_bpermute_b32 v31, v21, v11
	s_waitcnt vmcnt(1)
	v_mul_f64 v[24:25], v[54:55], v[34:35]
	ds_bpermute_b32 v10, v22, v10
	ds_bpermute_b32 v11, v22, v11
	s_waitcnt vmcnt(0)
	v_mul_f64 v[14:15], v[28:29], v[14:15]
	v_add_f64 v[8:9], v[8:9], v[54:55]
	s_waitcnt lgkmcnt(4)
	v_fma_f64 v[12:13], v[32:33], v[26:27], v[12:13]
	v_add_f64 v[8:9], v[8:9], v[28:29]
	s_waitcnt lgkmcnt(2)
	v_fma_f64 v[12:13], v[24:25], v[30:31], v[12:13]
	s_waitcnt lgkmcnt(0)
	v_fma_f64 v[12:13], v[14:15], v[10:11], v[12:13]
	s_cbranch_vccz .LBB41_10
.LBB41_7:                               ; =>This Inner Loop Header: Depth=1
	v_mov_b32_e32 v10, 0
	v_mov_b32_e32 v14, 0
	;; [unrolled: 1-line block ×4, first 2 shown]
	s_and_saveexec_b32 s1, s0
	s_cbranch_execz .LBB41_6
; %bb.8:                                ;   in Loop: Header=BB41_7 Depth=1
	v_mov_b32_e32 v14, 0
	v_mov_b32_e32 v10, 0
	;; [unrolled: 1-line block ×4, first 2 shown]
	s_mov_b32 s5, exec_lo
	v_cmpx_gt_i64_e64 s[20:21], v[4:5]
	s_cbranch_execz .LBB41_5
; %bb.9:                                ;   in Loop: Header=BB41_7 Depth=1
	v_add_co_u32 v10, vcc_lo, s12, v6
	v_add_co_ci_u32_e64 v11, null, s13, v7, vcc_lo
	v_add_co_u32 v24, vcc_lo, s14, v6
	v_add_co_ci_u32_e64 v25, null, s15, v7, vcc_lo
	global_load_dwordx2 v[14:15], v[10:11], off
	global_load_dwordx2 v[10:11], v[24:25], off
	s_branch .LBB41_5
.LBB41_10:
	v_mad_u32_u24 v2, v1, 33, v0
	v_lshrrev_b32_e32 v3, 5, v0
	s_mov_b32 s0, exec_lo
	v_lshl_add_u32 v2, v2, 3, 0
	v_add_nc_u32_e32 v10, v3, v1
	ds_write_b64 v2, v[12:13]
	ds_write_b64 v2, v[8:9] offset:2112
	s_waitcnt lgkmcnt(0)
	s_barrier
	buffer_gl0_inv
	v_cmpx_gt_u32_e32 32, v10
	s_cbranch_execz .LBB41_42
; %bb.11:
	v_and_b32_e32 v1, 31, v0
                                        ; implicit-def: $vgpr3_vgpr4
	v_cmp_gt_u32_e64 s0, 8, v1
	v_mul_u32_u24_e32 v7, 33, v1
                                        ; implicit-def: $vgpr1_vgpr2
	s_and_saveexec_b32 s1, s0
	s_cbranch_execz .LBB41_13
; %bb.12:
	v_add_nc_u32_e32 v1, v10, v7
	v_lshl_add_u32 v1, v1, 3, 0
	ds_read_b64 v[3:4], v1
	ds_read_b64 v[1:2], v1 offset:2112
.LBB41_13:
	s_or_b32 exec_lo, exec_lo, s1
	v_mbcnt_lo_u32_b32 v13, -1, 0
	s_mov_b32 s7, 0
	v_cmp_eq_u32_e64 s1, 0, v0
	s_lshl_b64 s[2:3], s[6:7], 5
	s_cmp_lg_u64 s[16:17], 0
	v_xor_b32_e32 v5, 4, v13
	s_cselect_b32 s5, -1, 0
	s_cmp_lg_u64 s[18:19], 0
	s_cselect_b32 s4, -1, 0
	v_cmp_gt_i32_e32 vcc_lo, 32, v5
	v_cndmask_b32_e32 v5, v13, v5, vcc_lo
	v_lshlrev_b32_e32 v8, 2, v5
	s_waitcnt lgkmcnt(1)
	ds_bpermute_b32 v5, v8, v3
	ds_bpermute_b32 v6, v8, v4
	s_waitcnt lgkmcnt(2)
	ds_bpermute_b32 v11, v8, v1
	ds_bpermute_b32 v12, v8, v2
	s_waitcnt lgkmcnt(2)
	v_add_f64 v[3:4], v[3:4], v[5:6]
	v_xor_b32_e32 v5, 2, v13
	s_waitcnt lgkmcnt(0)
	v_add_f64 v[1:2], v[1:2], v[11:12]
	v_cmp_gt_i32_e32 vcc_lo, 32, v5
	v_cndmask_b32_e32 v5, v13, v5, vcc_lo
	v_lshlrev_b32_e32 v9, 2, v5
	ds_bpermute_b32 v5, v9, v3
	ds_bpermute_b32 v6, v9, v4
	;; [unrolled: 1-line block ×4, first 2 shown]
	s_waitcnt lgkmcnt(2)
	v_add_f64 v[3:4], v[3:4], v[5:6]
	s_waitcnt lgkmcnt(0)
	v_add_f64 v[5:6], v[1:2], v[11:12]
	v_xor_b32_e32 v1, 1, v13
	v_cmp_gt_i32_e32 vcc_lo, 32, v1
	v_cndmask_b32_e32 v1, v13, v1, vcc_lo
	v_lshlrev_b32_e32 v11, 2, v1
	ds_bpermute_b32 v1, v11, v3
	ds_bpermute_b32 v2, v11, v4
	;; [unrolled: 1-line block ×4, first 2 shown]
	s_waitcnt lgkmcnt(2)
	v_add_f64 v[1:2], v[3:4], v[1:2]
	s_waitcnt lgkmcnt(0)
	v_add_f64 v[3:4], v[5:6], v[12:13]
	s_and_saveexec_b32 s6, s1
	s_cbranch_execz .LBB41_18
; %bb.14:
	v_mov_b32_e32 v6, s3
	v_or_b32_e32 v5, s2, v10
	s_andn2_b32 vcc_lo, exec_lo, s5
	v_lshlrev_b64 v[5:6], 3, v[5:6]
	s_cbranch_vccnz .LBB41_16
; %bb.15:
	v_add_co_u32 v12, vcc_lo, s16, v5
	v_add_co_ci_u32_e64 v13, null, s17, v6, vcc_lo
	global_store_dwordx2 v[12:13], v[1:2], off
.LBB41_16:
	s_andn2_b32 vcc_lo, exec_lo, s4
	s_cbranch_vccnz .LBB41_18
; %bb.17:
	v_add_co_u32 v5, vcc_lo, s18, v5
	v_add_co_ci_u32_e64 v6, null, s19, v6, vcc_lo
	global_store_dwordx2 v[5:6], v[3:4], off
.LBB41_18:
	s_or_b32 exec_lo, exec_lo, s6
	v_cmp_gt_u32_e32 vcc_lo, 24, v10
	s_and_b32 exec_lo, exec_lo, vcc_lo
	s_cbranch_execz .LBB41_42
; %bb.19:
	s_and_saveexec_b32 s6, s0
	s_cbranch_execz .LBB41_21
; %bb.20:
	v_add_nc_u32_e32 v0, v10, v7
	v_lshl_add_u32 v0, v0, 3, 0
	ds_read_b64 v[1:2], v0 offset:64
	ds_read_b64 v[3:4], v0 offset:2176
.LBB41_21:
	s_or_b32 exec_lo, exec_lo, s6
	s_waitcnt lgkmcnt(1)
	ds_bpermute_b32 v5, v8, v1
	ds_bpermute_b32 v6, v8, v2
	s_waitcnt lgkmcnt(2)
	ds_bpermute_b32 v12, v8, v3
	ds_bpermute_b32 v13, v8, v4
	s_waitcnt lgkmcnt(2)
	v_add_f64 v[0:1], v[1:2], v[5:6]
	s_waitcnt lgkmcnt(0)
	v_add_f64 v[2:3], v[3:4], v[12:13]
	ds_bpermute_b32 v4, v9, v0
	ds_bpermute_b32 v5, v9, v1
	;; [unrolled: 1-line block ×4, first 2 shown]
	s_waitcnt lgkmcnt(2)
	v_add_f64 v[0:1], v[0:1], v[4:5]
	s_waitcnt lgkmcnt(0)
	v_add_f64 v[2:3], v[2:3], v[12:13]
	ds_bpermute_b32 v4, v11, v0
	ds_bpermute_b32 v5, v11, v1
	;; [unrolled: 1-line block ×4, first 2 shown]
	s_waitcnt lgkmcnt(2)
	v_add_f64 v[0:1], v[0:1], v[4:5]
	s_waitcnt lgkmcnt(0)
	v_add_f64 v[2:3], v[2:3], v[12:13]
	s_and_saveexec_b32 s6, s1
	s_cbranch_execz .LBB41_26
; %bb.22:
	s_andn2_b32 vcc_lo, exec_lo, s5
	s_cbranch_vccnz .LBB41_24
; %bb.23:
	v_add_co_u32 v4, s7, s2, v10
	v_add_co_ci_u32_e64 v5, null, s3, 0, s7
	v_lshlrev_b64 v[4:5], 3, v[4:5]
	v_add_co_u32 v4, vcc_lo, s16, v4
	v_add_co_ci_u32_e64 v5, null, s17, v5, vcc_lo
	global_store_dwordx2 v[4:5], v[0:1], off offset:64
.LBB41_24:
	s_andn2_b32 vcc_lo, exec_lo, s4
	s_cbranch_vccnz .LBB41_26
; %bb.25:
	v_add_co_u32 v4, s7, s2, v10
	v_add_co_ci_u32_e64 v5, null, s3, 0, s7
	v_lshlrev_b64 v[4:5], 3, v[4:5]
	v_add_co_u32 v4, vcc_lo, s18, v4
	v_add_co_ci_u32_e64 v5, null, s19, v5, vcc_lo
	global_store_dwordx2 v[4:5], v[2:3], off offset:64
.LBB41_26:
	s_or_b32 exec_lo, exec_lo, s6
	v_cmp_gt_u32_e32 vcc_lo, 16, v10
	s_and_b32 exec_lo, exec_lo, vcc_lo
	s_cbranch_execz .LBB41_42
; %bb.27:
	s_and_saveexec_b32 s6, s0
	s_cbranch_execz .LBB41_29
; %bb.28:
	v_add_nc_u32_e32 v0, v10, v7
	v_lshl_add_u32 v2, v0, 3, 0
	ds_read_b64 v[0:1], v2 offset:128
	ds_read_b64 v[2:3], v2 offset:2240
.LBB41_29:
	s_or_b32 exec_lo, exec_lo, s6
	s_waitcnt lgkmcnt(1)
	ds_bpermute_b32 v4, v8, v0
	ds_bpermute_b32 v5, v8, v1
	s_waitcnt lgkmcnt(2)
	ds_bpermute_b32 v12, v8, v2
	ds_bpermute_b32 v13, v8, v3
	s_waitcnt lgkmcnt(2)
	v_add_f64 v[0:1], v[0:1], v[4:5]
	s_waitcnt lgkmcnt(0)
	v_add_f64 v[2:3], v[2:3], v[12:13]
	ds_bpermute_b32 v4, v9, v0
	ds_bpermute_b32 v5, v9, v1
	;; [unrolled: 1-line block ×4, first 2 shown]
	s_waitcnt lgkmcnt(2)
	v_add_f64 v[0:1], v[0:1], v[4:5]
	s_waitcnt lgkmcnt(0)
	v_add_f64 v[2:3], v[2:3], v[12:13]
	ds_bpermute_b32 v4, v11, v0
	ds_bpermute_b32 v5, v11, v1
	;; [unrolled: 1-line block ×4, first 2 shown]
	s_waitcnt lgkmcnt(2)
	v_add_f64 v[0:1], v[0:1], v[4:5]
	s_waitcnt lgkmcnt(0)
	v_add_f64 v[2:3], v[2:3], v[12:13]
	s_and_saveexec_b32 s6, s1
	s_cbranch_execz .LBB41_34
; %bb.30:
	s_andn2_b32 vcc_lo, exec_lo, s5
	s_cbranch_vccnz .LBB41_32
; %bb.31:
	v_add_co_u32 v4, s7, s2, v10
	v_add_co_ci_u32_e64 v5, null, s3, 0, s7
	v_lshlrev_b64 v[4:5], 3, v[4:5]
	v_add_co_u32 v4, vcc_lo, s16, v4
	v_add_co_ci_u32_e64 v5, null, s17, v5, vcc_lo
	global_store_dwordx2 v[4:5], v[0:1], off offset:128
.LBB41_32:
	s_andn2_b32 vcc_lo, exec_lo, s4
	s_cbranch_vccnz .LBB41_34
; %bb.33:
	v_add_co_u32 v4, s7, s2, v10
	v_add_co_ci_u32_e64 v5, null, s3, 0, s7
	v_lshlrev_b64 v[4:5], 3, v[4:5]
	v_add_co_u32 v4, vcc_lo, s18, v4
	v_add_co_ci_u32_e64 v5, null, s19, v5, vcc_lo
	global_store_dwordx2 v[4:5], v[2:3], off offset:128
.LBB41_34:
	s_or_b32 exec_lo, exec_lo, s6
	v_cmp_gt_u32_e32 vcc_lo, 8, v10
	s_and_b32 exec_lo, exec_lo, vcc_lo
	s_cbranch_execz .LBB41_42
; %bb.35:
	s_and_saveexec_b32 s6, s0
	s_cbranch_execz .LBB41_37
; %bb.36:
	v_add_nc_u32_e32 v0, v10, v7
	v_lshl_add_u32 v2, v0, 3, 0
	ds_read_b64 v[0:1], v2 offset:192
	ds_read_b64 v[2:3], v2 offset:2304
.LBB41_37:
	s_or_b32 exec_lo, exec_lo, s6
	s_waitcnt lgkmcnt(1)
	ds_bpermute_b32 v4, v8, v0
	ds_bpermute_b32 v5, v8, v1
	s_waitcnt lgkmcnt(2)
	ds_bpermute_b32 v6, v8, v2
	ds_bpermute_b32 v7, v8, v3
	s_waitcnt lgkmcnt(2)
	v_add_f64 v[0:1], v[0:1], v[4:5]
	s_waitcnt lgkmcnt(0)
	v_add_f64 v[2:3], v[2:3], v[6:7]
	ds_bpermute_b32 v4, v9, v0
	ds_bpermute_b32 v5, v9, v1
	;; [unrolled: 1-line block ×4, first 2 shown]
	s_waitcnt lgkmcnt(2)
	v_add_f64 v[4:5], v[0:1], v[4:5]
	s_waitcnt lgkmcnt(0)
	v_add_f64 v[0:1], v[2:3], v[6:7]
	ds_bpermute_b32 v6, v11, v4
	ds_bpermute_b32 v7, v11, v5
	;; [unrolled: 1-line block ×4, first 2 shown]
	s_and_b32 exec_lo, exec_lo, s1
	s_cbranch_execz .LBB41_42
; %bb.38:
	s_andn2_b32 vcc_lo, exec_lo, s5
	s_cbranch_vccnz .LBB41_40
; %bb.39:
	s_waitcnt lgkmcnt(2)
	v_add_f64 v[4:5], v[4:5], v[6:7]
	v_add_co_u32 v6, s0, s2, v10
	v_add_co_ci_u32_e64 v7, null, s3, 0, s0
	v_lshlrev_b64 v[6:7], 3, v[6:7]
	v_add_co_u32 v6, vcc_lo, s16, v6
	v_add_co_ci_u32_e64 v7, null, s17, v7, vcc_lo
	global_store_dwordx2 v[6:7], v[4:5], off offset:192
.LBB41_40:
	s_andn2_b32 vcc_lo, exec_lo, s4
	s_cbranch_vccnz .LBB41_42
; %bb.41:
	s_waitcnt lgkmcnt(0)
	v_add_f64 v[0:1], v[0:1], v[2:3]
	v_add_co_u32 v2, s0, s2, v10
	v_add_co_ci_u32_e64 v3, null, s3, 0, s0
	v_lshlrev_b64 v[2:3], 3, v[2:3]
	v_add_co_u32 v2, vcc_lo, s18, v2
	v_add_co_ci_u32_e64 v3, null, s19, v3, vcc_lo
	global_store_dwordx2 v[2:3], v[0:1], off offset:192
.LBB41_42:
	s_endpgm
	.section	.rodata,"a",@progbits
	.p2align	6, 0x0
	.amdhsa_kernel _ZN2at6native12_GLOBAL__N_135GammaBetaBackwardCUDAKernelTemplateIddLj32ELj8ELj64ELb0ELb1ELb0EEEvllPKT_S5_PKT0_S8_PS3_S9_
		.amdhsa_group_segment_fixed_size 0
		.amdhsa_private_segment_fixed_size 0
		.amdhsa_kernarg_size 320
		.amdhsa_user_sgpr_count 6
		.amdhsa_user_sgpr_private_segment_buffer 1
		.amdhsa_user_sgpr_dispatch_ptr 0
		.amdhsa_user_sgpr_queue_ptr 0
		.amdhsa_user_sgpr_kernarg_segment_ptr 1
		.amdhsa_user_sgpr_dispatch_id 0
		.amdhsa_user_sgpr_flat_scratch_init 0
		.amdhsa_user_sgpr_private_segment_size 0
		.amdhsa_wavefront_size32 1
		.amdhsa_uses_dynamic_stack 0
		.amdhsa_system_sgpr_private_segment_wavefront_offset 0
		.amdhsa_system_sgpr_workgroup_id_x 1
		.amdhsa_system_sgpr_workgroup_id_y 1
		.amdhsa_system_sgpr_workgroup_id_z 0
		.amdhsa_system_sgpr_workgroup_info 0
		.amdhsa_system_vgpr_workitem_id 1
		.amdhsa_next_free_vgpr 60
		.amdhsa_next_free_sgpr 28
		.amdhsa_reserve_vcc 1
		.amdhsa_reserve_flat_scratch 0
		.amdhsa_float_round_mode_32 0
		.amdhsa_float_round_mode_16_64 0
		.amdhsa_float_denorm_mode_32 3
		.amdhsa_float_denorm_mode_16_64 3
		.amdhsa_dx10_clamp 1
		.amdhsa_ieee_mode 1
		.amdhsa_fp16_overflow 0
		.amdhsa_workgroup_processor_mode 1
		.amdhsa_memory_ordered 1
		.amdhsa_forward_progress 1
		.amdhsa_shared_vgpr_count 0
		.amdhsa_exception_fp_ieee_invalid_op 0
		.amdhsa_exception_fp_denorm_src 0
		.amdhsa_exception_fp_ieee_div_zero 0
		.amdhsa_exception_fp_ieee_overflow 0
		.amdhsa_exception_fp_ieee_underflow 0
		.amdhsa_exception_fp_ieee_inexact 0
		.amdhsa_exception_int_div_zero 0
	.end_amdhsa_kernel
	.section	.text._ZN2at6native12_GLOBAL__N_135GammaBetaBackwardCUDAKernelTemplateIddLj32ELj8ELj64ELb0ELb1ELb0EEEvllPKT_S5_PKT0_S8_PS3_S9_,"axG",@progbits,_ZN2at6native12_GLOBAL__N_135GammaBetaBackwardCUDAKernelTemplateIddLj32ELj8ELj64ELb0ELb1ELb0EEEvllPKT_S5_PKT0_S8_PS3_S9_,comdat
.Lfunc_end41:
	.size	_ZN2at6native12_GLOBAL__N_135GammaBetaBackwardCUDAKernelTemplateIddLj32ELj8ELj64ELb0ELb1ELb0EEEvllPKT_S5_PKT0_S8_PS3_S9_, .Lfunc_end41-_ZN2at6native12_GLOBAL__N_135GammaBetaBackwardCUDAKernelTemplateIddLj32ELj8ELj64ELb0ELb1ELb0EEEvllPKT_S5_PKT0_S8_PS3_S9_
                                        ; -- End function
	.set _ZN2at6native12_GLOBAL__N_135GammaBetaBackwardCUDAKernelTemplateIddLj32ELj8ELj64ELb0ELb1ELb0EEEvllPKT_S5_PKT0_S8_PS3_S9_.num_vgpr, 60
	.set _ZN2at6native12_GLOBAL__N_135GammaBetaBackwardCUDAKernelTemplateIddLj32ELj8ELj64ELb0ELb1ELb0EEEvllPKT_S5_PKT0_S8_PS3_S9_.num_agpr, 0
	.set _ZN2at6native12_GLOBAL__N_135GammaBetaBackwardCUDAKernelTemplateIddLj32ELj8ELj64ELb0ELb1ELb0EEEvllPKT_S5_PKT0_S8_PS3_S9_.numbered_sgpr, 28
	.set _ZN2at6native12_GLOBAL__N_135GammaBetaBackwardCUDAKernelTemplateIddLj32ELj8ELj64ELb0ELb1ELb0EEEvllPKT_S5_PKT0_S8_PS3_S9_.num_named_barrier, 0
	.set _ZN2at6native12_GLOBAL__N_135GammaBetaBackwardCUDAKernelTemplateIddLj32ELj8ELj64ELb0ELb1ELb0EEEvllPKT_S5_PKT0_S8_PS3_S9_.private_seg_size, 0
	.set _ZN2at6native12_GLOBAL__N_135GammaBetaBackwardCUDAKernelTemplateIddLj32ELj8ELj64ELb0ELb1ELb0EEEvllPKT_S5_PKT0_S8_PS3_S9_.uses_vcc, 1
	.set _ZN2at6native12_GLOBAL__N_135GammaBetaBackwardCUDAKernelTemplateIddLj32ELj8ELj64ELb0ELb1ELb0EEEvllPKT_S5_PKT0_S8_PS3_S9_.uses_flat_scratch, 0
	.set _ZN2at6native12_GLOBAL__N_135GammaBetaBackwardCUDAKernelTemplateIddLj32ELj8ELj64ELb0ELb1ELb0EEEvllPKT_S5_PKT0_S8_PS3_S9_.has_dyn_sized_stack, 0
	.set _ZN2at6native12_GLOBAL__N_135GammaBetaBackwardCUDAKernelTemplateIddLj32ELj8ELj64ELb0ELb1ELb0EEEvllPKT_S5_PKT0_S8_PS3_S9_.has_recursion, 0
	.set _ZN2at6native12_GLOBAL__N_135GammaBetaBackwardCUDAKernelTemplateIddLj32ELj8ELj64ELb0ELb1ELb0EEEvllPKT_S5_PKT0_S8_PS3_S9_.has_indirect_call, 0
	.section	.AMDGPU.csdata,"",@progbits
; Kernel info:
; codeLenInByte = 3056
; TotalNumSgprs: 30
; NumVgprs: 60
; ScratchSize: 0
; MemoryBound: 0
; FloatMode: 240
; IeeeMode: 1
; LDSByteSize: 0 bytes/workgroup (compile time only)
; SGPRBlocks: 0
; VGPRBlocks: 7
; NumSGPRsForWavesPerEU: 30
; NumVGPRsForWavesPerEU: 60
; Occupancy: 16
; WaveLimiterHint : 0
; COMPUTE_PGM_RSRC2:SCRATCH_EN: 0
; COMPUTE_PGM_RSRC2:USER_SGPR: 6
; COMPUTE_PGM_RSRC2:TRAP_HANDLER: 0
; COMPUTE_PGM_RSRC2:TGID_X_EN: 1
; COMPUTE_PGM_RSRC2:TGID_Y_EN: 1
; COMPUTE_PGM_RSRC2:TGID_Z_EN: 0
; COMPUTE_PGM_RSRC2:TIDIG_COMP_CNT: 1
	.section	.text._ZN2at6native12_GLOBAL__N_135GammaBetaBackwardCUDAKernelTemplateIddLj32ELj8ELj64ELb0ELb0ELb0EEEvllPKT_S5_PKT0_S8_PS3_S9_,"axG",@progbits,_ZN2at6native12_GLOBAL__N_135GammaBetaBackwardCUDAKernelTemplateIddLj32ELj8ELj64ELb0ELb0ELb0EEEvllPKT_S5_PKT0_S8_PS3_S9_,comdat
	.globl	_ZN2at6native12_GLOBAL__N_135GammaBetaBackwardCUDAKernelTemplateIddLj32ELj8ELj64ELb0ELb0ELb0EEEvllPKT_S5_PKT0_S8_PS3_S9_ ; -- Begin function _ZN2at6native12_GLOBAL__N_135GammaBetaBackwardCUDAKernelTemplateIddLj32ELj8ELj64ELb0ELb0ELb0EEEvllPKT_S5_PKT0_S8_PS3_S9_
	.p2align	8
	.type	_ZN2at6native12_GLOBAL__N_135GammaBetaBackwardCUDAKernelTemplateIddLj32ELj8ELj64ELb0ELb0ELb0EEEvllPKT_S5_PKT0_S8_PS3_S9_,@function
_ZN2at6native12_GLOBAL__N_135GammaBetaBackwardCUDAKernelTemplateIddLj32ELj8ELj64ELb0ELb0ELb0EEEvllPKT_S5_PKT0_S8_PS3_S9_: ; @_ZN2at6native12_GLOBAL__N_135GammaBetaBackwardCUDAKernelTemplateIddLj32ELj8ELj64ELb0ELb0ELb0EEEvllPKT_S5_PKT0_S8_PS3_S9_
; %bb.0:
	s_clause 0x1
	s_load_dwordx8 s[8:15], s[4:5], 0x0
	s_load_dwordx4 s[16:19], s[4:5], 0x20
	s_lshl_b32 s28, s6, 5
	s_mov_b32 s3, 0
	s_or_b32 s2, s28, 31
	s_waitcnt lgkmcnt(0)
	v_cmp_le_i64_e64 s0, s[10:11], s[2:3]
	s_lshl_b32 s2, s7, 6
	v_cmp_gt_i64_e64 s7, s[8:9], s[2:3]
	s_and_b32 vcc_lo, exec_lo, s0
	v_cndmask_b32_e64 v2, 0, 1, s7
	v_cmp_ne_u32_e64 s0, 1, v2
	s_cbranch_vccz .LBB42_48
; %bb.1:
	v_mov_b32_e32 v37, 0
	v_mov_b32_e32 v35, 0
	;; [unrolled: 1-line block ×4, first 2 shown]
	s_and_b32 vcc_lo, exec_lo, s0
	s_cbranch_vccnz .LBB42_49
; %bb.2:
	v_lshlrev_b32_e32 v45, 3, v1
	v_mov_b32_e32 v2, 0
	v_add_nc_u32_e32 v5, s28, v0
	s_load_dword s1, s[4:5], 0x44
	s_add_u32 s20, s4, 64
	v_add_co_u32 v11, s0, v45, s2
	v_add_co_ci_u32_e64 v12, null, 0, 0, s0
	v_mov_b32_e32 v6, v2
	v_mul_lo_u32 v7, s11, v11
	v_mad_u64_u32 v[3:4], null, s10, v11, 0
	v_mul_lo_u32 v8, s10, v12
	v_cmp_gt_i64_e64 s0, s[10:11], v[5:6]
	v_lshlrev_b64 v[39:40], 3, v[5:6]
	s_addc_u32 s21, s5, 0
	v_mov_b32_e32 v35, 0
	v_mov_b32_e32 v37, 0
	v_mov_b32_e32 v36, 0
	v_mov_b32_e32 v38, 0
	v_add3_u32 v4, v4, v8, v7
	v_add_co_u32 v7, vcc_lo, v11, 7
	v_add_co_ci_u32_e64 v8, null, 0, v12, vcc_lo
	v_lshlrev_b64 v[5:6], 3, v[3:4]
	v_mul_lo_u32 v13, s11, v7
	s_waitcnt lgkmcnt(0)
	s_lshl_b32 s29, s1, 6
	v_mul_lo_u32 v14, s10, v8
	v_mad_u64_u32 v[7:8], null, s10, v7, 0
	v_add_co_u32 v46, vcc_lo, s12, v5
	v_add_co_ci_u32_e64 v47, null, s13, v6, vcc_lo
	v_add_co_u32 v9, vcc_lo, v11, 6
	v_add_co_ci_u32_e64 v10, null, 0, v12, vcc_lo
	v_add_co_u32 v48, vcc_lo, s14, v5
	v_mul_lo_u32 v15, s11, v9
	v_mul_lo_u32 v16, s10, v10
	v_mad_u64_u32 v[9:10], null, s10, v9, 0
	v_add3_u32 v8, v8, v14, v13
	v_add_co_ci_u32_e64 v49, null, s15, v6, vcc_lo
	v_add_co_u32 v13, vcc_lo, v11, 5
	v_add_co_ci_u32_e64 v14, null, 0, v12, vcc_lo
	v_add3_u32 v10, v10, v16, v15
	v_lshlrev_b64 v[5:6], 3, v[7:8]
	v_mul_lo_u32 v15, s11, v13
	v_mul_lo_u32 v14, s10, v14
	s_mul_i32 s1, s11, s29
	v_lshlrev_b64 v[7:8], 3, v[9:10]
	v_mad_u64_u32 v[9:10], null, s10, v13, 0
	v_add_co_u32 v50, vcc_lo, s12, v5
	v_add_co_ci_u32_e64 v51, null, s13, v6, vcc_lo
	v_add_co_u32 v52, vcc_lo, s14, v5
	v_add_co_ci_u32_e64 v53, null, s15, v6, vcc_lo
	v_add_co_u32 v54, vcc_lo, s12, v7
	v_add3_u32 v10, v10, v14, v15
	s_mul_hi_u32 s22, s10, s29
	v_add_co_ci_u32_e64 v55, null, s13, v8, vcc_lo
	v_add_co_u32 v13, vcc_lo, v11, 4
	s_add_i32 s23, s22, s1
	v_add_co_u32 v56, s1, s14, v7
	v_add_co_ci_u32_e64 v7, null, 0, v12, vcc_lo
	v_lshlrev_b64 v[5:6], 3, v[9:10]
	v_add_co_u32 v9, vcc_lo, v11, 3
	v_add_co_ci_u32_e64 v10, null, 0, v12, vcc_lo
	v_add_co_ci_u32_e64 v57, null, s15, v8, s1
	v_mul_lo_u32 v14, s11, v13
	v_mul_lo_u32 v15, s10, v7
	v_mad_u64_u32 v[7:8], null, s10, v13, 0
	v_mul_lo_u32 v13, s11, v9
	v_mul_lo_u32 v16, s10, v10
	v_mad_u64_u32 v[9:10], null, s10, v9, 0
	v_add_co_u32 v58, vcc_lo, s12, v5
	v_add_co_ci_u32_e64 v59, null, s13, v6, vcc_lo
	v_add3_u32 v8, v8, v15, v14
	v_add_co_u32 v60, vcc_lo, s14, v5
	v_add_co_ci_u32_e64 v61, null, s15, v6, vcc_lo
	v_add_co_u32 v11, vcc_lo, v11, 2
	v_add3_u32 v10, v10, v16, v13
	v_add_co_ci_u32_e64 v12, null, 0, v12, vcc_lo
	v_lshlrev_b64 v[5:6], 3, v[7:8]
	v_mul_lo_u32 v13, s11, v11
	v_lshlrev_b64 v[7:8], 3, v[9:10]
	v_mul_lo_u32 v12, s10, v12
	v_mad_u64_u32 v[9:10], null, s10, v11, 0
	v_add_co_u32 v62, vcc_lo, s12, v5
	v_add_co_ci_u32_e64 v63, null, s13, v6, vcc_lo
	v_add_co_u32 v64, vcc_lo, s14, v5
	v_add_co_ci_u32_e64 v65, null, s15, v6, vcc_lo
	;; [unrolled: 2-line block ×3, first 2 shown]
	v_add3_u32 v10, v10, v12, v13
	v_add_co_u32 v68, vcc_lo, s14, v7
	v_add_co_ci_u32_e64 v69, null, s15, v8, vcc_lo
	v_add_co_u32 v3, vcc_lo, v3, s10
	v_add_co_ci_u32_e64 v4, null, s11, v4, vcc_lo
	v_lshlrev_b64 v[5:6], 3, v[9:10]
	s_mul_i32 s22, s10, s29
	s_mov_b64 s[26:27], s[2:3]
	v_lshlrev_b64 v[3:4], 3, v[3:4]
	s_lshl_b64 s[22:23], s[22:23], 3
	s_add_u32 s24, s2, 63
	v_add_co_u32 v70, vcc_lo, s12, v5
	v_add_co_ci_u32_e64 v71, null, s13, v6, vcc_lo
	v_add_co_u32 v72, vcc_lo, s14, v5
	v_add_co_ci_u32_e64 v73, null, s15, v6, vcc_lo
	;; [unrolled: 2-line block ×4, first 2 shown]
	s_addc_u32 s25, 0, 0
	s_branch .LBB42_5
.LBB42_3:                               ;   in Loop: Header=BB42_5 Depth=1
	s_or_b32 exec_lo, exec_lo, s1
	s_waitcnt vmcnt(1)
	ds_bpermute_b32 v78, v2, v41
	ds_bpermute_b32 v79, v2, v42
	ds_bpermute_b32 v80, v2, v41 offset:4
	ds_bpermute_b32 v81, v2, v42 offset:4
	s_waitcnt vmcnt(0) lgkmcnt(2)
	v_add_f64 v[19:20], v[19:20], -v[78:79]
	ds_bpermute_b32 v78, v2, v41 offset:8
	s_waitcnt lgkmcnt(1)
	v_add_f64 v[21:22], v[21:22], -v[80:81]
	ds_bpermute_b32 v79, v2, v42 offset:8
	ds_bpermute_b32 v80, v2, v43
	ds_bpermute_b32 v81, v2, v44
	v_mul_f64 v[19:20], v[3:4], v[19:20]
	v_add_f64 v[3:4], v[37:38], v[3:4]
	s_waitcnt lgkmcnt(2)
	v_add_f64 v[23:24], v[23:24], -v[78:79]
	v_mul_f64 v[21:22], v[5:6], v[21:22]
	ds_bpermute_b32 v37, v2, v41 offset:12
	ds_bpermute_b32 v38, v2, v42 offset:12
	;; [unrolled: 1-line block ×4, first 2 shown]
	s_waitcnt lgkmcnt(4)
	v_fma_f64 v[19:20], v[19:20], v[80:81], v[35:36]
	ds_bpermute_b32 v35, v2, v43 offset:4
	ds_bpermute_b32 v36, v2, v44 offset:4
	s_waitcnt lgkmcnt(4)
	v_add_f64 v[25:26], v[25:26], -v[37:38]
	v_add_f64 v[3:4], v[5:6], v[3:4]
	v_mul_f64 v[5:6], v[7:8], v[23:24]
	s_waitcnt lgkmcnt(2)
	v_add_f64 v[27:28], v[27:28], -v[78:79]
	ds_bpermute_b32 v23, v2, v41 offset:20
	ds_bpermute_b32 v24, v2, v42 offset:20
	s_waitcnt lgkmcnt(2)
	v_fma_f64 v[19:20], v[21:22], v[35:36], v[19:20]
	ds_bpermute_b32 v21, v2, v43 offset:8
	ds_bpermute_b32 v22, v2, v44 offset:8
	v_mul_f64 v[25:26], v[9:10], v[25:26]
	v_add_f64 v[3:4], v[7:8], v[3:4]
	ds_bpermute_b32 v7, v2, v43 offset:12
	ds_bpermute_b32 v8, v2, v44 offset:12
	s_waitcnt lgkmcnt(2)
	v_fma_f64 v[5:6], v[5:6], v[21:22], v[19:20]
	v_add_f64 v[21:22], v[29:30], -v[23:24]
	v_mul_f64 v[23:24], v[11:12], v[27:28]
	ds_bpermute_b32 v19, v2, v41 offset:24
	v_add_f64 v[3:4], v[9:10], v[3:4]
	ds_bpermute_b32 v20, v2, v42 offset:24
	s_waitcnt lgkmcnt(2)
	v_fma_f64 v[5:6], v[25:26], v[7:8], v[5:6]
	ds_bpermute_b32 v7, v2, v43 offset:16
	ds_bpermute_b32 v8, v2, v44 offset:16
	s_waitcnt lgkmcnt(2)
	v_add_f64 v[9:10], v[31:32], -v[19:20]
	v_mul_f64 v[19:20], v[13:14], v[21:22]
	v_add_f64 v[3:4], v[11:12], v[3:4]
	ds_bpermute_b32 v11, v2, v43 offset:24
	ds_bpermute_b32 v12, v2, v44 offset:24
	s_waitcnt lgkmcnt(2)
	v_fma_f64 v[5:6], v[23:24], v[7:8], v[5:6]
	ds_bpermute_b32 v7, v2, v43 offset:20
	ds_bpermute_b32 v8, v2, v44 offset:20
	v_mul_f64 v[9:10], v[15:16], v[9:10]
	ds_bpermute_b32 v43, v2, v43 offset:28
	v_add_f64 v[3:4], v[13:14], v[3:4]
	ds_bpermute_b32 v44, v2, v44 offset:28
	s_waitcnt lgkmcnt(2)
	v_fma_f64 v[7:8], v[19:20], v[7:8], v[5:6]
	v_add_f64 v[5:6], v[15:16], v[3:4]
	v_fma_f64 v[3:4], v[9:10], v[11:12], v[7:8]
	ds_bpermute_b32 v7, v2, v41 offset:28
	ds_bpermute_b32 v8, v2, v42 offset:28
.LBB42_4:                               ;   in Loop: Header=BB42_5 Depth=1
	s_waitcnt lgkmcnt(0)
	v_add_f64 v[7:8], v[33:34], -v[7:8]
	v_add_f64 v[37:38], v[5:6], v[17:18]
	v_add_co_u32 v46, vcc_lo, v46, s22
	v_add_co_ci_u32_e64 v47, null, s23, v47, vcc_lo
	v_add_co_u32 v48, vcc_lo, v48, s22
	v_add_co_ci_u32_e64 v49, null, s23, v49, vcc_lo
	;; [unrolled: 2-line block ×5, first 2 shown]
	v_mul_f64 v[5:6], v[17:18], v[7:8]
	v_add_co_u32 v56, vcc_lo, v56, s22
	v_add_co_ci_u32_e64 v57, null, s23, v57, vcc_lo
	v_add_co_u32 v58, vcc_lo, v58, s22
	v_add_co_ci_u32_e64 v59, null, s23, v59, vcc_lo
	;; [unrolled: 2-line block ×5, first 2 shown]
	v_add_co_u32 v66, vcc_lo, v66, s22
	v_fma_f64 v[35:36], v[5:6], v[43:44], v[3:4]
	v_add_co_ci_u32_e64 v67, null, s23, v67, vcc_lo
	v_add_co_u32 v68, vcc_lo, v68, s22
	v_add_co_ci_u32_e64 v69, null, s23, v69, vcc_lo
	v_add_co_u32 v70, vcc_lo, v70, s22
	s_add_u32 s26, s26, s29
	v_add_co_ci_u32_e64 v71, null, s23, v71, vcc_lo
	v_add_co_u32 v72, vcc_lo, v72, s22
	s_addc_u32 s27, s27, 0
	v_add_co_ci_u32_e64 v73, null, s23, v73, vcc_lo
	v_add_co_u32 v74, vcc_lo, v74, s22
	v_cmp_lt_i64_e64 s1, s[26:27], s[8:9]
	v_add_co_ci_u32_e64 v75, null, s23, v75, vcc_lo
	v_add_co_u32 v76, vcc_lo, v76, s22
	v_add_co_ci_u32_e64 v77, null, s23, v77, vcc_lo
	s_add_u32 s24, s24, s29
	s_addc_u32 s25, s25, 0
	s_and_b32 vcc_lo, exec_lo, s1
	s_cbranch_vccz .LBB42_49
.LBB42_5:                               ; =>This Inner Loop Header: Depth=1
	v_cmp_ge_i64_e64 s1, s[24:25], s[8:9]
	v_add_co_u32 v78, s30, v45, s24
	v_add_co_ci_u32_e64 v79, null, 0, s25, s30
                                        ; implicit-def: $vgpr3_vgpr4_vgpr5_vgpr6_vgpr7_vgpr8_vgpr9_vgpr10_vgpr11_vgpr12_vgpr13_vgpr14_vgpr15_vgpr16_vgpr17_vgpr18
                                        ; implicit-def: $vgpr43_vgpr44
                                        ; implicit-def: $vgpr19_vgpr20_vgpr21_vgpr22_vgpr23_vgpr24_vgpr25_vgpr26_vgpr27_vgpr28_vgpr29_vgpr30_vgpr31_vgpr32_vgpr33_vgpr34
                                        ; implicit-def: $vgpr7
	s_and_b32 vcc_lo, exec_lo, s1
	s_mov_b32 s1, -1
                                        ; implicit-def: $vgpr5_vgpr6
                                        ; implicit-def: $vgpr3_vgpr4
	s_cbranch_vccz .LBB42_27
; %bb.6:                                ;   in Loop: Header=BB42_5 Depth=1
	s_load_dword s1, s[20:21], 0xc
	v_mov_b32_e32 v43, 0
	v_mov_b32_e32 v41, 0
	;; [unrolled: 1-line block ×4, first 2 shown]
	s_waitcnt lgkmcnt(0)
	s_and_b32 s1, s1, 0xffff
	v_mad_u32_u24 v3, v1, s1, v0
	s_mov_b32 s1, exec_lo
	v_and_b32_e32 v3, 31, v3
	v_cmpx_gt_u32_e32 8, v3
	s_cbranch_execz .LBB42_10
; %bb.7:                                ;   in Loop: Header=BB42_5 Depth=1
	v_add_co_u32 v3, vcc_lo, v78, v3
	v_add_co_ci_u32_e64 v4, null, 0, v79, vcc_lo
	v_mov_b32_e32 v41, 0
	v_add_co_u32 v3, vcc_lo, 0xffffffc1, v3
	v_mov_b32_e32 v43, 0
	v_add_co_ci_u32_e64 v4, null, -1, v4, vcc_lo
	v_mov_b32_e32 v42, 0
	v_mov_b32_e32 v44, 0
	s_mov_b32 s30, exec_lo
	v_cmpx_gt_i64_e64 s[8:9], v[3:4]
	s_cbranch_execz .LBB42_9
; %bb.8:                                ;   in Loop: Header=BB42_5 Depth=1
	v_lshlrev_b64 v[3:4], 3, v[3:4]
	v_add_co_u32 v5, vcc_lo, s16, v3
	v_add_co_ci_u32_e64 v6, null, s17, v4, vcc_lo
	v_add_co_u32 v3, vcc_lo, s18, v3
	v_add_co_ci_u32_e64 v4, null, s19, v4, vcc_lo
	global_load_dwordx2 v[41:42], v[5:6], off
	global_load_dwordx2 v[43:44], v[3:4], off
.LBB42_9:                               ;   in Loop: Header=BB42_5 Depth=1
	s_or_b32 exec_lo, exec_lo, s30
.LBB42_10:                              ;   in Loop: Header=BB42_5 Depth=1
	s_or_b32 exec_lo, exec_lo, s1
	v_add_co_u32 v18, vcc_lo, 0xffffffc1, v78
	v_add_co_ci_u32_e64 v19, null, -1, v79, vcc_lo
	v_mov_b32_e32 v17, v2
	v_mov_b32_e32 v3, v2
	;; [unrolled: 1-line block ×15, first 2 shown]
	v_cmp_gt_i64_e32 vcc_lo, s[8:9], v[18:19]
	v_mov_b32_e32 v34, v17
	v_mov_b32_e32 v31, v14
	;; [unrolled: 1-line block ×32, first 2 shown]
	s_and_b32 s30, s0, vcc_lo
	s_and_saveexec_b32 s1, s30
	s_cbranch_execz .LBB42_12
; %bb.11:                               ;   in Loop: Header=BB42_5 Depth=1
	v_add_co_u32 v3, vcc_lo, v46, v39
	v_add_co_ci_u32_e64 v4, null, v47, v40, vcc_lo
	v_add_co_u32 v5, vcc_lo, v48, v39
	v_add_co_ci_u32_e64 v6, null, v49, v40, vcc_lo
	global_load_dwordx2 v[3:4], v[3:4], off
	global_load_dwordx2 v[19:20], v[5:6], off
	v_mov_b32_e32 v5, v2
	v_mov_b32_e32 v6, v2
	;; [unrolled: 1-line block ×28, first 2 shown]
.LBB42_12:                              ;   in Loop: Header=BB42_5 Depth=1
	s_or_b32 exec_lo, exec_lo, s1
	v_add_co_u32 v80, vcc_lo, 0xffffffc2, v78
	v_add_co_ci_u32_e64 v81, null, -1, v79, vcc_lo
	v_cmp_gt_i64_e32 vcc_lo, s[8:9], v[80:81]
	s_and_b32 s30, s0, vcc_lo
	s_and_saveexec_b32 s1, s30
	s_cbranch_execz .LBB42_14
; %bb.13:                               ;   in Loop: Header=BB42_5 Depth=1
	v_add_co_u32 v5, vcc_lo, v74, v39
	v_add_co_ci_u32_e64 v6, null, v75, v40, vcc_lo
	v_add_co_u32 v21, vcc_lo, v76, v39
	v_add_co_ci_u32_e64 v22, null, v77, v40, vcc_lo
	global_load_dwordx2 v[5:6], v[5:6], off
	global_load_dwordx2 v[21:22], v[21:22], off
.LBB42_14:                              ;   in Loop: Header=BB42_5 Depth=1
	s_or_b32 exec_lo, exec_lo, s1
	v_add_co_u32 v80, vcc_lo, 0xffffffc3, v78
	v_add_co_ci_u32_e64 v81, null, -1, v79, vcc_lo
	v_cmp_gt_i64_e32 vcc_lo, s[8:9], v[80:81]
	s_and_b32 s30, s0, vcc_lo
	s_and_saveexec_b32 s1, s30
	s_cbranch_execz .LBB42_16
; %bb.15:                               ;   in Loop: Header=BB42_5 Depth=1
	v_add_co_u32 v7, vcc_lo, v70, v39
	v_add_co_ci_u32_e64 v8, null, v71, v40, vcc_lo
	v_add_co_u32 v23, vcc_lo, v72, v39
	v_add_co_ci_u32_e64 v24, null, v73, v40, vcc_lo
	global_load_dwordx2 v[7:8], v[7:8], off
	global_load_dwordx2 v[23:24], v[23:24], off
.LBB42_16:                              ;   in Loop: Header=BB42_5 Depth=1
	;; [unrolled: 15-line block ×7, first 2 shown]
	s_or_b32 exec_lo, exec_lo, s1
	s_waitcnt vmcnt(1)
	ds_bpermute_b32 v80, v2, v41
	ds_bpermute_b32 v81, v2, v42
	ds_bpermute_b32 v82, v2, v41 offset:4
	ds_bpermute_b32 v83, v2, v42 offset:4
	;; [unrolled: 1-line block ×4, first 2 shown]
	s_mov_b32 s1, 0
	s_waitcnt vmcnt(0) lgkmcnt(4)
	v_add_f64 v[19:20], v[19:20], -v[80:81]
	ds_bpermute_b32 v80, v2, v41 offset:8
	s_waitcnt lgkmcnt(3)
	v_add_f64 v[21:22], v[21:22], -v[82:83]
	ds_bpermute_b32 v81, v2, v42 offset:8
	ds_bpermute_b32 v82, v2, v43
	ds_bpermute_b32 v83, v2, v44
	s_waitcnt lgkmcnt(4)
	v_add_f64 v[25:26], v[25:26], -v[84:85]
	v_mul_f64 v[19:20], v[3:4], v[19:20]
	v_add_f64 v[3:4], v[37:38], v[3:4]
	s_waitcnt lgkmcnt(2)
	v_add_f64 v[23:24], v[23:24], -v[80:81]
	v_mul_f64 v[21:22], v[5:6], v[21:22]
	ds_bpermute_b32 v80, v2, v43 offset:4
	ds_bpermute_b32 v81, v2, v44 offset:4
	v_mul_f64 v[25:26], v[9:10], v[25:26]
	s_waitcnt lgkmcnt(2)
	v_fma_f64 v[19:20], v[19:20], v[82:83], v[35:36]
	v_add_f64 v[3:4], v[5:6], v[3:4]
	v_mul_f64 v[5:6], v[7:8], v[23:24]
	ds_bpermute_b32 v82, v2, v41 offset:16
	ds_bpermute_b32 v83, v2, v42 offset:16
	;; [unrolled: 1-line block ×4, first 2 shown]
	s_waitcnt lgkmcnt(4)
	v_fma_f64 v[19:20], v[21:22], v[80:81], v[19:20]
	ds_bpermute_b32 v21, v2, v43 offset:8
	ds_bpermute_b32 v22, v2, v44 offset:8
	s_waitcnt lgkmcnt(4)
	v_add_f64 v[27:28], v[27:28], -v[82:83]
	v_add_f64 v[3:4], v[7:8], v[3:4]
	ds_bpermute_b32 v7, v2, v43 offset:12
	ds_bpermute_b32 v8, v2, v44 offset:12
	s_waitcnt lgkmcnt(2)
	v_fma_f64 v[5:6], v[5:6], v[21:22], v[19:20]
	v_add_f64 v[21:22], v[29:30], -v[23:24]
	ds_bpermute_b32 v19, v2, v41 offset:24
	v_mul_f64 v[23:24], v[11:12], v[27:28]
	v_add_f64 v[3:4], v[9:10], v[3:4]
	ds_bpermute_b32 v20, v2, v42 offset:24
	s_waitcnt lgkmcnt(2)
	v_fma_f64 v[5:6], v[25:26], v[7:8], v[5:6]
	ds_bpermute_b32 v7, v2, v43 offset:16
	ds_bpermute_b32 v8, v2, v44 offset:16
	s_waitcnt lgkmcnt(2)
	v_add_f64 v[9:10], v[31:32], -v[19:20]
	v_mul_f64 v[19:20], v[13:14], v[21:22]
	v_add_f64 v[3:4], v[11:12], v[3:4]
	ds_bpermute_b32 v11, v2, v43 offset:24
	ds_bpermute_b32 v12, v2, v44 offset:24
	s_waitcnt lgkmcnt(2)
	v_fma_f64 v[5:6], v[23:24], v[7:8], v[5:6]
	ds_bpermute_b32 v7, v2, v43 offset:20
	ds_bpermute_b32 v8, v2, v44 offset:20
	v_mul_f64 v[9:10], v[15:16], v[9:10]
	ds_bpermute_b32 v43, v2, v43 offset:28
	v_add_f64 v[3:4], v[13:14], v[3:4]
	ds_bpermute_b32 v44, v2, v44 offset:28
	s_waitcnt lgkmcnt(2)
	v_fma_f64 v[7:8], v[19:20], v[7:8], v[5:6]
	v_add_f64 v[5:6], v[15:16], v[3:4]
	v_fma_f64 v[3:4], v[9:10], v[11:12], v[7:8]
	ds_bpermute_b32 v7, v2, v41 offset:28
	ds_bpermute_b32 v8, v2, v42 offset:28
.LBB42_27:                              ;   in Loop: Header=BB42_5 Depth=1
	s_and_b32 vcc_lo, exec_lo, s1
	s_cbranch_vccz .LBB42_4
; %bb.28:                               ;   in Loop: Header=BB42_5 Depth=1
	s_load_dword s1, s[20:21], 0x0
	s_waitcnt lgkmcnt(0)
	v_mov_b32_e32 v43, 0
	v_mov_b32_e32 v41, 0
	;; [unrolled: 1-line block ×4, first 2 shown]
	s_cmp_lt_u32 s6, s1
	s_cselect_b32 s1, 12, 18
	s_add_u32 s30, s20, s1
	s_addc_u32 s31, s21, 0
	s_mov_b32 s1, exec_lo
	global_load_ushort v3, v2, s[30:31]
	s_waitcnt vmcnt(0)
	v_mad_u32_u24 v3, v1, v3, v0
	v_and_b32_e32 v3, 31, v3
	v_cmpx_gt_u32_e32 8, v3
	s_cbranch_execz .LBB42_32
; %bb.29:                               ;   in Loop: Header=BB42_5 Depth=1
	v_add_co_u32 v3, vcc_lo, v78, v3
	v_add_co_ci_u32_e64 v4, null, 0, v79, vcc_lo
	v_mov_b32_e32 v41, 0
	v_add_co_u32 v3, vcc_lo, 0xffffffc1, v3
	v_mov_b32_e32 v43, 0
	v_add_co_ci_u32_e64 v4, null, -1, v4, vcc_lo
	v_mov_b32_e32 v42, 0
	v_mov_b32_e32 v44, 0
	s_mov_b32 s30, exec_lo
	v_cmpx_gt_i64_e64 s[8:9], v[3:4]
	s_cbranch_execz .LBB42_31
; %bb.30:                               ;   in Loop: Header=BB42_5 Depth=1
	v_lshlrev_b64 v[3:4], 3, v[3:4]
	v_add_co_u32 v5, vcc_lo, s16, v3
	v_add_co_ci_u32_e64 v6, null, s17, v4, vcc_lo
	v_add_co_u32 v3, vcc_lo, s18, v3
	v_add_co_ci_u32_e64 v4, null, s19, v4, vcc_lo
	global_load_dwordx2 v[41:42], v[5:6], off
	global_load_dwordx2 v[43:44], v[3:4], off
.LBB42_31:                              ;   in Loop: Header=BB42_5 Depth=1
	s_or_b32 exec_lo, exec_lo, s30
.LBB42_32:                              ;   in Loop: Header=BB42_5 Depth=1
	s_or_b32 exec_lo, exec_lo, s1
	v_mov_b32_e32 v17, v2
	v_mov_b32_e32 v3, v2
	;; [unrolled: 1-line block ×47, first 2 shown]
	s_and_saveexec_b32 s1, s0
	s_cbranch_execnz .LBB42_40
; %bb.33:                               ;   in Loop: Header=BB42_5 Depth=1
	s_or_b32 exec_lo, exec_lo, s1
	s_and_saveexec_b32 s1, s0
	s_cbranch_execnz .LBB42_41
.LBB42_34:                              ;   in Loop: Header=BB42_5 Depth=1
	s_or_b32 exec_lo, exec_lo, s1
	s_and_saveexec_b32 s1, s0
	s_cbranch_execnz .LBB42_42
.LBB42_35:                              ;   in Loop: Header=BB42_5 Depth=1
	s_or_b32 exec_lo, exec_lo, s1
	s_and_saveexec_b32 s1, s0
	s_cbranch_execnz .LBB42_43
.LBB42_36:                              ;   in Loop: Header=BB42_5 Depth=1
	s_or_b32 exec_lo, exec_lo, s1
	s_and_saveexec_b32 s1, s0
	s_cbranch_execnz .LBB42_44
.LBB42_37:                              ;   in Loop: Header=BB42_5 Depth=1
	s_or_b32 exec_lo, exec_lo, s1
	s_and_saveexec_b32 s1, s0
	s_cbranch_execnz .LBB42_45
.LBB42_38:                              ;   in Loop: Header=BB42_5 Depth=1
	s_or_b32 exec_lo, exec_lo, s1
	s_and_saveexec_b32 s1, s0
	s_cbranch_execnz .LBB42_46
.LBB42_39:                              ;   in Loop: Header=BB42_5 Depth=1
	s_or_b32 exec_lo, exec_lo, s1
	s_and_saveexec_b32 s1, s0
	s_cbranch_execz .LBB42_3
	s_branch .LBB42_47
.LBB42_40:                              ;   in Loop: Header=BB42_5 Depth=1
	v_add_co_u32 v3, vcc_lo, v46, v39
	v_add_co_ci_u32_e64 v4, null, v47, v40, vcc_lo
	v_add_co_u32 v5, vcc_lo, v48, v39
	v_add_co_ci_u32_e64 v6, null, v49, v40, vcc_lo
	global_load_dwordx2 v[3:4], v[3:4], off
	global_load_dwordx2 v[19:20], v[5:6], off
	v_mov_b32_e32 v5, v2
	v_mov_b32_e32 v6, v2
	;; [unrolled: 1-line block ×28, first 2 shown]
	s_or_b32 exec_lo, exec_lo, s1
	s_and_saveexec_b32 s1, s0
	s_cbranch_execz .LBB42_34
.LBB42_41:                              ;   in Loop: Header=BB42_5 Depth=1
	v_add_co_u32 v5, vcc_lo, v74, v39
	v_add_co_ci_u32_e64 v6, null, v75, v40, vcc_lo
	v_add_co_u32 v21, vcc_lo, v76, v39
	v_add_co_ci_u32_e64 v22, null, v77, v40, vcc_lo
	global_load_dwordx2 v[5:6], v[5:6], off
	global_load_dwordx2 v[21:22], v[21:22], off
	s_or_b32 exec_lo, exec_lo, s1
	s_and_saveexec_b32 s1, s0
	s_cbranch_execz .LBB42_35
.LBB42_42:                              ;   in Loop: Header=BB42_5 Depth=1
	v_add_co_u32 v7, vcc_lo, v70, v39
	v_add_co_ci_u32_e64 v8, null, v71, v40, vcc_lo
	v_add_co_u32 v23, vcc_lo, v72, v39
	v_add_co_ci_u32_e64 v24, null, v73, v40, vcc_lo
	global_load_dwordx2 v[7:8], v[7:8], off
	global_load_dwordx2 v[23:24], v[23:24], off
	s_or_b32 exec_lo, exec_lo, s1
	s_and_saveexec_b32 s1, s0
	s_cbranch_execz .LBB42_36
.LBB42_43:                              ;   in Loop: Header=BB42_5 Depth=1
	v_add_co_u32 v9, vcc_lo, v66, v39
	v_add_co_ci_u32_e64 v10, null, v67, v40, vcc_lo
	v_add_co_u32 v25, vcc_lo, v68, v39
	v_add_co_ci_u32_e64 v26, null, v69, v40, vcc_lo
	global_load_dwordx2 v[9:10], v[9:10], off
	global_load_dwordx2 v[25:26], v[25:26], off
	s_or_b32 exec_lo, exec_lo, s1
	s_and_saveexec_b32 s1, s0
	s_cbranch_execz .LBB42_37
.LBB42_44:                              ;   in Loop: Header=BB42_5 Depth=1
	v_add_co_u32 v11, vcc_lo, v62, v39
	v_add_co_ci_u32_e64 v12, null, v63, v40, vcc_lo
	v_add_co_u32 v27, vcc_lo, v64, v39
	v_add_co_ci_u32_e64 v28, null, v65, v40, vcc_lo
	global_load_dwordx2 v[11:12], v[11:12], off
	global_load_dwordx2 v[27:28], v[27:28], off
	s_or_b32 exec_lo, exec_lo, s1
	s_and_saveexec_b32 s1, s0
	s_cbranch_execz .LBB42_38
.LBB42_45:                              ;   in Loop: Header=BB42_5 Depth=1
	v_add_co_u32 v13, vcc_lo, v58, v39
	v_add_co_ci_u32_e64 v14, null, v59, v40, vcc_lo
	v_add_co_u32 v29, vcc_lo, v60, v39
	v_add_co_ci_u32_e64 v30, null, v61, v40, vcc_lo
	global_load_dwordx2 v[13:14], v[13:14], off
	global_load_dwordx2 v[29:30], v[29:30], off
	s_or_b32 exec_lo, exec_lo, s1
	s_and_saveexec_b32 s1, s0
	s_cbranch_execz .LBB42_39
.LBB42_46:                              ;   in Loop: Header=BB42_5 Depth=1
	v_add_co_u32 v15, vcc_lo, v54, v39
	v_add_co_ci_u32_e64 v16, null, v55, v40, vcc_lo
	v_add_co_u32 v31, vcc_lo, v56, v39
	v_add_co_ci_u32_e64 v32, null, v57, v40, vcc_lo
	global_load_dwordx2 v[15:16], v[15:16], off
	global_load_dwordx2 v[31:32], v[31:32], off
	s_or_b32 exec_lo, exec_lo, s1
	s_and_saveexec_b32 s1, s0
	s_cbranch_execz .LBB42_3
.LBB42_47:                              ;   in Loop: Header=BB42_5 Depth=1
	v_add_co_u32 v17, vcc_lo, v50, v39
	v_add_co_ci_u32_e64 v18, null, v51, v40, vcc_lo
	v_add_co_u32 v33, vcc_lo, v52, v39
	v_add_co_ci_u32_e64 v34, null, v53, v40, vcc_lo
	global_load_dwordx2 v[17:18], v[17:18], off
	global_load_dwordx2 v[33:34], v[33:34], off
	s_branch .LBB42_3
.LBB42_48:
                                        ; implicit-def: $vgpr37_vgpr38
                                        ; implicit-def: $vgpr35_vgpr36
	s_branch .LBB42_50
.LBB42_49:
	s_cbranch_execnz .LBB42_81
.LBB42_50:
	v_mov_b32_e32 v37, 0
	v_mov_b32_e32 v35, 0
	;; [unrolled: 1-line block ×4, first 2 shown]
	s_andn2_b32 vcc_lo, exec_lo, s7
	s_cbranch_vccnz .LBB42_81
; %bb.51:
	s_load_dword s7, s[4:5], 0x44
	v_lshlrev_b32_e32 v73, 3, v1
	v_lshlrev_b32_e32 v6, 6, v1
	v_mov_b32_e32 v35, 0
	v_mov_b32_e32 v37, 0
	;; [unrolled: 1-line block ×3, first 2 shown]
	v_add_co_u32 v10, s0, v73, s2
	v_add_co_ci_u32_e64 v11, null, 0, 0, s0
	s_add_u32 s0, s4, 64
	v_mul_lo_u32 v4, s11, v10
	v_mad_u64_u32 v[2:3], null, s10, v10, 0
	v_mul_lo_u32 v5, s10, v11
	s_addc_u32 s1, s5, 0
	v_mov_b32_e32 v38, 0
	s_waitcnt lgkmcnt(0)
	s_lshl_b32 s7, s7, 6
	v_add3_u32 v3, v3, v5, v4
	s_mul_i32 s21, s11, s7
	s_mul_hi_u32 s22, s10, s7
	s_mul_i32 s20, s10, s7
	s_add_i32 s21, s22, s21
	v_lshlrev_b64 v[4:5], 3, v[2:3]
	s_lshl_b64 s[20:21], s[20:21], 3
	s_add_u32 s22, s2, 63
	s_addc_u32 s23, 0, 0
	s_lshl_b64 s[24:25], s[2:3], 3
	v_add_co_u32 v6, s24, v6, s24
	v_add_co_ci_u32_e64 v7, null, 0, s25, s24
	v_add_co_u32 v8, vcc_lo, v6, 8
	v_add_co_ci_u32_e64 v9, null, 0, v7, vcc_lo
	v_add_co_u32 v74, vcc_lo, s12, v4
	v_add_co_ci_u32_e64 v75, null, s13, v5, vcc_lo
	v_add_co_u32 v76, vcc_lo, s14, v4
	v_add_co_ci_u32_e64 v77, null, s15, v5, vcc_lo
	v_add_co_u32 v4, vcc_lo, v6, 16
	v_add_co_ci_u32_e64 v5, null, 0, v7, vcc_lo
	v_add_co_u32 v13, vcc_lo, v6, 24
	v_add_co_ci_u32_e64 v14, null, 0, v7, vcc_lo
	v_add_co_u32 v16, vcc_lo, v6, 32
	v_add_co_ci_u32_e64 v18, null, 0, v7, vcc_lo
	v_add_co_u32 v19, vcc_lo, v6, 40
	v_mad_u64_u32 v[41:42], null, s10, v4, s[12:13]
	v_mul_lo_u32 v5, s10, v5
	v_mul_lo_u32 v15, s11, v4
	v_mad_u64_u32 v[55:56], null, s10, v4, s[14:15]
	v_add_co_ci_u32_e64 v20, null, 0, v7, vcc_lo
	v_add_co_u32 v22, vcc_lo, v6, 48
	v_add_co_ci_u32_e64 v24, null, 0, v7, vcc_lo
	v_add_co_u32 v6, vcc_lo, v6, 56
	v_mad_u64_u32 v[39:40], null, s10, v8, s[12:13]
	v_mul_lo_u32 v9, s10, v9
	v_mul_lo_u32 v12, s11, v8
	v_mad_u64_u32 v[53:54], null, s10, v8, s[14:15]
	v_add_co_ci_u32_e64 v7, null, 0, v7, vcc_lo
	v_add_co_u32 v4, vcc_lo, v10, 7
	v_add3_u32 v42, v15, v42, v5
	v_add3_u32 v56, v15, v56, v5
	v_add_co_ci_u32_e64 v5, null, 0, v11, vcc_lo
	v_mul_lo_u32 v26, s10, v7
	v_add_co_u32 v7, vcc_lo, v10, 6
	v_add3_u32 v40, v12, v40, v9
	v_add3_u32 v54, v12, v54, v9
	v_add_co_ci_u32_e64 v12, null, 0, v11, vcc_lo
	v_mul_lo_u32 v8, s11, v4
	v_mul_lo_u32 v9, s10, v5
	v_mad_u64_u32 v[4:5], null, s10, v4, 0
	v_mad_u64_u32 v[43:44], null, s10, v13, s[12:13]
	v_mul_lo_u32 v17, s11, v13
	v_mad_u64_u32 v[51:52], null, s10, v6, s[12:13]
	v_mul_lo_u32 v27, s11, v6
	v_mad_u64_u32 v[57:58], null, s10, v13, s[14:15]
	v_mad_u64_u32 v[65:66], null, s10, v6, s[14:15]
	v_mul_lo_u32 v13, s11, v7
	v_mul_lo_u32 v12, s10, v12
	v_mad_u64_u32 v[6:7], null, s10, v7, 0
	v_add3_u32 v5, v5, v9, v8
	v_add_co_u32 v8, vcc_lo, v10, 5
	v_add_co_ci_u32_e64 v9, null, 0, v11, vcc_lo
	v_lshlrev_b64 v[4:5], 3, v[4:5]
	v_add3_u32 v7, v7, v12, v13
	v_mul_lo_u32 v12, s11, v8
	v_mul_lo_u32 v13, s10, v9
	v_mad_u64_u32 v[8:9], null, s10, v8, 0
	v_lshlrev_b64 v[6:7], 3, v[6:7]
	v_add_co_u32 v78, vcc_lo, s12, v4
	v_add_co_ci_u32_e64 v79, null, s13, v5, vcc_lo
	v_add_co_u32 v80, vcc_lo, s14, v4
	v_add_co_ci_u32_e64 v81, null, s15, v5, vcc_lo
	;; [unrolled: 2-line block ×3, first 2 shown]
	v_add3_u32 v9, v9, v13, v12
	v_add_co_u32 v12, vcc_lo, v10, 4
	v_add_co_ci_u32_e64 v13, null, 0, v11, vcc_lo
	v_add_co_u32 v84, vcc_lo, s14, v6
	v_add_co_ci_u32_e64 v85, null, s15, v7, vcc_lo
	v_lshlrev_b64 v[4:5], 3, v[8:9]
	v_mul_lo_u32 v8, s11, v12
	v_mul_lo_u32 v9, s10, v13
	v_mad_u64_u32 v[6:7], null, s10, v12, 0
	v_mul_lo_u32 v14, s10, v14
	v_add_co_u32 v12, vcc_lo, v10, 3
	v_add_co_ci_u32_e64 v13, null, 0, v11, vcc_lo
	v_add_co_u32 v86, vcc_lo, s12, v4
	v_add_co_ci_u32_e64 v87, null, s13, v5, vcc_lo
	v_add3_u32 v7, v7, v9, v8
	v_add_co_u32 v10, vcc_lo, v10, 2
	v_add3_u32 v44, v17, v44, v14
	v_add3_u32 v58, v17, v58, v14
	v_mul_lo_u32 v14, s11, v12
	v_mul_lo_u32 v13, s10, v13
	v_mad_u64_u32 v[8:9], null, s10, v12, 0
	v_add_co_ci_u32_e64 v11, null, 0, v11, vcc_lo
	v_add_co_u32 v88, vcc_lo, s14, v4
	v_add_co_ci_u32_e64 v89, null, s15, v5, vcc_lo
	v_lshlrev_b64 v[4:5], 3, v[6:7]
	v_mul_lo_u32 v12, s11, v10
	v_mul_lo_u32 v11, s10, v11
	v_mad_u64_u32 v[6:7], null, s10, v10, 0
	v_add3_u32 v9, v9, v13, v14
	v_add_co_u32 v90, vcc_lo, s12, v4
	v_add_co_ci_u32_e64 v91, null, s13, v5, vcc_lo
	v_add_co_u32 v92, vcc_lo, s14, v4
	v_add_co_ci_u32_e64 v93, null, s15, v5, vcc_lo
	v_lshlrev_b64 v[4:5], 3, v[8:9]
	v_add3_u32 v7, v7, v11, v12
	v_add_co_u32 v2, vcc_lo, v2, s10
	v_add_co_ci_u32_e64 v3, null, s11, v3, vcc_lo
	v_lshlrev_b64 v[6:7], 3, v[6:7]
	v_add_co_u32 v94, vcc_lo, s12, v4
	v_add_co_ci_u32_e64 v95, null, s13, v5, vcc_lo
	v_add_co_u32 v96, vcc_lo, s14, v4
	v_lshlrev_b64 v[3:4], 3, v[2:3]
	v_mov_b32_e32 v2, 0
	v_mad_u64_u32 v[45:46], null, s10, v16, s[12:13]
	v_mul_lo_u32 v18, s10, v18
	v_mul_lo_u32 v21, s11, v16
	v_mad_u64_u32 v[47:48], null, s10, v19, s[12:13]
	v_mul_lo_u32 v20, s10, v20
	v_mul_lo_u32 v23, s11, v19
	;; [unrolled: 3-line block ×3, first 2 shown]
	v_mad_u64_u32 v[59:60], null, s10, v16, s[14:15]
	v_mad_u64_u32 v[61:62], null, s10, v19, s[14:15]
	;; [unrolled: 1-line block ×3, first 2 shown]
	v_add_co_ci_u32_e64 v97, null, s15, v5, vcc_lo
	v_add_co_u32 v98, vcc_lo, s12, v6
	v_add_co_ci_u32_e64 v99, null, s13, v7, vcc_lo
	v_add_co_u32 v100, vcc_lo, s14, v6
	v_add_nc_u32_e32 v5, s28, v0
	v_mov_b32_e32 v6, v2
	v_add_co_ci_u32_e64 v101, null, s15, v7, vcc_lo
	v_add_co_u32 v102, vcc_lo, s12, v3
	v_add_co_ci_u32_e64 v103, null, s13, v4, vcc_lo
	v_add_co_u32 v104, vcc_lo, s14, v3
	v_lshlrev_b64 v[67:68], 3, v[5:6]
	v_add3_u32 v46, v21, v46, v18
	v_add3_u32 v48, v23, v48, v20
	;; [unrolled: 1-line block ×8, first 2 shown]
	v_add_co_ci_u32_e64 v105, null, s15, v4, vcc_lo
	s_branch .LBB42_55
.LBB42_52:                              ;   in Loop: Header=BB42_55 Depth=1
	s_or_b32 exec_lo, exec_lo, s13
.LBB42_53:                              ;   in Loop: Header=BB42_55 Depth=1
	s_or_b32 exec_lo, exec_lo, s12
	v_add_co_u32 v7, vcc_lo, v76, v67
	v_add_co_ci_u32_e64 v8, null, v77, v68, vcc_lo
	v_add_co_u32 v9, vcc_lo, v53, v67
	v_add_co_ci_u32_e64 v10, null, v54, v68, vcc_lo
	global_load_dwordx2 v[7:8], v[7:8], off
	v_add_co_u32 v11, vcc_lo, v74, v67
	v_add_co_ci_u32_e64 v12, null, v75, v68, vcc_lo
	global_load_dwordx2 v[9:10], v[9:10], off
	global_load_dwordx2 v[11:12], v[11:12], off
	v_add_co_u32 v13, vcc_lo, v55, v67
	v_add_co_ci_u32_e64 v14, null, v56, v68, vcc_lo
	v_add_co_u32 v15, vcc_lo, v39, v67
	v_add_co_ci_u32_e64 v16, null, v40, v68, vcc_lo
	global_load_dwordx2 v[13:14], v[13:14], off
	global_load_dwordx2 v[15:16], v[15:16], off
	v_add_co_u32 v17, vcc_lo, v57, v67
	v_add_co_ci_u32_e64 v18, null, v58, v68, vcc_lo
	;; [unrolled: 6-line block ×5, first 2 shown]
	v_add_co_u32 v31, vcc_lo, v47, v67
	v_add_co_ci_u32_e64 v32, null, v48, v68, vcc_lo
	v_add_co_u32 v33, vcc_lo, v65, v67
	v_add_co_ci_u32_e64 v34, null, v66, v68, vcc_lo
	global_load_dwordx2 v[69:70], v[17:18], off
	global_load_dwordx2 v[31:32], v[31:32], off
	;; [unrolled: 1-line block ×3, first 2 shown]
	v_add_co_u32 v17, vcc_lo, v49, v67
	v_add_co_ci_u32_e64 v18, null, v50, v68, vcc_lo
	v_add_co_u32 v71, vcc_lo, v51, v67
	v_add_co_ci_u32_e64 v72, null, v52, v68, vcc_lo
	global_load_dwordx2 v[106:107], v[17:18], off
	global_load_dwordx2 v[17:18], v[71:72], off
	s_waitcnt vmcnt(17)
	ds_bpermute_b32 v71, v2, v5
	ds_bpermute_b32 v72, v2, v6
	ds_bpermute_b32 v108, v2, v5 offset:4
	ds_bpermute_b32 v109, v2, v6 offset:4
	;; [unrolled: 1-line block ×4, first 2 shown]
	s_waitcnt vmcnt(15) lgkmcnt(4)
	v_add_f64 v[7:8], v[7:8], -v[71:72]
	ds_bpermute_b32 v71, v2, v5 offset:8
	ds_bpermute_b32 v72, v2, v6 offset:8
	s_waitcnt vmcnt(14) lgkmcnt(4)
	v_add_f64 v[9:10], v[9:10], -v[108:109]
	ds_bpermute_b32 v108, v2, v3
	ds_bpermute_b32 v109, v2, v4
	s_waitcnt vmcnt(12) lgkmcnt(2)
	v_add_f64 v[13:14], v[13:14], -v[71:72]
	v_mul_f64 v[7:8], v[11:12], v[7:8]
	v_add_f64 v[11:12], v[37:38], v[11:12]
	ds_bpermute_b32 v37, v2, v5 offset:16
	ds_bpermute_b32 v38, v2, v6 offset:16
	s_waitcnt vmcnt(11)
	v_mul_f64 v[9:10], v[15:16], v[9:10]
	s_waitcnt vmcnt(10)
	v_add_f64 v[21:22], v[21:22], -v[110:111]
	s_waitcnt vmcnt(9)
	v_mul_f64 v[13:14], v[19:20], v[13:14]
	s_waitcnt lgkmcnt(2)
	v_fma_f64 v[7:8], v[7:8], v[108:109], v[35:36]
	ds_bpermute_b32 v35, v2, v3 offset:4
	ds_bpermute_b32 v36, v2, v4 offset:4
	v_add_f64 v[11:12], v[11:12], v[15:16]
	s_waitcnt vmcnt(8) lgkmcnt(2)
	v_add_f64 v[25:26], v[25:26], -v[37:38]
	ds_bpermute_b32 v15, v2, v5 offset:20
	s_waitcnt vmcnt(7)
	v_mul_f64 v[21:22], v[23:24], v[21:22]
	ds_bpermute_b32 v16, v2, v6 offset:20
	s_waitcnt lgkmcnt(2)
	v_fma_f64 v[7:8], v[9:10], v[35:36], v[7:8]
	ds_bpermute_b32 v9, v2, v3 offset:8
	ds_bpermute_b32 v10, v2, v4 offset:8
	v_add_f64 v[11:12], v[11:12], v[19:20]
	s_waitcnt vmcnt(5)
	v_mul_f64 v[25:26], v[27:28], v[25:26]
	s_waitcnt lgkmcnt(2)
	v_add_f64 v[15:16], v[29:30], -v[15:16]
	ds_bpermute_b32 v19, v2, v3 offset:16
	ds_bpermute_b32 v20, v2, v4 offset:16
	s_waitcnt lgkmcnt(2)
	v_fma_f64 v[7:8], v[13:14], v[9:10], v[7:8]
	ds_bpermute_b32 v9, v2, v3 offset:12
	ds_bpermute_b32 v10, v2, v4 offset:12
	v_add_f64 v[11:12], v[11:12], v[23:24]
	ds_bpermute_b32 v13, v2, v5 offset:24
	ds_bpermute_b32 v14, v2, v6 offset:24
	;; [unrolled: 1-line block ×4, first 2 shown]
	s_waitcnt vmcnt(3)
	v_mul_f64 v[15:16], v[31:32], v[15:16]
	s_waitcnt lgkmcnt(4)
	v_fma_f64 v[7:8], v[21:22], v[9:10], v[7:8]
	ds_bpermute_b32 v9, v2, v3 offset:20
	ds_bpermute_b32 v10, v2, v4 offset:20
	s_waitcnt lgkmcnt(4)
	v_add_f64 v[13:14], v[69:70], -v[13:14]
	v_add_f64 v[11:12], v[11:12], v[27:28]
	s_waitcnt vmcnt(2) lgkmcnt(2)
	v_add_f64 v[5:6], v[33:34], -v[5:6]
	v_fma_f64 v[7:8], v[25:26], v[19:20], v[7:8]
	ds_bpermute_b32 v19, v2, v3 offset:24
	ds_bpermute_b32 v20, v2, v4 offset:24
	s_waitcnt vmcnt(1)
	v_mul_f64 v[13:14], v[106:107], v[13:14]
	v_add_f64 v[11:12], v[11:12], v[31:32]
	s_waitcnt vmcnt(0)
	v_mul_f64 v[5:6], v[17:18], v[5:6]
	s_waitcnt lgkmcnt(2)
	v_fma_f64 v[7:8], v[15:16], v[9:10], v[7:8]
	ds_bpermute_b32 v9, v2, v3 offset:28
	ds_bpermute_b32 v10, v2, v4 offset:28
	v_add_f64 v[3:4], v[11:12], v[106:107]
	s_waitcnt lgkmcnt(0)
	v_mul_f64 v[5:6], v[5:6], v[9:10]
	v_fma_f64 v[7:8], v[13:14], v[19:20], v[7:8]
.LBB42_54:                              ;   in Loop: Header=BB42_55 Depth=1
	v_add_co_u32 v74, vcc_lo, v74, s20
	v_add_co_ci_u32_e64 v75, null, s21, v75, vcc_lo
	v_add_co_u32 v76, vcc_lo, v76, s20
	v_add_co_ci_u32_e64 v77, null, s21, v77, vcc_lo
	;; [unrolled: 2-line block ×21, first 2 shown]
	v_add_co_u32 v88, vcc_lo, v88, s20
	v_add_f64 v[35:36], v[7:8], v[5:6]
	v_add_f64 v[37:38], v[3:4], v[17:18]
	v_add_co_ci_u32_e64 v89, null, s21, v89, vcc_lo
	v_add_co_u32 v90, vcc_lo, v90, s20
	v_add_co_ci_u32_e64 v91, null, s21, v91, vcc_lo
	v_add_co_u32 v92, vcc_lo, v92, s20
	;; [unrolled: 2-line block ×5, first 2 shown]
	s_add_u32 s2, s2, s7
	v_add_co_ci_u32_e64 v99, null, s21, v99, vcc_lo
	v_add_co_u32 v100, vcc_lo, v100, s20
	s_addc_u32 s3, s3, 0
	v_add_co_ci_u32_e64 v101, null, s21, v101, vcc_lo
	v_add_co_u32 v102, vcc_lo, v102, s20
	v_cmp_ge_i64_e64 s12, s[2:3], s[8:9]
	v_add_co_ci_u32_e64 v103, null, s21, v103, vcc_lo
	v_add_co_u32 v104, vcc_lo, v104, s20
	v_add_co_ci_u32_e64 v105, null, s21, v105, vcc_lo
	s_add_u32 s22, s22, s7
	s_addc_u32 s23, s23, 0
	s_and_b32 vcc_lo, exec_lo, s12
	s_cbranch_vccnz .LBB42_81
.LBB42_55:                              ; =>This Inner Loop Header: Depth=1
	v_cmp_ge_i64_e64 s12, s[22:23], s[8:9]
	v_add_co_u32 v106, s13, v73, s22
	v_add_co_ci_u32_e64 v107, null, 0, s23, s13
                                        ; implicit-def: $vgpr17_vgpr18
                                        ; implicit-def: $vgpr5_vgpr6
                                        ; implicit-def: $vgpr3_vgpr4
                                        ; implicit-def: $vgpr7_vgpr8
	s_and_b32 vcc_lo, exec_lo, s12
	s_mov_b32 s12, -1
	s_cbranch_vccz .LBB42_77
; %bb.56:                               ;   in Loop: Header=BB42_55 Depth=1
	s_load_dword s12, s[0:1], 0xc
	v_mov_b32_e32 v69, 0
	v_mov_b32_e32 v71, 0
	;; [unrolled: 1-line block ×4, first 2 shown]
	s_waitcnt lgkmcnt(0)
	s_and_b32 s12, s12, 0xffff
	v_mad_u32_u24 v3, v1, s12, v0
	s_mov_b32 s12, exec_lo
	v_and_b32_e32 v3, 31, v3
	v_cmpx_gt_u32_e32 8, v3
	s_cbranch_execz .LBB42_60
; %bb.57:                               ;   in Loop: Header=BB42_55 Depth=1
	v_add_co_u32 v3, vcc_lo, v106, v3
	v_add_co_ci_u32_e64 v4, null, 0, v107, vcc_lo
	v_mov_b32_e32 v71, 0
	v_add_co_u32 v3, vcc_lo, 0xffffffc1, v3
	v_mov_b32_e32 v69, 0
	v_add_co_ci_u32_e64 v4, null, -1, v4, vcc_lo
	v_mov_b32_e32 v72, 0
	v_mov_b32_e32 v70, 0
	s_mov_b32 s13, exec_lo
	v_cmpx_gt_i64_e64 s[8:9], v[3:4]
	s_cbranch_execz .LBB42_59
; %bb.58:                               ;   in Loop: Header=BB42_55 Depth=1
	v_lshlrev_b64 v[3:4], 3, v[3:4]
	v_add_co_u32 v5, vcc_lo, s16, v3
	v_add_co_ci_u32_e64 v6, null, s17, v4, vcc_lo
	v_add_co_u32 v3, vcc_lo, s18, v3
	v_add_co_ci_u32_e64 v4, null, s19, v4, vcc_lo
	global_load_dwordx2 v[71:72], v[5:6], off
	global_load_dwordx2 v[69:70], v[3:4], off
.LBB42_59:                              ;   in Loop: Header=BB42_55 Depth=1
	s_or_b32 exec_lo, exec_lo, s13
.LBB42_60:                              ;   in Loop: Header=BB42_55 Depth=1
	s_or_b32 exec_lo, exec_lo, s12
	v_add_co_u32 v18, vcc_lo, 0xffffffc1, v106
	v_add_co_ci_u32_e64 v19, null, -1, v107, vcc_lo
	v_mov_b32_e32 v17, v2
	v_mov_b32_e32 v3, v2
	v_mov_b32_e32 v4, v2
	v_mov_b32_e32 v5, v2
	v_mov_b32_e32 v6, v2
	v_mov_b32_e32 v7, v2
	v_mov_b32_e32 v8, v2
	v_mov_b32_e32 v9, v2
	v_mov_b32_e32 v10, v2
	v_mov_b32_e32 v11, v2
	v_mov_b32_e32 v12, v2
	v_mov_b32_e32 v13, v2
	v_mov_b32_e32 v14, v2
	v_mov_b32_e32 v15, v2
	v_mov_b32_e32 v16, v2
	v_cmp_gt_i64_e32 vcc_lo, s[8:9], v[18:19]
	v_mov_b32_e32 v34, v17
	v_mov_b32_e32 v31, v14
	;; [unrolled: 1-line block ×32, first 2 shown]
	s_and_saveexec_b32 s12, vcc_lo
	s_cbranch_execz .LBB42_62
; %bb.61:                               ;   in Loop: Header=BB42_55 Depth=1
	v_add_co_u32 v3, vcc_lo, v74, v67
	v_add_co_ci_u32_e64 v4, null, v75, v68, vcc_lo
	v_add_co_u32 v5, vcc_lo, v76, v67
	v_add_co_ci_u32_e64 v6, null, v77, v68, vcc_lo
	global_load_dwordx2 v[3:4], v[3:4], off
	global_load_dwordx2 v[19:20], v[5:6], off
	v_mov_b32_e32 v5, v2
	v_mov_b32_e32 v6, v2
	;; [unrolled: 1-line block ×28, first 2 shown]
.LBB42_62:                              ;   in Loop: Header=BB42_55 Depth=1
	s_or_b32 exec_lo, exec_lo, s12
	v_add_co_u32 v108, vcc_lo, 0xffffffc2, v106
	v_add_co_ci_u32_e64 v109, null, -1, v107, vcc_lo
	s_mov_b32 s12, exec_lo
	v_cmpx_gt_i64_e64 s[8:9], v[108:109]
	s_cbranch_execz .LBB42_64
; %bb.63:                               ;   in Loop: Header=BB42_55 Depth=1
	v_add_co_u32 v5, vcc_lo, v102, v67
	v_add_co_ci_u32_e64 v6, null, v103, v68, vcc_lo
	v_add_co_u32 v21, vcc_lo, v104, v67
	v_add_co_ci_u32_e64 v22, null, v105, v68, vcc_lo
	global_load_dwordx2 v[5:6], v[5:6], off
	global_load_dwordx2 v[21:22], v[21:22], off
.LBB42_64:                              ;   in Loop: Header=BB42_55 Depth=1
	s_or_b32 exec_lo, exec_lo, s12
	v_add_co_u32 v108, vcc_lo, 0xffffffc3, v106
	v_add_co_ci_u32_e64 v109, null, -1, v107, vcc_lo
	s_mov_b32 s12, exec_lo
	v_cmpx_gt_i64_e64 s[8:9], v[108:109]
	s_cbranch_execz .LBB42_66
; %bb.65:                               ;   in Loop: Header=BB42_55 Depth=1
	v_add_co_u32 v7, vcc_lo, v98, v67
	v_add_co_ci_u32_e64 v8, null, v99, v68, vcc_lo
	v_add_co_u32 v23, vcc_lo, v100, v67
	v_add_co_ci_u32_e64 v24, null, v101, v68, vcc_lo
	global_load_dwordx2 v[7:8], v[7:8], off
	global_load_dwordx2 v[23:24], v[23:24], off
.LBB42_66:                              ;   in Loop: Header=BB42_55 Depth=1
	;; [unrolled: 14-line block ×7, first 2 shown]
	s_or_b32 exec_lo, exec_lo, s12
	s_waitcnt vmcnt(1)
	ds_bpermute_b32 v108, v2, v71
	ds_bpermute_b32 v109, v2, v72
	ds_bpermute_b32 v110, v2, v71 offset:4
	ds_bpermute_b32 v111, v2, v72 offset:4
	;; [unrolled: 1-line block ×4, first 2 shown]
	s_mov_b32 s12, 0
	s_waitcnt vmcnt(0) lgkmcnt(4)
	v_add_f64 v[19:20], v[19:20], -v[108:109]
	ds_bpermute_b32 v108, v2, v71 offset:8
	s_waitcnt lgkmcnt(3)
	v_add_f64 v[21:22], v[21:22], -v[110:111]
	ds_bpermute_b32 v109, v2, v72 offset:8
	ds_bpermute_b32 v110, v2, v69
	ds_bpermute_b32 v111, v2, v70
	s_waitcnt lgkmcnt(4)
	v_add_f64 v[25:26], v[25:26], -v[112:113]
	v_mul_f64 v[19:20], v[3:4], v[19:20]
	v_add_f64 v[3:4], v[37:38], v[3:4]
	s_waitcnt lgkmcnt(2)
	v_add_f64 v[23:24], v[23:24], -v[108:109]
	v_mul_f64 v[21:22], v[5:6], v[21:22]
	ds_bpermute_b32 v108, v2, v69 offset:4
	ds_bpermute_b32 v109, v2, v70 offset:4
	v_mul_f64 v[25:26], v[9:10], v[25:26]
	s_waitcnt lgkmcnt(2)
	v_fma_f64 v[19:20], v[19:20], v[110:111], v[35:36]
	v_add_f64 v[3:4], v[5:6], v[3:4]
	v_mul_f64 v[5:6], v[7:8], v[23:24]
	ds_bpermute_b32 v110, v2, v71 offset:16
	ds_bpermute_b32 v111, v2, v72 offset:16
	;; [unrolled: 1-line block ×4, first 2 shown]
	s_waitcnt lgkmcnt(4)
	v_fma_f64 v[19:20], v[21:22], v[108:109], v[19:20]
	ds_bpermute_b32 v21, v2, v69 offset:8
	ds_bpermute_b32 v22, v2, v70 offset:8
	s_waitcnt lgkmcnt(4)
	v_add_f64 v[27:28], v[27:28], -v[110:111]
	v_add_f64 v[3:4], v[7:8], v[3:4]
	ds_bpermute_b32 v7, v2, v69 offset:12
	ds_bpermute_b32 v8, v2, v70 offset:12
	s_waitcnt lgkmcnt(4)
	v_add_f64 v[23:24], v[29:30], -v[23:24]
	s_waitcnt lgkmcnt(2)
	v_fma_f64 v[5:6], v[5:6], v[21:22], v[19:20]
	ds_bpermute_b32 v19, v2, v69 offset:16
	ds_bpermute_b32 v21, v2, v71 offset:24
	v_mul_f64 v[27:28], v[11:12], v[27:28]
	v_add_f64 v[3:4], v[9:10], v[3:4]
	ds_bpermute_b32 v22, v2, v72 offset:24
	ds_bpermute_b32 v20, v2, v70 offset:16
	v_mul_f64 v[23:24], v[13:14], v[23:24]
	ds_bpermute_b32 v9, v2, v69 offset:20
	ds_bpermute_b32 v10, v2, v70 offset:20
	s_waitcnt lgkmcnt(6)
	v_fma_f64 v[5:6], v[25:26], v[7:8], v[5:6]
	ds_bpermute_b32 v7, v2, v71 offset:28
	ds_bpermute_b32 v8, v2, v72 offset:28
	s_waitcnt lgkmcnt(5)
	v_add_f64 v[21:22], v[31:32], -v[21:22]
	v_add_f64 v[3:4], v[11:12], v[3:4]
	ds_bpermute_b32 v11, v2, v69 offset:24
	ds_bpermute_b32 v12, v2, v70 offset:24
	s_waitcnt lgkmcnt(2)
	v_add_f64 v[7:8], v[33:34], -v[7:8]
	v_fma_f64 v[5:6], v[27:28], v[19:20], v[5:6]
	v_mul_f64 v[19:20], v[15:16], v[21:22]
	v_add_f64 v[3:4], v[13:14], v[3:4]
	ds_bpermute_b32 v13, v2, v69 offset:28
	ds_bpermute_b32 v14, v2, v70 offset:28
	v_fma_f64 v[5:6], v[23:24], v[9:10], v[5:6]
	v_mul_f64 v[9:10], v[17:18], v[7:8]
	v_add_f64 v[3:4], v[15:16], v[3:4]
	s_waitcnt lgkmcnt(2)
	v_fma_f64 v[7:8], v[19:20], v[11:12], v[5:6]
	s_waitcnt lgkmcnt(0)
	v_mul_f64 v[5:6], v[9:10], v[13:14]
.LBB42_77:                              ;   in Loop: Header=BB42_55 Depth=1
	s_and_b32 vcc_lo, exec_lo, s12
	s_cbranch_vccz .LBB42_54
; %bb.78:                               ;   in Loop: Header=BB42_55 Depth=1
	s_load_dword s12, s[0:1], 0x0
	v_mov_b32_e32 v5, 0
	v_mov_b32_e32 v6, 0
	s_waitcnt lgkmcnt(0)
	s_cmp_lt_u32 s6, s12
	s_cselect_b32 s12, 12, 18
	s_add_u32 s12, s0, s12
	s_addc_u32 s13, s1, 0
	global_load_ushort v3, v2, s[12:13]
	s_mov_b32 s12, exec_lo
	s_waitcnt vmcnt(0)
	v_mad_u32_u24 v3, v1, v3, v0
	v_and_b32_e32 v7, 31, v3
	v_mov_b32_e32 v3, 0
	v_mov_b32_e32 v4, 0
	v_cmpx_gt_u32_e32 8, v7
	s_cbranch_execz .LBB42_53
; %bb.79:                               ;   in Loop: Header=BB42_55 Depth=1
	v_add_co_u32 v3, vcc_lo, v106, v7
	v_add_co_ci_u32_e64 v4, null, 0, v107, vcc_lo
	v_mov_b32_e32 v5, 0
	v_add_co_u32 v7, vcc_lo, 0xffffffc1, v3
	v_add_co_ci_u32_e64 v8, null, -1, v4, vcc_lo
	v_mov_b32_e32 v3, 0
	v_mov_b32_e32 v6, 0
	;; [unrolled: 1-line block ×3, first 2 shown]
	s_mov_b32 s13, exec_lo
	v_cmpx_gt_i64_e64 s[8:9], v[7:8]
	s_cbranch_execz .LBB42_52
; %bb.80:                               ;   in Loop: Header=BB42_55 Depth=1
	v_lshlrev_b64 v[3:4], 3, v[7:8]
	v_add_co_u32 v5, vcc_lo, s16, v3
	v_add_co_ci_u32_e64 v6, null, s17, v4, vcc_lo
	v_add_co_u32 v3, vcc_lo, s18, v3
	v_add_co_ci_u32_e64 v4, null, s19, v4, vcc_lo
	global_load_dwordx2 v[5:6], v[5:6], off
	global_load_dwordx2 v[3:4], v[3:4], off
	s_branch .LBB42_52
.LBB42_81:
	v_mad_u32_u24 v2, v1, 33, v0
	v_lshrrev_b32_e32 v3, 5, v0
	s_mov_b32 s0, exec_lo
	v_lshl_add_u32 v2, v2, 3, 0
	v_add_nc_u32_e32 v8, v3, v1
	ds_write_b64 v2, v[35:36]
	ds_write_b64 v2, v[37:38] offset:2112
	s_waitcnt lgkmcnt(0)
	s_barrier
	buffer_gl0_inv
	v_cmpx_gt_u32_e32 32, v8
	s_cbranch_execz .LBB42_113
; %bb.82:
	s_load_dwordx4 s[12:15], s[4:5], 0x30
	v_and_b32_e32 v1, 31, v0
                                        ; implicit-def: $vgpr3_vgpr4
	v_cmp_gt_u32_e64 s0, 8, v1
	v_mul_u32_u24_e32 v7, 33, v1
                                        ; implicit-def: $vgpr1_vgpr2
	s_and_saveexec_b32 s1, s0
	s_cbranch_execz .LBB42_84
; %bb.83:
	v_add_nc_u32_e32 v1, v8, v7
	v_lshl_add_u32 v1, v1, 3, 0
	ds_read_b64 v[3:4], v1
	ds_read_b64 v[1:2], v1 offset:2112
.LBB42_84:
	s_or_b32 exec_lo, exec_lo, s1
	v_mbcnt_lo_u32_b32 v13, -1, 0
	s_mov_b32 s7, 0
	v_cmp_eq_u32_e64 s1, 0, v0
	s_lshl_b64 s[2:3], s[6:7], 5
	s_waitcnt lgkmcnt(0)
	s_cmp_lg_u64 s[12:13], 0
	v_xor_b32_e32 v5, 4, v13
	s_cselect_b32 s5, -1, 0
	s_cmp_lg_u64 s[14:15], 0
	s_cselect_b32 s4, -1, 0
	v_cmp_gt_i32_e32 vcc_lo, 32, v5
	v_cndmask_b32_e32 v5, v13, v5, vcc_lo
	v_lshlrev_b32_e32 v9, 2, v5
	ds_bpermute_b32 v5, v9, v3
	ds_bpermute_b32 v6, v9, v4
	;; [unrolled: 1-line block ×4, first 2 shown]
	s_waitcnt lgkmcnt(2)
	v_add_f64 v[3:4], v[3:4], v[5:6]
	v_xor_b32_e32 v5, 2, v13
	s_waitcnt lgkmcnt(0)
	v_add_f64 v[1:2], v[1:2], v[10:11]
	v_cmp_gt_i32_e32 vcc_lo, 32, v5
	v_cndmask_b32_e32 v5, v13, v5, vcc_lo
	v_lshlrev_b32_e32 v10, 2, v5
	ds_bpermute_b32 v5, v10, v3
	ds_bpermute_b32 v6, v10, v4
	;; [unrolled: 1-line block ×4, first 2 shown]
	s_waitcnt lgkmcnt(2)
	v_add_f64 v[3:4], v[3:4], v[5:6]
	s_waitcnt lgkmcnt(0)
	v_add_f64 v[5:6], v[1:2], v[11:12]
	v_xor_b32_e32 v1, 1, v13
	v_cmp_gt_i32_e32 vcc_lo, 32, v1
	v_cndmask_b32_e32 v1, v13, v1, vcc_lo
	v_lshlrev_b32_e32 v11, 2, v1
	ds_bpermute_b32 v1, v11, v3
	ds_bpermute_b32 v2, v11, v4
	;; [unrolled: 1-line block ×4, first 2 shown]
	s_waitcnt lgkmcnt(2)
	v_add_f64 v[1:2], v[3:4], v[1:2]
	s_waitcnt lgkmcnt(0)
	v_add_f64 v[3:4], v[5:6], v[12:13]
	v_or_b32_e32 v5, s2, v8
	v_mov_b32_e32 v6, s3
	v_cmp_gt_i64_e32 vcc_lo, s[10:11], v[5:6]
	s_and_b32 s7, s1, vcc_lo
	s_and_saveexec_b32 s6, s7
	s_cbranch_execz .LBB42_89
; %bb.85:
	v_lshlrev_b64 v[5:6], 3, v[5:6]
	s_andn2_b32 vcc_lo, exec_lo, s5
	s_cbranch_vccnz .LBB42_87
; %bb.86:
	v_add_co_u32 v12, vcc_lo, s12, v5
	v_add_co_ci_u32_e64 v13, null, s13, v6, vcc_lo
	global_store_dwordx2 v[12:13], v[1:2], off
.LBB42_87:
	s_andn2_b32 vcc_lo, exec_lo, s4
	s_cbranch_vccnz .LBB42_89
; %bb.88:
	v_add_co_u32 v5, vcc_lo, s14, v5
	v_add_co_ci_u32_e64 v6, null, s15, v6, vcc_lo
	global_store_dwordx2 v[5:6], v[3:4], off
.LBB42_89:
	s_or_b32 exec_lo, exec_lo, s6
	v_cmp_gt_u32_e32 vcc_lo, 24, v8
	s_and_b32 exec_lo, exec_lo, vcc_lo
	s_cbranch_execz .LBB42_113
; %bb.90:
	s_and_saveexec_b32 s6, s0
	s_cbranch_execz .LBB42_92
; %bb.91:
	v_add_nc_u32_e32 v0, v8, v7
	v_lshl_add_u32 v0, v0, 3, 0
	ds_read_b64 v[1:2], v0 offset:64
	ds_read_b64 v[3:4], v0 offset:2176
.LBB42_92:
	s_or_b32 exec_lo, exec_lo, s6
	s_waitcnt lgkmcnt(1)
	ds_bpermute_b32 v5, v9, v1
	ds_bpermute_b32 v6, v9, v2
	s_waitcnt lgkmcnt(2)
	ds_bpermute_b32 v12, v9, v3
	ds_bpermute_b32 v13, v9, v4
	s_waitcnt lgkmcnt(2)
	v_add_f64 v[0:1], v[1:2], v[5:6]
	s_waitcnt lgkmcnt(0)
	v_add_f64 v[2:3], v[3:4], v[12:13]
	ds_bpermute_b32 v4, v10, v0
	ds_bpermute_b32 v5, v10, v1
	;; [unrolled: 1-line block ×4, first 2 shown]
	s_waitcnt lgkmcnt(2)
	v_add_f64 v[0:1], v[0:1], v[4:5]
	s_waitcnt lgkmcnt(0)
	v_add_f64 v[2:3], v[2:3], v[12:13]
	ds_bpermute_b32 v4, v11, v0
	ds_bpermute_b32 v5, v11, v1
	;; [unrolled: 1-line block ×4, first 2 shown]
	s_waitcnt lgkmcnt(2)
	v_add_f64 v[0:1], v[0:1], v[4:5]
	v_add_nc_u32_e32 v4, 8, v8
	s_waitcnt lgkmcnt(0)
	v_add_f64 v[2:3], v[2:3], v[12:13]
	v_add_co_u32 v4, s6, s2, v4
	v_add_co_ci_u32_e64 v5, null, s3, 0, s6
	v_cmp_gt_i64_e32 vcc_lo, s[10:11], v[4:5]
	s_and_b32 s7, s1, vcc_lo
	s_and_saveexec_b32 s6, s7
	s_cbranch_execz .LBB42_97
; %bb.93:
	s_andn2_b32 vcc_lo, exec_lo, s5
	s_cbranch_vccnz .LBB42_95
; %bb.94:
	v_add_co_u32 v4, s7, s2, v8
	v_add_co_ci_u32_e64 v5, null, s3, 0, s7
	v_lshlrev_b64 v[4:5], 3, v[4:5]
	v_add_co_u32 v4, vcc_lo, s12, v4
	v_add_co_ci_u32_e64 v5, null, s13, v5, vcc_lo
	global_store_dwordx2 v[4:5], v[0:1], off offset:64
.LBB42_95:
	s_andn2_b32 vcc_lo, exec_lo, s4
	s_cbranch_vccnz .LBB42_97
; %bb.96:
	v_add_co_u32 v4, s7, s2, v8
	v_add_co_ci_u32_e64 v5, null, s3, 0, s7
	v_lshlrev_b64 v[4:5], 3, v[4:5]
	v_add_co_u32 v4, vcc_lo, s14, v4
	v_add_co_ci_u32_e64 v5, null, s15, v5, vcc_lo
	global_store_dwordx2 v[4:5], v[2:3], off offset:64
.LBB42_97:
	s_or_b32 exec_lo, exec_lo, s6
	v_cmp_gt_u32_e32 vcc_lo, 16, v8
	s_and_b32 exec_lo, exec_lo, vcc_lo
	s_cbranch_execz .LBB42_113
; %bb.98:
	s_and_saveexec_b32 s6, s0
	s_cbranch_execz .LBB42_100
; %bb.99:
	v_add_nc_u32_e32 v0, v8, v7
	v_lshl_add_u32 v2, v0, 3, 0
	ds_read_b64 v[0:1], v2 offset:128
	ds_read_b64 v[2:3], v2 offset:2240
.LBB42_100:
	s_or_b32 exec_lo, exec_lo, s6
	s_waitcnt lgkmcnt(1)
	ds_bpermute_b32 v4, v9, v0
	ds_bpermute_b32 v5, v9, v1
	s_waitcnt lgkmcnt(2)
	ds_bpermute_b32 v12, v9, v2
	ds_bpermute_b32 v13, v9, v3
	s_waitcnt lgkmcnt(2)
	v_add_f64 v[0:1], v[0:1], v[4:5]
	s_waitcnt lgkmcnt(0)
	v_add_f64 v[2:3], v[2:3], v[12:13]
	ds_bpermute_b32 v4, v10, v0
	ds_bpermute_b32 v5, v10, v1
	;; [unrolled: 1-line block ×4, first 2 shown]
	s_waitcnt lgkmcnt(2)
	v_add_f64 v[0:1], v[0:1], v[4:5]
	s_waitcnt lgkmcnt(0)
	v_add_f64 v[2:3], v[2:3], v[12:13]
	ds_bpermute_b32 v4, v11, v0
	ds_bpermute_b32 v5, v11, v1
	ds_bpermute_b32 v12, v11, v2
	ds_bpermute_b32 v13, v11, v3
	s_waitcnt lgkmcnt(2)
	v_add_f64 v[0:1], v[0:1], v[4:5]
	v_add_nc_u32_e32 v4, 16, v8
	s_waitcnt lgkmcnt(0)
	v_add_f64 v[2:3], v[2:3], v[12:13]
	v_mov_b32_e32 v5, s3
	v_or_b32_e32 v4, s2, v4
	v_cmp_gt_i64_e32 vcc_lo, s[10:11], v[4:5]
	s_and_b32 s7, s1, vcc_lo
	s_and_saveexec_b32 s6, s7
	s_cbranch_execz .LBB42_105
; %bb.101:
	s_andn2_b32 vcc_lo, exec_lo, s5
	s_cbranch_vccnz .LBB42_103
; %bb.102:
	v_add_co_u32 v4, s7, s2, v8
	v_add_co_ci_u32_e64 v5, null, s3, 0, s7
	v_lshlrev_b64 v[4:5], 3, v[4:5]
	v_add_co_u32 v4, vcc_lo, s12, v4
	v_add_co_ci_u32_e64 v5, null, s13, v5, vcc_lo
	global_store_dwordx2 v[4:5], v[0:1], off offset:128
.LBB42_103:
	s_andn2_b32 vcc_lo, exec_lo, s4
	s_cbranch_vccnz .LBB42_105
; %bb.104:
	v_add_co_u32 v4, s7, s2, v8
	v_add_co_ci_u32_e64 v5, null, s3, 0, s7
	v_lshlrev_b64 v[4:5], 3, v[4:5]
	v_add_co_u32 v4, vcc_lo, s14, v4
	v_add_co_ci_u32_e64 v5, null, s15, v5, vcc_lo
	global_store_dwordx2 v[4:5], v[2:3], off offset:128
.LBB42_105:
	s_or_b32 exec_lo, exec_lo, s6
	v_cmp_gt_u32_e32 vcc_lo, 8, v8
	s_and_b32 exec_lo, exec_lo, vcc_lo
	s_cbranch_execz .LBB42_113
; %bb.106:
	s_and_saveexec_b32 s6, s0
	s_cbranch_execz .LBB42_108
; %bb.107:
	v_add_nc_u32_e32 v0, v8, v7
	v_lshl_add_u32 v2, v0, 3, 0
	ds_read_b64 v[0:1], v2 offset:192
	ds_read_b64 v[2:3], v2 offset:2304
.LBB42_108:
	s_or_b32 exec_lo, exec_lo, s6
	s_waitcnt lgkmcnt(1)
	ds_bpermute_b32 v4, v9, v0
	ds_bpermute_b32 v5, v9, v1
	s_waitcnt lgkmcnt(2)
	ds_bpermute_b32 v6, v9, v2
	ds_bpermute_b32 v7, v9, v3
	v_add_nc_u32_e32 v9, 24, v8
	v_or_b32_e32 v9, s2, v9
	s_waitcnt lgkmcnt(2)
	v_add_f64 v[0:1], v[0:1], v[4:5]
	s_waitcnt lgkmcnt(0)
	v_add_f64 v[2:3], v[2:3], v[6:7]
	ds_bpermute_b32 v4, v10, v0
	ds_bpermute_b32 v5, v10, v1
	;; [unrolled: 1-line block ×4, first 2 shown]
	v_mov_b32_e32 v10, s3
	v_cmp_gt_i64_e32 vcc_lo, s[10:11], v[9:10]
	s_and_b32 s0, s1, vcc_lo
	s_waitcnt lgkmcnt(2)
	v_add_f64 v[4:5], v[0:1], v[4:5]
	s_waitcnt lgkmcnt(0)
	v_add_f64 v[0:1], v[2:3], v[6:7]
	ds_bpermute_b32 v6, v11, v4
	ds_bpermute_b32 v7, v11, v5
	;; [unrolled: 1-line block ×4, first 2 shown]
	s_and_b32 exec_lo, exec_lo, s0
	s_cbranch_execz .LBB42_113
; %bb.109:
	s_andn2_b32 vcc_lo, exec_lo, s5
	s_cbranch_vccnz .LBB42_111
; %bb.110:
	s_waitcnt lgkmcnt(2)
	v_add_f64 v[4:5], v[4:5], v[6:7]
	v_add_co_u32 v6, s0, s2, v8
	v_add_co_ci_u32_e64 v7, null, s3, 0, s0
	v_lshlrev_b64 v[6:7], 3, v[6:7]
	v_add_co_u32 v6, vcc_lo, s12, v6
	v_add_co_ci_u32_e64 v7, null, s13, v7, vcc_lo
	global_store_dwordx2 v[6:7], v[4:5], off offset:192
.LBB42_111:
	s_andn2_b32 vcc_lo, exec_lo, s4
	s_cbranch_vccnz .LBB42_113
; %bb.112:
	s_waitcnt lgkmcnt(0)
	v_add_f64 v[0:1], v[0:1], v[2:3]
	v_add_co_u32 v2, s0, s2, v8
	v_add_co_ci_u32_e64 v3, null, s3, 0, s0
	v_lshlrev_b64 v[2:3], 3, v[2:3]
	v_add_co_u32 v2, vcc_lo, s14, v2
	v_add_co_ci_u32_e64 v3, null, s15, v3, vcc_lo
	global_store_dwordx2 v[2:3], v[0:1], off offset:192
.LBB42_113:
	s_endpgm
	.section	.rodata,"a",@progbits
	.p2align	6, 0x0
	.amdhsa_kernel _ZN2at6native12_GLOBAL__N_135GammaBetaBackwardCUDAKernelTemplateIddLj32ELj8ELj64ELb0ELb0ELb0EEEvllPKT_S5_PKT0_S8_PS3_S9_
		.amdhsa_group_segment_fixed_size 0
		.amdhsa_private_segment_fixed_size 0
		.amdhsa_kernarg_size 320
		.amdhsa_user_sgpr_count 6
		.amdhsa_user_sgpr_private_segment_buffer 1
		.amdhsa_user_sgpr_dispatch_ptr 0
		.amdhsa_user_sgpr_queue_ptr 0
		.amdhsa_user_sgpr_kernarg_segment_ptr 1
		.amdhsa_user_sgpr_dispatch_id 0
		.amdhsa_user_sgpr_flat_scratch_init 0
		.amdhsa_user_sgpr_private_segment_size 0
		.amdhsa_wavefront_size32 1
		.amdhsa_uses_dynamic_stack 0
		.amdhsa_system_sgpr_private_segment_wavefront_offset 0
		.amdhsa_system_sgpr_workgroup_id_x 1
		.amdhsa_system_sgpr_workgroup_id_y 1
		.amdhsa_system_sgpr_workgroup_id_z 0
		.amdhsa_system_sgpr_workgroup_info 0
		.amdhsa_system_vgpr_workitem_id 1
		.amdhsa_next_free_vgpr 114
		.amdhsa_next_free_sgpr 32
		.amdhsa_reserve_vcc 1
		.amdhsa_reserve_flat_scratch 0
		.amdhsa_float_round_mode_32 0
		.amdhsa_float_round_mode_16_64 0
		.amdhsa_float_denorm_mode_32 3
		.amdhsa_float_denorm_mode_16_64 3
		.amdhsa_dx10_clamp 1
		.amdhsa_ieee_mode 1
		.amdhsa_fp16_overflow 0
		.amdhsa_workgroup_processor_mode 1
		.amdhsa_memory_ordered 1
		.amdhsa_forward_progress 1
		.amdhsa_shared_vgpr_count 0
		.amdhsa_exception_fp_ieee_invalid_op 0
		.amdhsa_exception_fp_denorm_src 0
		.amdhsa_exception_fp_ieee_div_zero 0
		.amdhsa_exception_fp_ieee_overflow 0
		.amdhsa_exception_fp_ieee_underflow 0
		.amdhsa_exception_fp_ieee_inexact 0
		.amdhsa_exception_int_div_zero 0
	.end_amdhsa_kernel
	.section	.text._ZN2at6native12_GLOBAL__N_135GammaBetaBackwardCUDAKernelTemplateIddLj32ELj8ELj64ELb0ELb0ELb0EEEvllPKT_S5_PKT0_S8_PS3_S9_,"axG",@progbits,_ZN2at6native12_GLOBAL__N_135GammaBetaBackwardCUDAKernelTemplateIddLj32ELj8ELj64ELb0ELb0ELb0EEEvllPKT_S5_PKT0_S8_PS3_S9_,comdat
.Lfunc_end42:
	.size	_ZN2at6native12_GLOBAL__N_135GammaBetaBackwardCUDAKernelTemplateIddLj32ELj8ELj64ELb0ELb0ELb0EEEvllPKT_S5_PKT0_S8_PS3_S9_, .Lfunc_end42-_ZN2at6native12_GLOBAL__N_135GammaBetaBackwardCUDAKernelTemplateIddLj32ELj8ELj64ELb0ELb0ELb0EEEvllPKT_S5_PKT0_S8_PS3_S9_
                                        ; -- End function
	.set _ZN2at6native12_GLOBAL__N_135GammaBetaBackwardCUDAKernelTemplateIddLj32ELj8ELj64ELb0ELb0ELb0EEEvllPKT_S5_PKT0_S8_PS3_S9_.num_vgpr, 114
	.set _ZN2at6native12_GLOBAL__N_135GammaBetaBackwardCUDAKernelTemplateIddLj32ELj8ELj64ELb0ELb0ELb0EEEvllPKT_S5_PKT0_S8_PS3_S9_.num_agpr, 0
	.set _ZN2at6native12_GLOBAL__N_135GammaBetaBackwardCUDAKernelTemplateIddLj32ELj8ELj64ELb0ELb0ELb0EEEvllPKT_S5_PKT0_S8_PS3_S9_.numbered_sgpr, 32
	.set _ZN2at6native12_GLOBAL__N_135GammaBetaBackwardCUDAKernelTemplateIddLj32ELj8ELj64ELb0ELb0ELb0EEEvllPKT_S5_PKT0_S8_PS3_S9_.num_named_barrier, 0
	.set _ZN2at6native12_GLOBAL__N_135GammaBetaBackwardCUDAKernelTemplateIddLj32ELj8ELj64ELb0ELb0ELb0EEEvllPKT_S5_PKT0_S8_PS3_S9_.private_seg_size, 0
	.set _ZN2at6native12_GLOBAL__N_135GammaBetaBackwardCUDAKernelTemplateIddLj32ELj8ELj64ELb0ELb0ELb0EEEvllPKT_S5_PKT0_S8_PS3_S9_.uses_vcc, 1
	.set _ZN2at6native12_GLOBAL__N_135GammaBetaBackwardCUDAKernelTemplateIddLj32ELj8ELj64ELb0ELb0ELb0EEEvllPKT_S5_PKT0_S8_PS3_S9_.uses_flat_scratch, 0
	.set _ZN2at6native12_GLOBAL__N_135GammaBetaBackwardCUDAKernelTemplateIddLj32ELj8ELj64ELb0ELb0ELb0EEEvllPKT_S5_PKT0_S8_PS3_S9_.has_dyn_sized_stack, 0
	.set _ZN2at6native12_GLOBAL__N_135GammaBetaBackwardCUDAKernelTemplateIddLj32ELj8ELj64ELb0ELb0ELb0EEEvllPKT_S5_PKT0_S8_PS3_S9_.has_recursion, 0
	.set _ZN2at6native12_GLOBAL__N_135GammaBetaBackwardCUDAKernelTemplateIddLj32ELj8ELj64ELb0ELb0ELb0EEEvllPKT_S5_PKT0_S8_PS3_S9_.has_indirect_call, 0
	.section	.AMDGPU.csdata,"",@progbits
; Kernel info:
; codeLenInByte = 11012
; TotalNumSgprs: 34
; NumVgprs: 114
; ScratchSize: 0
; MemoryBound: 1
; FloatMode: 240
; IeeeMode: 1
; LDSByteSize: 0 bytes/workgroup (compile time only)
; SGPRBlocks: 0
; VGPRBlocks: 14
; NumSGPRsForWavesPerEU: 34
; NumVGPRsForWavesPerEU: 114
; Occupancy: 8
; WaveLimiterHint : 0
; COMPUTE_PGM_RSRC2:SCRATCH_EN: 0
; COMPUTE_PGM_RSRC2:USER_SGPR: 6
; COMPUTE_PGM_RSRC2:TRAP_HANDLER: 0
; COMPUTE_PGM_RSRC2:TGID_X_EN: 1
; COMPUTE_PGM_RSRC2:TGID_Y_EN: 1
; COMPUTE_PGM_RSRC2:TGID_Z_EN: 0
; COMPUTE_PGM_RSRC2:TIDIG_COMP_CNT: 1
	.section	.text._ZN2at6native12_GLOBAL__N_135GammaBetaBackwardCUDAKernelTemplateIddLj32ELj16ELj128ELb0ELb1ELb0EEEvllPKT_S5_PKT0_S8_PS3_S9_,"axG",@progbits,_ZN2at6native12_GLOBAL__N_135GammaBetaBackwardCUDAKernelTemplateIddLj32ELj16ELj128ELb0ELb1ELb0EEEvllPKT_S5_PKT0_S8_PS3_S9_,comdat
	.globl	_ZN2at6native12_GLOBAL__N_135GammaBetaBackwardCUDAKernelTemplateIddLj32ELj16ELj128ELb0ELb1ELb0EEEvllPKT_S5_PKT0_S8_PS3_S9_ ; -- Begin function _ZN2at6native12_GLOBAL__N_135GammaBetaBackwardCUDAKernelTemplateIddLj32ELj16ELj128ELb0ELb1ELb0EEEvllPKT_S5_PKT0_S8_PS3_S9_
	.p2align	8
	.type	_ZN2at6native12_GLOBAL__N_135GammaBetaBackwardCUDAKernelTemplateIddLj32ELj16ELj128ELb0ELb1ELb0EEEvllPKT_S5_PKT0_S8_PS3_S9_,@function
_ZN2at6native12_GLOBAL__N_135GammaBetaBackwardCUDAKernelTemplateIddLj32ELj16ELj128ELb0ELb1ELb0EEEvllPKT_S5_PKT0_S8_PS3_S9_: ; @_ZN2at6native12_GLOBAL__N_135GammaBetaBackwardCUDAKernelTemplateIddLj32ELj16ELj128ELb0ELb1ELb0EEEvllPKT_S5_PKT0_S8_PS3_S9_
; %bb.0:
	s_load_dwordx4 s[20:23], s[4:5], 0x0
	s_lshl_b32 s2, s7, 7
	s_mov_b32 s3, 0
	s_waitcnt lgkmcnt(0)
	v_cmp_gt_i64_e64 s0, s[20:21], s[2:3]
	s_and_b32 vcc_lo, exec_lo, s0
	s_cbranch_vccnz .LBB43_2
; %bb.1:
	s_mov_b32 s0, s3
	s_branch .LBB43_3
.LBB43_2:
	s_mov_b32 s0, -1
.LBB43_3:
	s_load_dwordx4 s[16:19], s[4:5], 0x30
	v_mov_b32_e32 v8, 0
	v_mov_b32_e32 v12, 0
	;; [unrolled: 1-line block ×4, first 2 shown]
	s_andn2_b32 vcc_lo, exec_lo, s0
	s_cbranch_vccnz .LBB43_10
; %bb.4:
	s_clause 0x2
	s_load_dword s0, s[4:5], 0x4c
	s_load_dword s1, s[4:5], 0x44
	s_load_dwordx8 s[8:15], s[4:5], 0x10
	v_lshlrev_b32_e32 v2, 3, v1
	v_mov_b32_e32 v3, 0
	v_mov_b32_e32 v16, 8
	;; [unrolled: 1-line block ×4, first 2 shown]
	v_add_co_u32 v4, s4, v2, s2
	v_add_co_ci_u32_e64 v5, null, 0, 0, s4
	v_lshl_add_u32 v2, s6, 5, v0
	v_mul_lo_u32 v10, s23, v4
	v_mad_u64_u32 v[6:7], null, s22, v4, 0
	v_mul_lo_u32 v11, s22, v5
	v_mov_b32_e32 v19, 16
	v_mov_b32_e32 v20, 20
	;; [unrolled: 1-line block ×3, first 2 shown]
	s_waitcnt lgkmcnt(0)
	s_and_b32 s0, s0, 0xffff
	s_lshl_b32 s4, s1, 7
	v_mad_u32_u24 v8, v1, s0, v0
	s_mul_i32 s1, s23, s4
	v_add3_u32 v7, v7, v11, v10
	s_mul_hi_u32 s7, s22, s4
	v_mov_b32_e32 v22, 28
	v_and_b32_e32 v12, 31, v8
	v_lshlrev_b64 v[8:9], 3, v[2:3]
	v_lshlrev_b64 v[10:11], 3, v[6:7]
	s_mov_b32 s5, 0
	s_add_i32 s27, s7, s1
	v_add_co_u32 v4, vcc_lo, v4, v12
	v_add_co_ci_u32_e64 v5, null, 0, v5, vcc_lo
	v_add_co_u32 v2, vcc_lo, v10, v8
	v_cmp_gt_u32_e64 s0, 8, v12
	v_lshlrev_b64 v[6:7], 3, v[4:5]
	v_add_co_ci_u32_e64 v23, null, v11, v9, vcc_lo
	v_mov_b32_e32 v12, 0
	v_mov_b32_e32 v8, 0
	;; [unrolled: 1-line block ×4, first 2 shown]
	s_mul_i32 s26, s22, s4
	s_lshl_b64 s[24:25], s[4:5], 3
	s_lshl_b64 s[26:27], s[26:27], 3
	;; [unrolled: 1-line block ×3, first 2 shown]
	s_branch .LBB43_7
.LBB43_5:                               ;   in Loop: Header=BB43_7 Depth=1
	s_or_b32 exec_lo, exec_lo, s5
.LBB43_6:                               ;   in Loop: Header=BB43_7 Depth=1
	s_or_b32 exec_lo, exec_lo, s1
	v_add_co_u32 v24, vcc_lo, s10, v2
	v_add_co_ci_u32_e64 v25, null, s11, v23, vcc_lo
	v_add_co_u32 v28, vcc_lo, s8, v2
	v_add_co_ci_u32_e64 v29, null, s9, v23, vcc_lo
	global_load_dwordx2 v[26:27], v[24:25], off
	v_add_co_u32 v24, vcc_lo, v24, s22
	v_add_co_ci_u32_e64 v25, null, s23, v25, vcc_lo
	global_load_dwordx2 v[30:31], v[28:29], off
	global_load_dwordx2 v[32:33], v[24:25], off
	v_add_co_u32 v24, vcc_lo, v24, s22
	v_add_co_ci_u32_e64 v25, null, s23, v25, vcc_lo
	v_add_co_u32 v28, vcc_lo, v28, s22
	v_add_co_ci_u32_e64 v29, null, s23, v29, vcc_lo
	global_load_dwordx2 v[34:35], v[24:25], off
	global_load_dwordx2 v[36:37], v[28:29], off
	v_add_co_u32 v24, vcc_lo, v24, s22
	v_add_co_ci_u32_e64 v25, null, s23, v25, vcc_lo
	;; [unrolled: 6-line block ×7, first 2 shown]
	s_waitcnt vmcnt(16)
	ds_bpermute_b32 v56, v3, v14
	ds_bpermute_b32 v57, v3, v15
	s_waitcnt vmcnt(15)
	ds_bpermute_b32 v58, v3, v10
	global_load_dwordx2 v[28:29], v[28:29], off
	ds_bpermute_b32 v59, v3, v11
	s_add_u32 s2, s2, s4
	v_add_co_u32 v6, vcc_lo, v6, s24
	s_addc_u32 s3, s3, 0
	v_add_co_ci_u32_e64 v7, null, s25, v7, vcc_lo
	v_add_co_u32 v4, vcc_lo, v4, s4
	v_cmp_lt_i64_e64 s1, s[2:3], s[20:21]
	v_add_co_ci_u32_e64 v5, null, 0, v5, vcc_lo
	v_add_co_u32 v2, vcc_lo, v2, s26
	v_add_co_ci_u32_e64 v23, null, s27, v23, vcc_lo
	s_and_b32 vcc_lo, exec_lo, s1
	s_waitcnt vmcnt(15) lgkmcnt(2)
	v_add_f64 v[26:27], v[26:27], -v[56:57]
	ds_bpermute_b32 v56, v17, v14
	ds_bpermute_b32 v57, v17, v15
	s_waitcnt vmcnt(14)
	v_add_f64 v[8:9], v[8:9], v[30:31]
	s_waitcnt vmcnt(13) lgkmcnt(0)
	v_add_f64 v[32:33], v[32:33], -v[56:57]
	v_mul_f64 v[26:27], v[30:31], v[26:27]
	ds_bpermute_b32 v56, v16, v14
	ds_bpermute_b32 v57, v16, v15
	;; [unrolled: 1-line block ×4, first 2 shown]
	s_waitcnt vmcnt(11)
	v_add_f64 v[8:9], v[8:9], v[36:37]
	v_mul_f64 v[32:33], v[36:37], v[32:33]
	v_fma_f64 v[12:13], v[26:27], v[58:59], v[12:13]
	s_waitcnt lgkmcnt(2)
	v_add_f64 v[34:35], v[34:35], -v[56:57]
	ds_bpermute_b32 v26, v17, v10
	ds_bpermute_b32 v58, v18, v14
	;; [unrolled: 1-line block ×6, first 2 shown]
	s_waitcnt vmcnt(9)
	v_add_f64 v[8:9], v[8:9], v[40:41]
	v_mul_f64 v[34:35], v[40:41], v[34:35]
	s_waitcnt lgkmcnt(3)
	v_add_f64 v[38:39], v[38:39], -v[58:59]
	s_waitcnt lgkmcnt(2)
	v_fma_f64 v[12:13], v[32:33], v[26:27], v[12:13]
	ds_bpermute_b32 v26, v18, v10
	s_waitcnt vmcnt(8) lgkmcnt(1)
	v_add_f64 v[36:37], v[42:43], -v[56:57]
	ds_bpermute_b32 v32, v20, v14
	ds_bpermute_b32 v33, v20, v15
	;; [unrolled: 1-line block ×3, first 2 shown]
	s_waitcnt vmcnt(7)
	v_add_f64 v[8:9], v[8:9], v[44:45]
	v_mul_f64 v[38:39], v[44:45], v[38:39]
	v_fma_f64 v[12:13], v[34:35], v[30:31], v[12:13]
	ds_bpermute_b32 v30, v19, v10
	s_waitcnt vmcnt(6) lgkmcnt(2)
	v_add_f64 v[32:33], v[46:47], -v[32:33]
	s_waitcnt vmcnt(5)
	v_mul_f64 v[36:37], v[48:49], v[36:37]
	ds_bpermute_b32 v34, v21, v14
	ds_bpermute_b32 v35, v21, v15
	;; [unrolled: 1-line block ×3, first 2 shown]
	v_add_f64 v[8:9], v[8:9], v[48:49]
	ds_bpermute_b32 v14, v22, v14
	ds_bpermute_b32 v15, v22, v15
	s_waitcnt lgkmcnt(6)
	v_fma_f64 v[12:13], v[38:39], v[26:27], v[12:13]
	ds_bpermute_b32 v26, v20, v10
	s_waitcnt vmcnt(3)
	v_mul_f64 v[32:33], v[52:53], v[32:33]
	s_waitcnt lgkmcnt(4)
	v_add_f64 v[34:35], v[50:51], -v[34:35]
	ds_bpermute_b32 v27, v20, v11
	s_waitcnt vmcnt(2) lgkmcnt(2)
	v_add_f64 v[14:15], v[24:25], -v[14:15]
	v_add_f64 v[8:9], v[8:9], v[52:53]
	v_fma_f64 v[12:13], v[36:37], v[30:31], v[12:13]
	ds_bpermute_b32 v30, v21, v10
	ds_bpermute_b32 v31, v21, v11
	s_waitcnt vmcnt(1)
	v_mul_f64 v[24:25], v[54:55], v[34:35]
	ds_bpermute_b32 v10, v22, v10
	ds_bpermute_b32 v11, v22, v11
	s_waitcnt vmcnt(0)
	v_mul_f64 v[14:15], v[28:29], v[14:15]
	v_add_f64 v[8:9], v[8:9], v[54:55]
	s_waitcnt lgkmcnt(4)
	v_fma_f64 v[12:13], v[32:33], v[26:27], v[12:13]
	v_add_f64 v[8:9], v[8:9], v[28:29]
	s_waitcnt lgkmcnt(2)
	v_fma_f64 v[12:13], v[24:25], v[30:31], v[12:13]
	s_waitcnt lgkmcnt(0)
	v_fma_f64 v[12:13], v[14:15], v[10:11], v[12:13]
	s_cbranch_vccz .LBB43_10
.LBB43_7:                               ; =>This Inner Loop Header: Depth=1
	v_mov_b32_e32 v10, 0
	v_mov_b32_e32 v14, 0
	;; [unrolled: 1-line block ×4, first 2 shown]
	s_and_saveexec_b32 s1, s0
	s_cbranch_execz .LBB43_6
; %bb.8:                                ;   in Loop: Header=BB43_7 Depth=1
	v_mov_b32_e32 v14, 0
	v_mov_b32_e32 v10, 0
	;; [unrolled: 1-line block ×4, first 2 shown]
	s_mov_b32 s5, exec_lo
	v_cmpx_gt_i64_e64 s[20:21], v[4:5]
	s_cbranch_execz .LBB43_5
; %bb.9:                                ;   in Loop: Header=BB43_7 Depth=1
	v_add_co_u32 v10, vcc_lo, s12, v6
	v_add_co_ci_u32_e64 v11, null, s13, v7, vcc_lo
	v_add_co_u32 v24, vcc_lo, s14, v6
	v_add_co_ci_u32_e64 v25, null, s15, v7, vcc_lo
	global_load_dwordx2 v[14:15], v[10:11], off
	global_load_dwordx2 v[10:11], v[24:25], off
	s_branch .LBB43_5
.LBB43_10:
	v_mad_u32_u24 v2, v1, 33, v0
	v_lshrrev_b32_e32 v3, 5, v0
	s_mov_b32 s0, exec_lo
	v_lshl_add_u32 v2, v2, 3, 0
	v_add_nc_u32_e32 v10, v3, v1
	ds_write_b64 v2, v[12:13]
	ds_write_b64 v2, v[8:9] offset:4224
	s_waitcnt lgkmcnt(0)
	s_barrier
	buffer_gl0_inv
	v_cmpx_gt_u32_e32 32, v10
	s_cbranch_execz .LBB43_26
; %bb.11:
	v_and_b32_e32 v1, 31, v0
                                        ; implicit-def: $vgpr3_vgpr4
	v_cmp_gt_u32_e64 s0, 16, v1
	v_mul_u32_u24_e32 v7, 33, v1
                                        ; implicit-def: $vgpr1_vgpr2
	s_and_saveexec_b32 s1, s0
	s_cbranch_execz .LBB43_13
; %bb.12:
	v_add_nc_u32_e32 v1, v10, v7
	v_lshl_add_u32 v1, v1, 3, 0
	ds_read_b64 v[3:4], v1
	ds_read_b64 v[1:2], v1 offset:4224
.LBB43_13:
	s_or_b32 exec_lo, exec_lo, s1
	v_mbcnt_lo_u32_b32 v14, -1, 0
	s_mov_b32 s7, 0
	v_cmp_eq_u32_e64 s1, 0, v0
	s_lshl_b64 s[2:3], s[6:7], 5
	s_cmp_lg_u64 s[16:17], 0
	v_xor_b32_e32 v5, 8, v14
	s_cselect_b32 s5, -1, 0
	s_cmp_lg_u64 s[18:19], 0
	s_cselect_b32 s4, -1, 0
	v_cmp_gt_i32_e32 vcc_lo, 32, v5
	v_cndmask_b32_e32 v5, v14, v5, vcc_lo
	v_lshlrev_b32_e32 v8, 2, v5
	s_waitcnt lgkmcnt(1)
	ds_bpermute_b32 v5, v8, v3
	ds_bpermute_b32 v6, v8, v4
	s_waitcnt lgkmcnt(2)
	ds_bpermute_b32 v11, v8, v1
	ds_bpermute_b32 v12, v8, v2
	s_waitcnt lgkmcnt(2)
	v_add_f64 v[3:4], v[3:4], v[5:6]
	v_xor_b32_e32 v5, 4, v14
	s_waitcnt lgkmcnt(0)
	v_add_f64 v[1:2], v[1:2], v[11:12]
	v_cmp_gt_i32_e32 vcc_lo, 32, v5
	v_cndmask_b32_e32 v5, v14, v5, vcc_lo
	v_lshlrev_b32_e32 v9, 2, v5
	ds_bpermute_b32 v5, v9, v3
	ds_bpermute_b32 v6, v9, v4
	;; [unrolled: 1-line block ×4, first 2 shown]
	s_waitcnt lgkmcnt(2)
	v_add_f64 v[3:4], v[3:4], v[5:6]
	v_xor_b32_e32 v5, 2, v14
	s_waitcnt lgkmcnt(0)
	v_add_f64 v[1:2], v[1:2], v[11:12]
	v_cmp_gt_i32_e32 vcc_lo, 32, v5
	v_cndmask_b32_e32 v5, v14, v5, vcc_lo
	v_lshlrev_b32_e32 v11, 2, v5
	ds_bpermute_b32 v5, v11, v3
	ds_bpermute_b32 v6, v11, v4
	;; [unrolled: 1-line block ×4, first 2 shown]
	s_waitcnt lgkmcnt(2)
	v_add_f64 v[3:4], v[3:4], v[5:6]
	s_waitcnt lgkmcnt(0)
	v_add_f64 v[5:6], v[1:2], v[12:13]
	v_xor_b32_e32 v1, 1, v14
	v_cmp_gt_i32_e32 vcc_lo, 32, v1
	v_cndmask_b32_e32 v1, v14, v1, vcc_lo
	v_lshlrev_b32_e32 v12, 2, v1
	ds_bpermute_b32 v1, v12, v3
	ds_bpermute_b32 v2, v12, v4
	;; [unrolled: 1-line block ×4, first 2 shown]
	s_waitcnt lgkmcnt(2)
	v_add_f64 v[1:2], v[3:4], v[1:2]
	s_waitcnt lgkmcnt(0)
	v_add_f64 v[3:4], v[5:6], v[13:14]
	s_and_saveexec_b32 s6, s1
	s_cbranch_execz .LBB43_18
; %bb.14:
	v_mov_b32_e32 v6, s3
	v_or_b32_e32 v5, s2, v10
	s_andn2_b32 vcc_lo, exec_lo, s5
	v_lshlrev_b64 v[5:6], 3, v[5:6]
	s_cbranch_vccnz .LBB43_16
; %bb.15:
	v_add_co_u32 v13, vcc_lo, s16, v5
	v_add_co_ci_u32_e64 v14, null, s17, v6, vcc_lo
	global_store_dwordx2 v[13:14], v[1:2], off
.LBB43_16:
	s_andn2_b32 vcc_lo, exec_lo, s4
	s_cbranch_vccnz .LBB43_18
; %bb.17:
	v_add_co_u32 v5, vcc_lo, s18, v5
	v_add_co_ci_u32_e64 v6, null, s19, v6, vcc_lo
	global_store_dwordx2 v[5:6], v[3:4], off
.LBB43_18:
	s_or_b32 exec_lo, exec_lo, s6
	v_cmp_gt_u32_e32 vcc_lo, 16, v10
	s_and_b32 exec_lo, exec_lo, vcc_lo
	s_cbranch_execz .LBB43_26
; %bb.19:
	s_and_saveexec_b32 s6, s0
	s_cbranch_execz .LBB43_21
; %bb.20:
	v_add_nc_u32_e32 v0, v10, v7
	v_lshl_add_u32 v0, v0, 3, 0
	ds_read_b64 v[1:2], v0 offset:128
	ds_read_b64 v[3:4], v0 offset:4352
.LBB43_21:
	s_or_b32 exec_lo, exec_lo, s6
	s_waitcnt lgkmcnt(1)
	ds_bpermute_b32 v5, v8, v1
	ds_bpermute_b32 v6, v8, v2
	s_waitcnt lgkmcnt(2)
	ds_bpermute_b32 v7, v8, v3
	ds_bpermute_b32 v8, v8, v4
	s_waitcnt lgkmcnt(2)
	v_add_f64 v[0:1], v[1:2], v[5:6]
	s_waitcnt lgkmcnt(0)
	v_add_f64 v[2:3], v[3:4], v[7:8]
	ds_bpermute_b32 v4, v9, v0
	ds_bpermute_b32 v5, v9, v1
	ds_bpermute_b32 v6, v9, v2
	ds_bpermute_b32 v7, v9, v3
	s_waitcnt lgkmcnt(2)
	v_add_f64 v[0:1], v[0:1], v[4:5]
	s_waitcnt lgkmcnt(0)
	v_add_f64 v[2:3], v[2:3], v[6:7]
	ds_bpermute_b32 v4, v11, v0
	ds_bpermute_b32 v5, v11, v1
	;; [unrolled: 8-line block ×3, first 2 shown]
	ds_bpermute_b32 v2, v12, v0
	ds_bpermute_b32 v3, v12, v1
	s_and_b32 exec_lo, exec_lo, s1
	s_cbranch_execz .LBB43_26
; %bb.22:
	s_andn2_b32 vcc_lo, exec_lo, s5
	s_cbranch_vccnz .LBB43_24
; %bb.23:
	s_waitcnt lgkmcnt(2)
	v_add_f64 v[4:5], v[4:5], v[6:7]
	v_add_co_u32 v6, s0, s2, v10
	v_add_co_ci_u32_e64 v7, null, s3, 0, s0
	v_lshlrev_b64 v[6:7], 3, v[6:7]
	v_add_co_u32 v6, vcc_lo, s16, v6
	v_add_co_ci_u32_e64 v7, null, s17, v7, vcc_lo
	global_store_dwordx2 v[6:7], v[4:5], off offset:128
.LBB43_24:
	s_andn2_b32 vcc_lo, exec_lo, s4
	s_cbranch_vccnz .LBB43_26
; %bb.25:
	s_waitcnt lgkmcnt(0)
	v_add_f64 v[0:1], v[0:1], v[2:3]
	v_add_co_u32 v2, s0, s2, v10
	v_add_co_ci_u32_e64 v3, null, s3, 0, s0
	v_lshlrev_b64 v[2:3], 3, v[2:3]
	v_add_co_u32 v2, vcc_lo, s18, v2
	v_add_co_ci_u32_e64 v3, null, s19, v3, vcc_lo
	global_store_dwordx2 v[2:3], v[0:1], off offset:128
.LBB43_26:
	s_endpgm
	.section	.rodata,"a",@progbits
	.p2align	6, 0x0
	.amdhsa_kernel _ZN2at6native12_GLOBAL__N_135GammaBetaBackwardCUDAKernelTemplateIddLj32ELj16ELj128ELb0ELb1ELb0EEEvllPKT_S5_PKT0_S8_PS3_S9_
		.amdhsa_group_segment_fixed_size 0
		.amdhsa_private_segment_fixed_size 0
		.amdhsa_kernarg_size 320
		.amdhsa_user_sgpr_count 6
		.amdhsa_user_sgpr_private_segment_buffer 1
		.amdhsa_user_sgpr_dispatch_ptr 0
		.amdhsa_user_sgpr_queue_ptr 0
		.amdhsa_user_sgpr_kernarg_segment_ptr 1
		.amdhsa_user_sgpr_dispatch_id 0
		.amdhsa_user_sgpr_flat_scratch_init 0
		.amdhsa_user_sgpr_private_segment_size 0
		.amdhsa_wavefront_size32 1
		.amdhsa_uses_dynamic_stack 0
		.amdhsa_system_sgpr_private_segment_wavefront_offset 0
		.amdhsa_system_sgpr_workgroup_id_x 1
		.amdhsa_system_sgpr_workgroup_id_y 1
		.amdhsa_system_sgpr_workgroup_id_z 0
		.amdhsa_system_sgpr_workgroup_info 0
		.amdhsa_system_vgpr_workitem_id 1
		.amdhsa_next_free_vgpr 60
		.amdhsa_next_free_sgpr 28
		.amdhsa_reserve_vcc 1
		.amdhsa_reserve_flat_scratch 0
		.amdhsa_float_round_mode_32 0
		.amdhsa_float_round_mode_16_64 0
		.amdhsa_float_denorm_mode_32 3
		.amdhsa_float_denorm_mode_16_64 3
		.amdhsa_dx10_clamp 1
		.amdhsa_ieee_mode 1
		.amdhsa_fp16_overflow 0
		.amdhsa_workgroup_processor_mode 1
		.amdhsa_memory_ordered 1
		.amdhsa_forward_progress 1
		.amdhsa_shared_vgpr_count 0
		.amdhsa_exception_fp_ieee_invalid_op 0
		.amdhsa_exception_fp_denorm_src 0
		.amdhsa_exception_fp_ieee_div_zero 0
		.amdhsa_exception_fp_ieee_overflow 0
		.amdhsa_exception_fp_ieee_underflow 0
		.amdhsa_exception_fp_ieee_inexact 0
		.amdhsa_exception_int_div_zero 0
	.end_amdhsa_kernel
	.section	.text._ZN2at6native12_GLOBAL__N_135GammaBetaBackwardCUDAKernelTemplateIddLj32ELj16ELj128ELb0ELb1ELb0EEEvllPKT_S5_PKT0_S8_PS3_S9_,"axG",@progbits,_ZN2at6native12_GLOBAL__N_135GammaBetaBackwardCUDAKernelTemplateIddLj32ELj16ELj128ELb0ELb1ELb0EEEvllPKT_S5_PKT0_S8_PS3_S9_,comdat
.Lfunc_end43:
	.size	_ZN2at6native12_GLOBAL__N_135GammaBetaBackwardCUDAKernelTemplateIddLj32ELj16ELj128ELb0ELb1ELb0EEEvllPKT_S5_PKT0_S8_PS3_S9_, .Lfunc_end43-_ZN2at6native12_GLOBAL__N_135GammaBetaBackwardCUDAKernelTemplateIddLj32ELj16ELj128ELb0ELb1ELb0EEEvllPKT_S5_PKT0_S8_PS3_S9_
                                        ; -- End function
	.set _ZN2at6native12_GLOBAL__N_135GammaBetaBackwardCUDAKernelTemplateIddLj32ELj16ELj128ELb0ELb1ELb0EEEvllPKT_S5_PKT0_S8_PS3_S9_.num_vgpr, 60
	.set _ZN2at6native12_GLOBAL__N_135GammaBetaBackwardCUDAKernelTemplateIddLj32ELj16ELj128ELb0ELb1ELb0EEEvllPKT_S5_PKT0_S8_PS3_S9_.num_agpr, 0
	.set _ZN2at6native12_GLOBAL__N_135GammaBetaBackwardCUDAKernelTemplateIddLj32ELj16ELj128ELb0ELb1ELb0EEEvllPKT_S5_PKT0_S8_PS3_S9_.numbered_sgpr, 28
	.set _ZN2at6native12_GLOBAL__N_135GammaBetaBackwardCUDAKernelTemplateIddLj32ELj16ELj128ELb0ELb1ELb0EEEvllPKT_S5_PKT0_S8_PS3_S9_.num_named_barrier, 0
	.set _ZN2at6native12_GLOBAL__N_135GammaBetaBackwardCUDAKernelTemplateIddLj32ELj16ELj128ELb0ELb1ELb0EEEvllPKT_S5_PKT0_S8_PS3_S9_.private_seg_size, 0
	.set _ZN2at6native12_GLOBAL__N_135GammaBetaBackwardCUDAKernelTemplateIddLj32ELj16ELj128ELb0ELb1ELb0EEEvllPKT_S5_PKT0_S8_PS3_S9_.uses_vcc, 1
	.set _ZN2at6native12_GLOBAL__N_135GammaBetaBackwardCUDAKernelTemplateIddLj32ELj16ELj128ELb0ELb1ELb0EEEvllPKT_S5_PKT0_S8_PS3_S9_.uses_flat_scratch, 0
	.set _ZN2at6native12_GLOBAL__N_135GammaBetaBackwardCUDAKernelTemplateIddLj32ELj16ELj128ELb0ELb1ELb0EEEvllPKT_S5_PKT0_S8_PS3_S9_.has_dyn_sized_stack, 0
	.set _ZN2at6native12_GLOBAL__N_135GammaBetaBackwardCUDAKernelTemplateIddLj32ELj16ELj128ELb0ELb1ELb0EEEvllPKT_S5_PKT0_S8_PS3_S9_.has_recursion, 0
	.set _ZN2at6native12_GLOBAL__N_135GammaBetaBackwardCUDAKernelTemplateIddLj32ELj16ELj128ELb0ELb1ELb0EEEvllPKT_S5_PKT0_S8_PS3_S9_.has_indirect_call, 0
	.section	.AMDGPU.csdata,"",@progbits
; Kernel info:
; codeLenInByte = 2480
; TotalNumSgprs: 30
; NumVgprs: 60
; ScratchSize: 0
; MemoryBound: 0
; FloatMode: 240
; IeeeMode: 1
; LDSByteSize: 0 bytes/workgroup (compile time only)
; SGPRBlocks: 0
; VGPRBlocks: 7
; NumSGPRsForWavesPerEU: 30
; NumVGPRsForWavesPerEU: 60
; Occupancy: 16
; WaveLimiterHint : 0
; COMPUTE_PGM_RSRC2:SCRATCH_EN: 0
; COMPUTE_PGM_RSRC2:USER_SGPR: 6
; COMPUTE_PGM_RSRC2:TRAP_HANDLER: 0
; COMPUTE_PGM_RSRC2:TGID_X_EN: 1
; COMPUTE_PGM_RSRC2:TGID_Y_EN: 1
; COMPUTE_PGM_RSRC2:TGID_Z_EN: 0
; COMPUTE_PGM_RSRC2:TIDIG_COMP_CNT: 1
	.section	.text._ZN2at6native12_GLOBAL__N_135GammaBetaBackwardCUDAKernelTemplateIddLj32ELj16ELj128ELb0ELb0ELb0EEEvllPKT_S5_PKT0_S8_PS3_S9_,"axG",@progbits,_ZN2at6native12_GLOBAL__N_135GammaBetaBackwardCUDAKernelTemplateIddLj32ELj16ELj128ELb0ELb0ELb0EEEvllPKT_S5_PKT0_S8_PS3_S9_,comdat
	.globl	_ZN2at6native12_GLOBAL__N_135GammaBetaBackwardCUDAKernelTemplateIddLj32ELj16ELj128ELb0ELb0ELb0EEEvllPKT_S5_PKT0_S8_PS3_S9_ ; -- Begin function _ZN2at6native12_GLOBAL__N_135GammaBetaBackwardCUDAKernelTemplateIddLj32ELj16ELj128ELb0ELb0ELb0EEEvllPKT_S5_PKT0_S8_PS3_S9_
	.p2align	8
	.type	_ZN2at6native12_GLOBAL__N_135GammaBetaBackwardCUDAKernelTemplateIddLj32ELj16ELj128ELb0ELb0ELb0EEEvllPKT_S5_PKT0_S8_PS3_S9_,@function
_ZN2at6native12_GLOBAL__N_135GammaBetaBackwardCUDAKernelTemplateIddLj32ELj16ELj128ELb0ELb0ELb0EEEvllPKT_S5_PKT0_S8_PS3_S9_: ; @_ZN2at6native12_GLOBAL__N_135GammaBetaBackwardCUDAKernelTemplateIddLj32ELj16ELj128ELb0ELb0ELb0EEEvllPKT_S5_PKT0_S8_PS3_S9_
; %bb.0:
	s_clause 0x1
	s_load_dwordx8 s[8:15], s[4:5], 0x0
	s_load_dwordx4 s[16:19], s[4:5], 0x20
	s_lshl_b32 s28, s6, 5
	s_mov_b32 s3, 0
	s_or_b32 s2, s28, 31
	s_waitcnt lgkmcnt(0)
	v_cmp_le_i64_e64 s0, s[10:11], s[2:3]
	s_lshl_b32 s2, s7, 7
	v_cmp_gt_i64_e64 s7, s[8:9], s[2:3]
	s_and_b32 vcc_lo, exec_lo, s0
	v_cndmask_b32_e64 v2, 0, 1, s7
	v_cmp_ne_u32_e64 s0, 1, v2
	s_cbranch_vccz .LBB44_48
; %bb.1:
	v_mov_b32_e32 v37, 0
	v_mov_b32_e32 v35, 0
	;; [unrolled: 1-line block ×4, first 2 shown]
	s_and_b32 vcc_lo, exec_lo, s0
	s_cbranch_vccnz .LBB44_49
; %bb.2:
	v_lshlrev_b32_e32 v45, 3, v1
	v_mov_b32_e32 v2, 0
	v_add_nc_u32_e32 v5, s28, v0
	s_load_dword s1, s[4:5], 0x44
	s_add_u32 s20, s4, 64
	v_add_co_u32 v11, s0, v45, s2
	v_add_co_ci_u32_e64 v12, null, 0, 0, s0
	v_mov_b32_e32 v6, v2
	v_mul_lo_u32 v7, s11, v11
	v_mad_u64_u32 v[3:4], null, s10, v11, 0
	v_mul_lo_u32 v8, s10, v12
	v_cmp_gt_i64_e64 s0, s[10:11], v[5:6]
	v_lshlrev_b64 v[39:40], 3, v[5:6]
	s_addc_u32 s21, s5, 0
	v_mov_b32_e32 v35, 0
	v_mov_b32_e32 v37, 0
	;; [unrolled: 1-line block ×4, first 2 shown]
	v_add3_u32 v4, v4, v8, v7
	v_add_co_u32 v7, vcc_lo, v11, 7
	v_add_co_ci_u32_e64 v8, null, 0, v12, vcc_lo
	v_lshlrev_b64 v[5:6], 3, v[3:4]
	v_mul_lo_u32 v13, s11, v7
	s_waitcnt lgkmcnt(0)
	s_lshl_b32 s29, s1, 7
	v_mul_lo_u32 v14, s10, v8
	v_mad_u64_u32 v[7:8], null, s10, v7, 0
	v_add_co_u32 v46, vcc_lo, s12, v5
	v_add_co_ci_u32_e64 v47, null, s13, v6, vcc_lo
	v_add_co_u32 v9, vcc_lo, v11, 6
	v_add_co_ci_u32_e64 v10, null, 0, v12, vcc_lo
	v_add_co_u32 v48, vcc_lo, s14, v5
	v_mul_lo_u32 v15, s11, v9
	v_mul_lo_u32 v16, s10, v10
	v_mad_u64_u32 v[9:10], null, s10, v9, 0
	v_add3_u32 v8, v8, v14, v13
	v_add_co_ci_u32_e64 v49, null, s15, v6, vcc_lo
	v_add_co_u32 v13, vcc_lo, v11, 5
	v_add_co_ci_u32_e64 v14, null, 0, v12, vcc_lo
	v_add3_u32 v10, v10, v16, v15
	v_lshlrev_b64 v[5:6], 3, v[7:8]
	v_mul_lo_u32 v15, s11, v13
	v_mul_lo_u32 v14, s10, v14
	s_mul_i32 s1, s11, s29
	v_lshlrev_b64 v[7:8], 3, v[9:10]
	v_mad_u64_u32 v[9:10], null, s10, v13, 0
	v_add_co_u32 v50, vcc_lo, s12, v5
	v_add_co_ci_u32_e64 v51, null, s13, v6, vcc_lo
	v_add_co_u32 v52, vcc_lo, s14, v5
	v_add_co_ci_u32_e64 v53, null, s15, v6, vcc_lo
	v_add_co_u32 v54, vcc_lo, s12, v7
	v_add3_u32 v10, v10, v14, v15
	s_mul_hi_u32 s22, s10, s29
	v_add_co_ci_u32_e64 v55, null, s13, v8, vcc_lo
	v_add_co_u32 v13, vcc_lo, v11, 4
	s_add_i32 s23, s22, s1
	v_add_co_u32 v56, s1, s14, v7
	v_add_co_ci_u32_e64 v7, null, 0, v12, vcc_lo
	v_lshlrev_b64 v[5:6], 3, v[9:10]
	v_add_co_u32 v9, vcc_lo, v11, 3
	v_add_co_ci_u32_e64 v10, null, 0, v12, vcc_lo
	v_add_co_ci_u32_e64 v57, null, s15, v8, s1
	v_mul_lo_u32 v14, s11, v13
	v_mul_lo_u32 v15, s10, v7
	v_mad_u64_u32 v[7:8], null, s10, v13, 0
	v_mul_lo_u32 v13, s11, v9
	v_mul_lo_u32 v16, s10, v10
	v_mad_u64_u32 v[9:10], null, s10, v9, 0
	v_add_co_u32 v58, vcc_lo, s12, v5
	v_add_co_ci_u32_e64 v59, null, s13, v6, vcc_lo
	v_add3_u32 v8, v8, v15, v14
	v_add_co_u32 v60, vcc_lo, s14, v5
	v_add_co_ci_u32_e64 v61, null, s15, v6, vcc_lo
	v_add_co_u32 v11, vcc_lo, v11, 2
	v_add3_u32 v10, v10, v16, v13
	v_add_co_ci_u32_e64 v12, null, 0, v12, vcc_lo
	v_lshlrev_b64 v[5:6], 3, v[7:8]
	v_mul_lo_u32 v13, s11, v11
	v_lshlrev_b64 v[7:8], 3, v[9:10]
	v_mul_lo_u32 v12, s10, v12
	v_mad_u64_u32 v[9:10], null, s10, v11, 0
	v_add_co_u32 v62, vcc_lo, s12, v5
	v_add_co_ci_u32_e64 v63, null, s13, v6, vcc_lo
	v_add_co_u32 v64, vcc_lo, s14, v5
	v_add_co_ci_u32_e64 v65, null, s15, v6, vcc_lo
	;; [unrolled: 2-line block ×3, first 2 shown]
	v_add3_u32 v10, v10, v12, v13
	v_add_co_u32 v68, vcc_lo, s14, v7
	v_add_co_ci_u32_e64 v69, null, s15, v8, vcc_lo
	v_add_co_u32 v3, vcc_lo, v3, s10
	v_add_co_ci_u32_e64 v4, null, s11, v4, vcc_lo
	v_lshlrev_b64 v[5:6], 3, v[9:10]
	s_mul_i32 s22, s10, s29
	s_mov_b64 s[26:27], s[2:3]
	v_lshlrev_b64 v[3:4], 3, v[3:4]
	s_lshl_b64 s[22:23], s[22:23], 3
	s_add_u32 s24, s2, 0x7f
	v_add_co_u32 v70, vcc_lo, s12, v5
	v_add_co_ci_u32_e64 v71, null, s13, v6, vcc_lo
	v_add_co_u32 v72, vcc_lo, s14, v5
	v_add_co_ci_u32_e64 v73, null, s15, v6, vcc_lo
	;; [unrolled: 2-line block ×4, first 2 shown]
	s_addc_u32 s25, 0, 0
	s_branch .LBB44_5
.LBB44_3:                               ;   in Loop: Header=BB44_5 Depth=1
	s_or_b32 exec_lo, exec_lo, s1
	s_waitcnt vmcnt(1)
	ds_bpermute_b32 v78, v2, v41
	ds_bpermute_b32 v79, v2, v42
	ds_bpermute_b32 v80, v2, v41 offset:4
	ds_bpermute_b32 v81, v2, v42 offset:4
	s_waitcnt vmcnt(0) lgkmcnt(2)
	v_add_f64 v[19:20], v[19:20], -v[78:79]
	ds_bpermute_b32 v78, v2, v41 offset:8
	s_waitcnt lgkmcnt(1)
	v_add_f64 v[21:22], v[21:22], -v[80:81]
	ds_bpermute_b32 v79, v2, v42 offset:8
	ds_bpermute_b32 v80, v2, v43
	ds_bpermute_b32 v81, v2, v44
	v_mul_f64 v[19:20], v[3:4], v[19:20]
	v_add_f64 v[3:4], v[37:38], v[3:4]
	s_waitcnt lgkmcnt(2)
	v_add_f64 v[23:24], v[23:24], -v[78:79]
	v_mul_f64 v[21:22], v[5:6], v[21:22]
	ds_bpermute_b32 v37, v2, v41 offset:12
	ds_bpermute_b32 v38, v2, v42 offset:12
	;; [unrolled: 1-line block ×4, first 2 shown]
	s_waitcnt lgkmcnt(4)
	v_fma_f64 v[19:20], v[19:20], v[80:81], v[35:36]
	ds_bpermute_b32 v35, v2, v43 offset:4
	ds_bpermute_b32 v36, v2, v44 offset:4
	s_waitcnt lgkmcnt(4)
	v_add_f64 v[25:26], v[25:26], -v[37:38]
	v_add_f64 v[3:4], v[5:6], v[3:4]
	v_mul_f64 v[5:6], v[7:8], v[23:24]
	s_waitcnt lgkmcnt(2)
	v_add_f64 v[27:28], v[27:28], -v[78:79]
	ds_bpermute_b32 v23, v2, v41 offset:20
	ds_bpermute_b32 v24, v2, v42 offset:20
	s_waitcnt lgkmcnt(2)
	v_fma_f64 v[19:20], v[21:22], v[35:36], v[19:20]
	ds_bpermute_b32 v21, v2, v43 offset:8
	ds_bpermute_b32 v22, v2, v44 offset:8
	v_mul_f64 v[25:26], v[9:10], v[25:26]
	v_add_f64 v[3:4], v[7:8], v[3:4]
	ds_bpermute_b32 v7, v2, v43 offset:12
	ds_bpermute_b32 v8, v2, v44 offset:12
	s_waitcnt lgkmcnt(2)
	v_fma_f64 v[5:6], v[5:6], v[21:22], v[19:20]
	v_add_f64 v[21:22], v[29:30], -v[23:24]
	v_mul_f64 v[23:24], v[11:12], v[27:28]
	ds_bpermute_b32 v19, v2, v41 offset:24
	v_add_f64 v[3:4], v[9:10], v[3:4]
	ds_bpermute_b32 v20, v2, v42 offset:24
	s_waitcnt lgkmcnt(2)
	v_fma_f64 v[5:6], v[25:26], v[7:8], v[5:6]
	ds_bpermute_b32 v7, v2, v43 offset:16
	ds_bpermute_b32 v8, v2, v44 offset:16
	s_waitcnt lgkmcnt(2)
	v_add_f64 v[9:10], v[31:32], -v[19:20]
	v_mul_f64 v[19:20], v[13:14], v[21:22]
	v_add_f64 v[3:4], v[11:12], v[3:4]
	ds_bpermute_b32 v11, v2, v43 offset:24
	ds_bpermute_b32 v12, v2, v44 offset:24
	s_waitcnt lgkmcnt(2)
	v_fma_f64 v[5:6], v[23:24], v[7:8], v[5:6]
	ds_bpermute_b32 v7, v2, v43 offset:20
	ds_bpermute_b32 v8, v2, v44 offset:20
	v_mul_f64 v[9:10], v[15:16], v[9:10]
	ds_bpermute_b32 v43, v2, v43 offset:28
	v_add_f64 v[3:4], v[13:14], v[3:4]
	ds_bpermute_b32 v44, v2, v44 offset:28
	s_waitcnt lgkmcnt(2)
	v_fma_f64 v[7:8], v[19:20], v[7:8], v[5:6]
	v_add_f64 v[5:6], v[15:16], v[3:4]
	v_fma_f64 v[3:4], v[9:10], v[11:12], v[7:8]
	ds_bpermute_b32 v7, v2, v41 offset:28
	ds_bpermute_b32 v8, v2, v42 offset:28
.LBB44_4:                               ;   in Loop: Header=BB44_5 Depth=1
	s_waitcnt lgkmcnt(0)
	v_add_f64 v[7:8], v[33:34], -v[7:8]
	v_add_f64 v[37:38], v[5:6], v[17:18]
	v_add_co_u32 v46, vcc_lo, v46, s22
	v_add_co_ci_u32_e64 v47, null, s23, v47, vcc_lo
	v_add_co_u32 v48, vcc_lo, v48, s22
	v_add_co_ci_u32_e64 v49, null, s23, v49, vcc_lo
	;; [unrolled: 2-line block ×5, first 2 shown]
	v_mul_f64 v[5:6], v[17:18], v[7:8]
	v_add_co_u32 v56, vcc_lo, v56, s22
	v_add_co_ci_u32_e64 v57, null, s23, v57, vcc_lo
	v_add_co_u32 v58, vcc_lo, v58, s22
	v_add_co_ci_u32_e64 v59, null, s23, v59, vcc_lo
	;; [unrolled: 2-line block ×5, first 2 shown]
	v_add_co_u32 v66, vcc_lo, v66, s22
	v_fma_f64 v[35:36], v[5:6], v[43:44], v[3:4]
	v_add_co_ci_u32_e64 v67, null, s23, v67, vcc_lo
	v_add_co_u32 v68, vcc_lo, v68, s22
	v_add_co_ci_u32_e64 v69, null, s23, v69, vcc_lo
	v_add_co_u32 v70, vcc_lo, v70, s22
	s_add_u32 s26, s26, s29
	v_add_co_ci_u32_e64 v71, null, s23, v71, vcc_lo
	v_add_co_u32 v72, vcc_lo, v72, s22
	s_addc_u32 s27, s27, 0
	v_add_co_ci_u32_e64 v73, null, s23, v73, vcc_lo
	v_add_co_u32 v74, vcc_lo, v74, s22
	v_cmp_lt_i64_e64 s1, s[26:27], s[8:9]
	v_add_co_ci_u32_e64 v75, null, s23, v75, vcc_lo
	v_add_co_u32 v76, vcc_lo, v76, s22
	v_add_co_ci_u32_e64 v77, null, s23, v77, vcc_lo
	s_add_u32 s24, s24, s29
	s_addc_u32 s25, s25, 0
	s_and_b32 vcc_lo, exec_lo, s1
	s_cbranch_vccz .LBB44_49
.LBB44_5:                               ; =>This Inner Loop Header: Depth=1
	v_cmp_ge_i64_e64 s1, s[24:25], s[8:9]
	v_add_co_u32 v78, s30, v45, s24
	v_add_co_ci_u32_e64 v79, null, 0, s25, s30
                                        ; implicit-def: $vgpr3_vgpr4_vgpr5_vgpr6_vgpr7_vgpr8_vgpr9_vgpr10_vgpr11_vgpr12_vgpr13_vgpr14_vgpr15_vgpr16_vgpr17_vgpr18
                                        ; implicit-def: $vgpr43_vgpr44
                                        ; implicit-def: $vgpr19_vgpr20_vgpr21_vgpr22_vgpr23_vgpr24_vgpr25_vgpr26_vgpr27_vgpr28_vgpr29_vgpr30_vgpr31_vgpr32_vgpr33_vgpr34
                                        ; implicit-def: $vgpr7
	s_and_b32 vcc_lo, exec_lo, s1
	s_mov_b32 s1, -1
                                        ; implicit-def: $vgpr5_vgpr6
                                        ; implicit-def: $vgpr3_vgpr4
	s_cbranch_vccz .LBB44_27
; %bb.6:                                ;   in Loop: Header=BB44_5 Depth=1
	s_load_dword s1, s[20:21], 0xc
	v_mov_b32_e32 v43, 0
	v_mov_b32_e32 v41, 0
	;; [unrolled: 1-line block ×4, first 2 shown]
	s_waitcnt lgkmcnt(0)
	s_and_b32 s1, s1, 0xffff
	v_mad_u32_u24 v3, v1, s1, v0
	s_mov_b32 s1, exec_lo
	v_and_b32_e32 v3, 31, v3
	v_cmpx_gt_u32_e32 8, v3
	s_cbranch_execz .LBB44_10
; %bb.7:                                ;   in Loop: Header=BB44_5 Depth=1
	v_add_co_u32 v3, vcc_lo, v78, v3
	v_add_co_ci_u32_e64 v4, null, 0, v79, vcc_lo
	v_mov_b32_e32 v41, 0
	v_add_co_u32 v3, vcc_lo, 0xffffff81, v3
	v_mov_b32_e32 v43, 0
	v_add_co_ci_u32_e64 v4, null, -1, v4, vcc_lo
	v_mov_b32_e32 v42, 0
	v_mov_b32_e32 v44, 0
	s_mov_b32 s30, exec_lo
	v_cmpx_gt_i64_e64 s[8:9], v[3:4]
	s_cbranch_execz .LBB44_9
; %bb.8:                                ;   in Loop: Header=BB44_5 Depth=1
	v_lshlrev_b64 v[3:4], 3, v[3:4]
	v_add_co_u32 v5, vcc_lo, s16, v3
	v_add_co_ci_u32_e64 v6, null, s17, v4, vcc_lo
	v_add_co_u32 v3, vcc_lo, s18, v3
	v_add_co_ci_u32_e64 v4, null, s19, v4, vcc_lo
	global_load_dwordx2 v[41:42], v[5:6], off
	global_load_dwordx2 v[43:44], v[3:4], off
.LBB44_9:                               ;   in Loop: Header=BB44_5 Depth=1
	s_or_b32 exec_lo, exec_lo, s30
.LBB44_10:                              ;   in Loop: Header=BB44_5 Depth=1
	s_or_b32 exec_lo, exec_lo, s1
	v_add_co_u32 v18, vcc_lo, 0xffffff81, v78
	v_add_co_ci_u32_e64 v19, null, -1, v79, vcc_lo
	v_mov_b32_e32 v17, v2
	v_mov_b32_e32 v3, v2
	;; [unrolled: 1-line block ×15, first 2 shown]
	v_cmp_gt_i64_e32 vcc_lo, s[8:9], v[18:19]
	v_mov_b32_e32 v34, v17
	v_mov_b32_e32 v31, v14
	;; [unrolled: 1-line block ×32, first 2 shown]
	s_and_b32 s30, s0, vcc_lo
	s_and_saveexec_b32 s1, s30
	s_cbranch_execz .LBB44_12
; %bb.11:                               ;   in Loop: Header=BB44_5 Depth=1
	v_add_co_u32 v3, vcc_lo, v46, v39
	v_add_co_ci_u32_e64 v4, null, v47, v40, vcc_lo
	v_add_co_u32 v5, vcc_lo, v48, v39
	v_add_co_ci_u32_e64 v6, null, v49, v40, vcc_lo
	global_load_dwordx2 v[3:4], v[3:4], off
	global_load_dwordx2 v[19:20], v[5:6], off
	v_mov_b32_e32 v5, v2
	v_mov_b32_e32 v6, v2
	;; [unrolled: 1-line block ×28, first 2 shown]
.LBB44_12:                              ;   in Loop: Header=BB44_5 Depth=1
	s_or_b32 exec_lo, exec_lo, s1
	v_add_co_u32 v80, vcc_lo, 0xffffff82, v78
	v_add_co_ci_u32_e64 v81, null, -1, v79, vcc_lo
	v_cmp_gt_i64_e32 vcc_lo, s[8:9], v[80:81]
	s_and_b32 s30, s0, vcc_lo
	s_and_saveexec_b32 s1, s30
	s_cbranch_execz .LBB44_14
; %bb.13:                               ;   in Loop: Header=BB44_5 Depth=1
	v_add_co_u32 v5, vcc_lo, v74, v39
	v_add_co_ci_u32_e64 v6, null, v75, v40, vcc_lo
	v_add_co_u32 v21, vcc_lo, v76, v39
	v_add_co_ci_u32_e64 v22, null, v77, v40, vcc_lo
	global_load_dwordx2 v[5:6], v[5:6], off
	global_load_dwordx2 v[21:22], v[21:22], off
.LBB44_14:                              ;   in Loop: Header=BB44_5 Depth=1
	s_or_b32 exec_lo, exec_lo, s1
	v_add_co_u32 v80, vcc_lo, 0xffffff83, v78
	v_add_co_ci_u32_e64 v81, null, -1, v79, vcc_lo
	v_cmp_gt_i64_e32 vcc_lo, s[8:9], v[80:81]
	s_and_b32 s30, s0, vcc_lo
	s_and_saveexec_b32 s1, s30
	s_cbranch_execz .LBB44_16
; %bb.15:                               ;   in Loop: Header=BB44_5 Depth=1
	v_add_co_u32 v7, vcc_lo, v70, v39
	v_add_co_ci_u32_e64 v8, null, v71, v40, vcc_lo
	v_add_co_u32 v23, vcc_lo, v72, v39
	v_add_co_ci_u32_e64 v24, null, v73, v40, vcc_lo
	global_load_dwordx2 v[7:8], v[7:8], off
	global_load_dwordx2 v[23:24], v[23:24], off
.LBB44_16:                              ;   in Loop: Header=BB44_5 Depth=1
	s_or_b32 exec_lo, exec_lo, s1
	v_add_co_u32 v80, vcc_lo, 0xffffff84, v78
	v_add_co_ci_u32_e64 v81, null, -1, v79, vcc_lo
	v_cmp_gt_i64_e32 vcc_lo, s[8:9], v[80:81]
	s_and_b32 s30, s0, vcc_lo
	s_and_saveexec_b32 s1, s30
	s_cbranch_execz .LBB44_18
; %bb.17:                               ;   in Loop: Header=BB44_5 Depth=1
	v_add_co_u32 v9, vcc_lo, v66, v39
	v_add_co_ci_u32_e64 v10, null, v67, v40, vcc_lo
	v_add_co_u32 v25, vcc_lo, v68, v39
	v_add_co_ci_u32_e64 v26, null, v69, v40, vcc_lo
	global_load_dwordx2 v[9:10], v[9:10], off
	global_load_dwordx2 v[25:26], v[25:26], off
.LBB44_18:                              ;   in Loop: Header=BB44_5 Depth=1
	s_or_b32 exec_lo, exec_lo, s1
	v_add_co_u32 v80, vcc_lo, 0xffffff85, v78
	v_add_co_ci_u32_e64 v81, null, -1, v79, vcc_lo
	v_cmp_gt_i64_e32 vcc_lo, s[8:9], v[80:81]
	s_and_b32 s30, s0, vcc_lo
	s_and_saveexec_b32 s1, s30
	s_cbranch_execz .LBB44_20
; %bb.19:                               ;   in Loop: Header=BB44_5 Depth=1
	v_add_co_u32 v11, vcc_lo, v62, v39
	v_add_co_ci_u32_e64 v12, null, v63, v40, vcc_lo
	v_add_co_u32 v27, vcc_lo, v64, v39
	v_add_co_ci_u32_e64 v28, null, v65, v40, vcc_lo
	global_load_dwordx2 v[11:12], v[11:12], off
	global_load_dwordx2 v[27:28], v[27:28], off
.LBB44_20:                              ;   in Loop: Header=BB44_5 Depth=1
	s_or_b32 exec_lo, exec_lo, s1
	v_add_co_u32 v80, vcc_lo, 0xffffff86, v78
	v_add_co_ci_u32_e64 v81, null, -1, v79, vcc_lo
	v_cmp_gt_i64_e32 vcc_lo, s[8:9], v[80:81]
	s_and_b32 s30, s0, vcc_lo
	s_and_saveexec_b32 s1, s30
	s_cbranch_execz .LBB44_22
; %bb.21:                               ;   in Loop: Header=BB44_5 Depth=1
	v_add_co_u32 v13, vcc_lo, v58, v39
	v_add_co_ci_u32_e64 v14, null, v59, v40, vcc_lo
	v_add_co_u32 v29, vcc_lo, v60, v39
	v_add_co_ci_u32_e64 v30, null, v61, v40, vcc_lo
	global_load_dwordx2 v[13:14], v[13:14], off
	global_load_dwordx2 v[29:30], v[29:30], off
.LBB44_22:                              ;   in Loop: Header=BB44_5 Depth=1
	s_or_b32 exec_lo, exec_lo, s1
	v_add_co_u32 v80, vcc_lo, 0xffffff87, v78
	v_add_co_ci_u32_e64 v81, null, -1, v79, vcc_lo
	v_cmp_gt_i64_e32 vcc_lo, s[8:9], v[80:81]
	s_and_b32 s30, s0, vcc_lo
	s_and_saveexec_b32 s1, s30
	s_cbranch_execz .LBB44_24
; %bb.23:                               ;   in Loop: Header=BB44_5 Depth=1
	v_add_co_u32 v15, vcc_lo, v54, v39
	v_add_co_ci_u32_e64 v16, null, v55, v40, vcc_lo
	v_add_co_u32 v31, vcc_lo, v56, v39
	v_add_co_ci_u32_e64 v32, null, v57, v40, vcc_lo
	global_load_dwordx2 v[15:16], v[15:16], off
	global_load_dwordx2 v[31:32], v[31:32], off
.LBB44_24:                              ;   in Loop: Header=BB44_5 Depth=1
	s_or_b32 exec_lo, exec_lo, s1
	v_add_co_u32 v80, vcc_lo, 0xffffff88, v78
	v_add_co_ci_u32_e64 v81, null, -1, v79, vcc_lo
	v_cmp_gt_i64_e32 vcc_lo, s[8:9], v[80:81]
	s_and_b32 s30, s0, vcc_lo
	s_and_saveexec_b32 s1, s30
	s_cbranch_execz .LBB44_26
; %bb.25:                               ;   in Loop: Header=BB44_5 Depth=1
	v_add_co_u32 v17, vcc_lo, v50, v39
	v_add_co_ci_u32_e64 v18, null, v51, v40, vcc_lo
	v_add_co_u32 v33, vcc_lo, v52, v39
	v_add_co_ci_u32_e64 v34, null, v53, v40, vcc_lo
	global_load_dwordx2 v[17:18], v[17:18], off
	global_load_dwordx2 v[33:34], v[33:34], off
.LBB44_26:                              ;   in Loop: Header=BB44_5 Depth=1
	s_or_b32 exec_lo, exec_lo, s1
	s_waitcnt vmcnt(1)
	ds_bpermute_b32 v80, v2, v41
	ds_bpermute_b32 v81, v2, v42
	ds_bpermute_b32 v82, v2, v41 offset:4
	ds_bpermute_b32 v83, v2, v42 offset:4
	;; [unrolled: 1-line block ×4, first 2 shown]
	s_mov_b32 s1, 0
	s_waitcnt vmcnt(0) lgkmcnt(4)
	v_add_f64 v[19:20], v[19:20], -v[80:81]
	ds_bpermute_b32 v80, v2, v41 offset:8
	s_waitcnt lgkmcnt(3)
	v_add_f64 v[21:22], v[21:22], -v[82:83]
	ds_bpermute_b32 v81, v2, v42 offset:8
	ds_bpermute_b32 v82, v2, v43
	ds_bpermute_b32 v83, v2, v44
	s_waitcnt lgkmcnt(4)
	v_add_f64 v[25:26], v[25:26], -v[84:85]
	v_mul_f64 v[19:20], v[3:4], v[19:20]
	v_add_f64 v[3:4], v[37:38], v[3:4]
	s_waitcnt lgkmcnt(2)
	v_add_f64 v[23:24], v[23:24], -v[80:81]
	v_mul_f64 v[21:22], v[5:6], v[21:22]
	ds_bpermute_b32 v80, v2, v43 offset:4
	ds_bpermute_b32 v81, v2, v44 offset:4
	v_mul_f64 v[25:26], v[9:10], v[25:26]
	s_waitcnt lgkmcnt(2)
	v_fma_f64 v[19:20], v[19:20], v[82:83], v[35:36]
	v_add_f64 v[3:4], v[5:6], v[3:4]
	v_mul_f64 v[5:6], v[7:8], v[23:24]
	ds_bpermute_b32 v82, v2, v41 offset:16
	ds_bpermute_b32 v83, v2, v42 offset:16
	;; [unrolled: 1-line block ×4, first 2 shown]
	s_waitcnt lgkmcnt(4)
	v_fma_f64 v[19:20], v[21:22], v[80:81], v[19:20]
	ds_bpermute_b32 v21, v2, v43 offset:8
	ds_bpermute_b32 v22, v2, v44 offset:8
	s_waitcnt lgkmcnt(4)
	v_add_f64 v[27:28], v[27:28], -v[82:83]
	v_add_f64 v[3:4], v[7:8], v[3:4]
	ds_bpermute_b32 v7, v2, v43 offset:12
	ds_bpermute_b32 v8, v2, v44 offset:12
	s_waitcnt lgkmcnt(2)
	v_fma_f64 v[5:6], v[5:6], v[21:22], v[19:20]
	v_add_f64 v[21:22], v[29:30], -v[23:24]
	ds_bpermute_b32 v19, v2, v41 offset:24
	v_mul_f64 v[23:24], v[11:12], v[27:28]
	v_add_f64 v[3:4], v[9:10], v[3:4]
	ds_bpermute_b32 v20, v2, v42 offset:24
	s_waitcnt lgkmcnt(2)
	v_fma_f64 v[5:6], v[25:26], v[7:8], v[5:6]
	ds_bpermute_b32 v7, v2, v43 offset:16
	ds_bpermute_b32 v8, v2, v44 offset:16
	s_waitcnt lgkmcnt(2)
	v_add_f64 v[9:10], v[31:32], -v[19:20]
	v_mul_f64 v[19:20], v[13:14], v[21:22]
	v_add_f64 v[3:4], v[11:12], v[3:4]
	ds_bpermute_b32 v11, v2, v43 offset:24
	ds_bpermute_b32 v12, v2, v44 offset:24
	s_waitcnt lgkmcnt(2)
	v_fma_f64 v[5:6], v[23:24], v[7:8], v[5:6]
	ds_bpermute_b32 v7, v2, v43 offset:20
	ds_bpermute_b32 v8, v2, v44 offset:20
	v_mul_f64 v[9:10], v[15:16], v[9:10]
	ds_bpermute_b32 v43, v2, v43 offset:28
	v_add_f64 v[3:4], v[13:14], v[3:4]
	ds_bpermute_b32 v44, v2, v44 offset:28
	s_waitcnt lgkmcnt(2)
	v_fma_f64 v[7:8], v[19:20], v[7:8], v[5:6]
	v_add_f64 v[5:6], v[15:16], v[3:4]
	v_fma_f64 v[3:4], v[9:10], v[11:12], v[7:8]
	ds_bpermute_b32 v7, v2, v41 offset:28
	ds_bpermute_b32 v8, v2, v42 offset:28
.LBB44_27:                              ;   in Loop: Header=BB44_5 Depth=1
	s_and_b32 vcc_lo, exec_lo, s1
	s_cbranch_vccz .LBB44_4
; %bb.28:                               ;   in Loop: Header=BB44_5 Depth=1
	s_load_dword s1, s[20:21], 0x0
	s_waitcnt lgkmcnt(0)
	v_mov_b32_e32 v43, 0
	v_mov_b32_e32 v41, 0
	;; [unrolled: 1-line block ×4, first 2 shown]
	s_cmp_lt_u32 s6, s1
	s_cselect_b32 s1, 12, 18
	s_add_u32 s30, s20, s1
	s_addc_u32 s31, s21, 0
	s_mov_b32 s1, exec_lo
	global_load_ushort v3, v2, s[30:31]
	s_waitcnt vmcnt(0)
	v_mad_u32_u24 v3, v1, v3, v0
	v_and_b32_e32 v3, 31, v3
	v_cmpx_gt_u32_e32 8, v3
	s_cbranch_execz .LBB44_32
; %bb.29:                               ;   in Loop: Header=BB44_5 Depth=1
	v_add_co_u32 v3, vcc_lo, v78, v3
	v_add_co_ci_u32_e64 v4, null, 0, v79, vcc_lo
	v_mov_b32_e32 v41, 0
	v_add_co_u32 v3, vcc_lo, 0xffffff81, v3
	v_mov_b32_e32 v43, 0
	v_add_co_ci_u32_e64 v4, null, -1, v4, vcc_lo
	v_mov_b32_e32 v42, 0
	v_mov_b32_e32 v44, 0
	s_mov_b32 s30, exec_lo
	v_cmpx_gt_i64_e64 s[8:9], v[3:4]
	s_cbranch_execz .LBB44_31
; %bb.30:                               ;   in Loop: Header=BB44_5 Depth=1
	v_lshlrev_b64 v[3:4], 3, v[3:4]
	v_add_co_u32 v5, vcc_lo, s16, v3
	v_add_co_ci_u32_e64 v6, null, s17, v4, vcc_lo
	v_add_co_u32 v3, vcc_lo, s18, v3
	v_add_co_ci_u32_e64 v4, null, s19, v4, vcc_lo
	global_load_dwordx2 v[41:42], v[5:6], off
	global_load_dwordx2 v[43:44], v[3:4], off
.LBB44_31:                              ;   in Loop: Header=BB44_5 Depth=1
	s_or_b32 exec_lo, exec_lo, s30
.LBB44_32:                              ;   in Loop: Header=BB44_5 Depth=1
	s_or_b32 exec_lo, exec_lo, s1
	v_mov_b32_e32 v17, v2
	v_mov_b32_e32 v3, v2
	;; [unrolled: 1-line block ×47, first 2 shown]
	s_and_saveexec_b32 s1, s0
	s_cbranch_execnz .LBB44_40
; %bb.33:                               ;   in Loop: Header=BB44_5 Depth=1
	s_or_b32 exec_lo, exec_lo, s1
	s_and_saveexec_b32 s1, s0
	s_cbranch_execnz .LBB44_41
.LBB44_34:                              ;   in Loop: Header=BB44_5 Depth=1
	s_or_b32 exec_lo, exec_lo, s1
	s_and_saveexec_b32 s1, s0
	s_cbranch_execnz .LBB44_42
.LBB44_35:                              ;   in Loop: Header=BB44_5 Depth=1
	s_or_b32 exec_lo, exec_lo, s1
	s_and_saveexec_b32 s1, s0
	s_cbranch_execnz .LBB44_43
.LBB44_36:                              ;   in Loop: Header=BB44_5 Depth=1
	s_or_b32 exec_lo, exec_lo, s1
	s_and_saveexec_b32 s1, s0
	s_cbranch_execnz .LBB44_44
.LBB44_37:                              ;   in Loop: Header=BB44_5 Depth=1
	s_or_b32 exec_lo, exec_lo, s1
	s_and_saveexec_b32 s1, s0
	s_cbranch_execnz .LBB44_45
.LBB44_38:                              ;   in Loop: Header=BB44_5 Depth=1
	s_or_b32 exec_lo, exec_lo, s1
	s_and_saveexec_b32 s1, s0
	s_cbranch_execnz .LBB44_46
.LBB44_39:                              ;   in Loop: Header=BB44_5 Depth=1
	s_or_b32 exec_lo, exec_lo, s1
	s_and_saveexec_b32 s1, s0
	s_cbranch_execz .LBB44_3
	s_branch .LBB44_47
.LBB44_40:                              ;   in Loop: Header=BB44_5 Depth=1
	v_add_co_u32 v3, vcc_lo, v46, v39
	v_add_co_ci_u32_e64 v4, null, v47, v40, vcc_lo
	v_add_co_u32 v5, vcc_lo, v48, v39
	v_add_co_ci_u32_e64 v6, null, v49, v40, vcc_lo
	global_load_dwordx2 v[3:4], v[3:4], off
	global_load_dwordx2 v[19:20], v[5:6], off
	v_mov_b32_e32 v5, v2
	v_mov_b32_e32 v6, v2
	;; [unrolled: 1-line block ×28, first 2 shown]
	s_or_b32 exec_lo, exec_lo, s1
	s_and_saveexec_b32 s1, s0
	s_cbranch_execz .LBB44_34
.LBB44_41:                              ;   in Loop: Header=BB44_5 Depth=1
	v_add_co_u32 v5, vcc_lo, v74, v39
	v_add_co_ci_u32_e64 v6, null, v75, v40, vcc_lo
	v_add_co_u32 v21, vcc_lo, v76, v39
	v_add_co_ci_u32_e64 v22, null, v77, v40, vcc_lo
	global_load_dwordx2 v[5:6], v[5:6], off
	global_load_dwordx2 v[21:22], v[21:22], off
	s_or_b32 exec_lo, exec_lo, s1
	s_and_saveexec_b32 s1, s0
	s_cbranch_execz .LBB44_35
.LBB44_42:                              ;   in Loop: Header=BB44_5 Depth=1
	v_add_co_u32 v7, vcc_lo, v70, v39
	v_add_co_ci_u32_e64 v8, null, v71, v40, vcc_lo
	v_add_co_u32 v23, vcc_lo, v72, v39
	v_add_co_ci_u32_e64 v24, null, v73, v40, vcc_lo
	global_load_dwordx2 v[7:8], v[7:8], off
	global_load_dwordx2 v[23:24], v[23:24], off
	s_or_b32 exec_lo, exec_lo, s1
	s_and_saveexec_b32 s1, s0
	s_cbranch_execz .LBB44_36
.LBB44_43:                              ;   in Loop: Header=BB44_5 Depth=1
	v_add_co_u32 v9, vcc_lo, v66, v39
	v_add_co_ci_u32_e64 v10, null, v67, v40, vcc_lo
	v_add_co_u32 v25, vcc_lo, v68, v39
	v_add_co_ci_u32_e64 v26, null, v69, v40, vcc_lo
	global_load_dwordx2 v[9:10], v[9:10], off
	global_load_dwordx2 v[25:26], v[25:26], off
	s_or_b32 exec_lo, exec_lo, s1
	s_and_saveexec_b32 s1, s0
	s_cbranch_execz .LBB44_37
.LBB44_44:                              ;   in Loop: Header=BB44_5 Depth=1
	v_add_co_u32 v11, vcc_lo, v62, v39
	v_add_co_ci_u32_e64 v12, null, v63, v40, vcc_lo
	v_add_co_u32 v27, vcc_lo, v64, v39
	v_add_co_ci_u32_e64 v28, null, v65, v40, vcc_lo
	global_load_dwordx2 v[11:12], v[11:12], off
	global_load_dwordx2 v[27:28], v[27:28], off
	s_or_b32 exec_lo, exec_lo, s1
	s_and_saveexec_b32 s1, s0
	s_cbranch_execz .LBB44_38
.LBB44_45:                              ;   in Loop: Header=BB44_5 Depth=1
	v_add_co_u32 v13, vcc_lo, v58, v39
	v_add_co_ci_u32_e64 v14, null, v59, v40, vcc_lo
	v_add_co_u32 v29, vcc_lo, v60, v39
	v_add_co_ci_u32_e64 v30, null, v61, v40, vcc_lo
	global_load_dwordx2 v[13:14], v[13:14], off
	global_load_dwordx2 v[29:30], v[29:30], off
	s_or_b32 exec_lo, exec_lo, s1
	s_and_saveexec_b32 s1, s0
	s_cbranch_execz .LBB44_39
.LBB44_46:                              ;   in Loop: Header=BB44_5 Depth=1
	v_add_co_u32 v15, vcc_lo, v54, v39
	v_add_co_ci_u32_e64 v16, null, v55, v40, vcc_lo
	v_add_co_u32 v31, vcc_lo, v56, v39
	v_add_co_ci_u32_e64 v32, null, v57, v40, vcc_lo
	global_load_dwordx2 v[15:16], v[15:16], off
	global_load_dwordx2 v[31:32], v[31:32], off
	s_or_b32 exec_lo, exec_lo, s1
	s_and_saveexec_b32 s1, s0
	s_cbranch_execz .LBB44_3
.LBB44_47:                              ;   in Loop: Header=BB44_5 Depth=1
	v_add_co_u32 v17, vcc_lo, v50, v39
	v_add_co_ci_u32_e64 v18, null, v51, v40, vcc_lo
	v_add_co_u32 v33, vcc_lo, v52, v39
	v_add_co_ci_u32_e64 v34, null, v53, v40, vcc_lo
	global_load_dwordx2 v[17:18], v[17:18], off
	global_load_dwordx2 v[33:34], v[33:34], off
	s_branch .LBB44_3
.LBB44_48:
                                        ; implicit-def: $vgpr37_vgpr38
                                        ; implicit-def: $vgpr35_vgpr36
	s_branch .LBB44_50
.LBB44_49:
	s_cbranch_execnz .LBB44_81
.LBB44_50:
	v_mov_b32_e32 v37, 0
	v_mov_b32_e32 v35, 0
	;; [unrolled: 1-line block ×4, first 2 shown]
	s_andn2_b32 vcc_lo, exec_lo, s7
	s_cbranch_vccnz .LBB44_81
; %bb.51:
	s_load_dword s7, s[4:5], 0x44
	v_lshlrev_b32_e32 v73, 3, v1
	v_lshlrev_b32_e32 v6, 6, v1
	v_mov_b32_e32 v35, 0
	v_mov_b32_e32 v37, 0
	;; [unrolled: 1-line block ×3, first 2 shown]
	v_add_co_u32 v10, s0, v73, s2
	v_add_co_ci_u32_e64 v11, null, 0, 0, s0
	s_add_u32 s0, s4, 64
	v_mul_lo_u32 v4, s11, v10
	v_mad_u64_u32 v[2:3], null, s10, v10, 0
	v_mul_lo_u32 v5, s10, v11
	s_addc_u32 s1, s5, 0
	v_mov_b32_e32 v38, 0
	s_waitcnt lgkmcnt(0)
	s_lshl_b32 s7, s7, 7
	v_add3_u32 v3, v3, v5, v4
	s_mul_i32 s21, s11, s7
	s_mul_hi_u32 s22, s10, s7
	s_mul_i32 s20, s10, s7
	s_add_i32 s21, s22, s21
	v_lshlrev_b64 v[4:5], 3, v[2:3]
	s_lshl_b64 s[20:21], s[20:21], 3
	s_add_u32 s22, s2, 0x7f
	s_addc_u32 s23, 0, 0
	s_lshl_b64 s[24:25], s[2:3], 3
	v_add_co_u32 v6, s24, v6, s24
	v_add_co_ci_u32_e64 v7, null, 0, s25, s24
	v_add_co_u32 v8, vcc_lo, v6, 8
	v_add_co_ci_u32_e64 v9, null, 0, v7, vcc_lo
	v_add_co_u32 v74, vcc_lo, s12, v4
	v_add_co_ci_u32_e64 v75, null, s13, v5, vcc_lo
	;; [unrolled: 2-line block ×6, first 2 shown]
	v_add_co_u32 v19, vcc_lo, v6, 40
	v_mad_u64_u32 v[41:42], null, s10, v4, s[12:13]
	v_mul_lo_u32 v5, s10, v5
	v_mul_lo_u32 v15, s11, v4
	v_mad_u64_u32 v[55:56], null, s10, v4, s[14:15]
	v_add_co_ci_u32_e64 v20, null, 0, v7, vcc_lo
	v_add_co_u32 v22, vcc_lo, v6, 48
	v_add_co_ci_u32_e64 v24, null, 0, v7, vcc_lo
	v_add_co_u32 v6, vcc_lo, v6, 56
	v_mad_u64_u32 v[39:40], null, s10, v8, s[12:13]
	v_mul_lo_u32 v9, s10, v9
	v_mul_lo_u32 v12, s11, v8
	v_mad_u64_u32 v[53:54], null, s10, v8, s[14:15]
	v_add_co_ci_u32_e64 v7, null, 0, v7, vcc_lo
	v_add_co_u32 v4, vcc_lo, v10, 7
	v_add3_u32 v42, v15, v42, v5
	v_add3_u32 v56, v15, v56, v5
	v_add_co_ci_u32_e64 v5, null, 0, v11, vcc_lo
	v_mul_lo_u32 v26, s10, v7
	v_add_co_u32 v7, vcc_lo, v10, 6
	v_add3_u32 v40, v12, v40, v9
	v_add3_u32 v54, v12, v54, v9
	v_add_co_ci_u32_e64 v12, null, 0, v11, vcc_lo
	v_mul_lo_u32 v8, s11, v4
	v_mul_lo_u32 v9, s10, v5
	v_mad_u64_u32 v[4:5], null, s10, v4, 0
	v_mad_u64_u32 v[43:44], null, s10, v13, s[12:13]
	v_mul_lo_u32 v17, s11, v13
	v_mad_u64_u32 v[51:52], null, s10, v6, s[12:13]
	v_mul_lo_u32 v27, s11, v6
	v_mad_u64_u32 v[57:58], null, s10, v13, s[14:15]
	v_mad_u64_u32 v[65:66], null, s10, v6, s[14:15]
	v_mul_lo_u32 v13, s11, v7
	v_mul_lo_u32 v12, s10, v12
	v_mad_u64_u32 v[6:7], null, s10, v7, 0
	v_add3_u32 v5, v5, v9, v8
	v_add_co_u32 v8, vcc_lo, v10, 5
	v_add_co_ci_u32_e64 v9, null, 0, v11, vcc_lo
	v_lshlrev_b64 v[4:5], 3, v[4:5]
	v_add3_u32 v7, v7, v12, v13
	v_mul_lo_u32 v12, s11, v8
	v_mul_lo_u32 v13, s10, v9
	v_mad_u64_u32 v[8:9], null, s10, v8, 0
	v_lshlrev_b64 v[6:7], 3, v[6:7]
	v_add_co_u32 v78, vcc_lo, s12, v4
	v_add_co_ci_u32_e64 v79, null, s13, v5, vcc_lo
	v_add_co_u32 v80, vcc_lo, s14, v4
	v_add_co_ci_u32_e64 v81, null, s15, v5, vcc_lo
	;; [unrolled: 2-line block ×3, first 2 shown]
	v_add3_u32 v9, v9, v13, v12
	v_add_co_u32 v12, vcc_lo, v10, 4
	v_add_co_ci_u32_e64 v13, null, 0, v11, vcc_lo
	v_add_co_u32 v84, vcc_lo, s14, v6
	v_add_co_ci_u32_e64 v85, null, s15, v7, vcc_lo
	v_lshlrev_b64 v[4:5], 3, v[8:9]
	v_mul_lo_u32 v8, s11, v12
	v_mul_lo_u32 v9, s10, v13
	v_mad_u64_u32 v[6:7], null, s10, v12, 0
	v_mul_lo_u32 v14, s10, v14
	v_add_co_u32 v12, vcc_lo, v10, 3
	v_add_co_ci_u32_e64 v13, null, 0, v11, vcc_lo
	v_add_co_u32 v86, vcc_lo, s12, v4
	v_add_co_ci_u32_e64 v87, null, s13, v5, vcc_lo
	v_add3_u32 v7, v7, v9, v8
	v_add_co_u32 v10, vcc_lo, v10, 2
	v_add3_u32 v44, v17, v44, v14
	v_add3_u32 v58, v17, v58, v14
	v_mul_lo_u32 v14, s11, v12
	v_mul_lo_u32 v13, s10, v13
	v_mad_u64_u32 v[8:9], null, s10, v12, 0
	v_add_co_ci_u32_e64 v11, null, 0, v11, vcc_lo
	v_add_co_u32 v88, vcc_lo, s14, v4
	v_add_co_ci_u32_e64 v89, null, s15, v5, vcc_lo
	v_lshlrev_b64 v[4:5], 3, v[6:7]
	v_mul_lo_u32 v12, s11, v10
	v_mul_lo_u32 v11, s10, v11
	v_mad_u64_u32 v[6:7], null, s10, v10, 0
	v_add3_u32 v9, v9, v13, v14
	v_add_co_u32 v90, vcc_lo, s12, v4
	v_add_co_ci_u32_e64 v91, null, s13, v5, vcc_lo
	v_add_co_u32 v92, vcc_lo, s14, v4
	v_add_co_ci_u32_e64 v93, null, s15, v5, vcc_lo
	v_lshlrev_b64 v[4:5], 3, v[8:9]
	v_add3_u32 v7, v7, v11, v12
	v_add_co_u32 v2, vcc_lo, v2, s10
	v_add_co_ci_u32_e64 v3, null, s11, v3, vcc_lo
	v_lshlrev_b64 v[6:7], 3, v[6:7]
	v_add_co_u32 v94, vcc_lo, s12, v4
	v_add_co_ci_u32_e64 v95, null, s13, v5, vcc_lo
	v_add_co_u32 v96, vcc_lo, s14, v4
	v_lshlrev_b64 v[3:4], 3, v[2:3]
	v_mov_b32_e32 v2, 0
	v_mad_u64_u32 v[45:46], null, s10, v16, s[12:13]
	v_mul_lo_u32 v18, s10, v18
	v_mul_lo_u32 v21, s11, v16
	v_mad_u64_u32 v[47:48], null, s10, v19, s[12:13]
	v_mul_lo_u32 v20, s10, v20
	v_mul_lo_u32 v23, s11, v19
	;; [unrolled: 3-line block ×3, first 2 shown]
	v_mad_u64_u32 v[59:60], null, s10, v16, s[14:15]
	v_mad_u64_u32 v[61:62], null, s10, v19, s[14:15]
	;; [unrolled: 1-line block ×3, first 2 shown]
	v_add_co_ci_u32_e64 v97, null, s15, v5, vcc_lo
	v_add_co_u32 v98, vcc_lo, s12, v6
	v_add_co_ci_u32_e64 v99, null, s13, v7, vcc_lo
	v_add_co_u32 v100, vcc_lo, s14, v6
	v_add_nc_u32_e32 v5, s28, v0
	v_mov_b32_e32 v6, v2
	v_add_co_ci_u32_e64 v101, null, s15, v7, vcc_lo
	v_add_co_u32 v102, vcc_lo, s12, v3
	v_add_co_ci_u32_e64 v103, null, s13, v4, vcc_lo
	v_add_co_u32 v104, vcc_lo, s14, v3
	v_lshlrev_b64 v[67:68], 3, v[5:6]
	v_add3_u32 v46, v21, v46, v18
	v_add3_u32 v48, v23, v48, v20
	;; [unrolled: 1-line block ×8, first 2 shown]
	v_add_co_ci_u32_e64 v105, null, s15, v4, vcc_lo
	s_branch .LBB44_55
.LBB44_52:                              ;   in Loop: Header=BB44_55 Depth=1
	s_or_b32 exec_lo, exec_lo, s13
.LBB44_53:                              ;   in Loop: Header=BB44_55 Depth=1
	s_or_b32 exec_lo, exec_lo, s12
	v_add_co_u32 v7, vcc_lo, v76, v67
	v_add_co_ci_u32_e64 v8, null, v77, v68, vcc_lo
	v_add_co_u32 v9, vcc_lo, v53, v67
	v_add_co_ci_u32_e64 v10, null, v54, v68, vcc_lo
	global_load_dwordx2 v[7:8], v[7:8], off
	v_add_co_u32 v11, vcc_lo, v74, v67
	v_add_co_ci_u32_e64 v12, null, v75, v68, vcc_lo
	global_load_dwordx2 v[9:10], v[9:10], off
	global_load_dwordx2 v[11:12], v[11:12], off
	v_add_co_u32 v13, vcc_lo, v55, v67
	v_add_co_ci_u32_e64 v14, null, v56, v68, vcc_lo
	v_add_co_u32 v15, vcc_lo, v39, v67
	v_add_co_ci_u32_e64 v16, null, v40, v68, vcc_lo
	global_load_dwordx2 v[13:14], v[13:14], off
	global_load_dwordx2 v[15:16], v[15:16], off
	v_add_co_u32 v17, vcc_lo, v57, v67
	v_add_co_ci_u32_e64 v18, null, v58, v68, vcc_lo
	;; [unrolled: 6-line block ×5, first 2 shown]
	v_add_co_u32 v31, vcc_lo, v47, v67
	v_add_co_ci_u32_e64 v32, null, v48, v68, vcc_lo
	v_add_co_u32 v33, vcc_lo, v65, v67
	v_add_co_ci_u32_e64 v34, null, v66, v68, vcc_lo
	global_load_dwordx2 v[69:70], v[17:18], off
	global_load_dwordx2 v[31:32], v[31:32], off
	;; [unrolled: 1-line block ×3, first 2 shown]
	v_add_co_u32 v17, vcc_lo, v49, v67
	v_add_co_ci_u32_e64 v18, null, v50, v68, vcc_lo
	v_add_co_u32 v71, vcc_lo, v51, v67
	v_add_co_ci_u32_e64 v72, null, v52, v68, vcc_lo
	global_load_dwordx2 v[106:107], v[17:18], off
	global_load_dwordx2 v[17:18], v[71:72], off
	s_waitcnt vmcnt(17)
	ds_bpermute_b32 v71, v2, v5
	ds_bpermute_b32 v72, v2, v6
	ds_bpermute_b32 v108, v2, v5 offset:4
	ds_bpermute_b32 v109, v2, v6 offset:4
	;; [unrolled: 1-line block ×4, first 2 shown]
	s_waitcnt vmcnt(15) lgkmcnt(4)
	v_add_f64 v[7:8], v[7:8], -v[71:72]
	ds_bpermute_b32 v71, v2, v5 offset:8
	ds_bpermute_b32 v72, v2, v6 offset:8
	s_waitcnt vmcnt(14) lgkmcnt(4)
	v_add_f64 v[9:10], v[9:10], -v[108:109]
	ds_bpermute_b32 v108, v2, v3
	ds_bpermute_b32 v109, v2, v4
	s_waitcnt vmcnt(12) lgkmcnt(2)
	v_add_f64 v[13:14], v[13:14], -v[71:72]
	v_mul_f64 v[7:8], v[11:12], v[7:8]
	v_add_f64 v[11:12], v[37:38], v[11:12]
	ds_bpermute_b32 v37, v2, v5 offset:16
	ds_bpermute_b32 v38, v2, v6 offset:16
	s_waitcnt vmcnt(11)
	v_mul_f64 v[9:10], v[15:16], v[9:10]
	s_waitcnt vmcnt(10)
	v_add_f64 v[21:22], v[21:22], -v[110:111]
	s_waitcnt vmcnt(9)
	v_mul_f64 v[13:14], v[19:20], v[13:14]
	s_waitcnt lgkmcnt(2)
	v_fma_f64 v[7:8], v[7:8], v[108:109], v[35:36]
	ds_bpermute_b32 v35, v2, v3 offset:4
	ds_bpermute_b32 v36, v2, v4 offset:4
	v_add_f64 v[11:12], v[11:12], v[15:16]
	s_waitcnt vmcnt(8) lgkmcnt(2)
	v_add_f64 v[25:26], v[25:26], -v[37:38]
	ds_bpermute_b32 v15, v2, v5 offset:20
	s_waitcnt vmcnt(7)
	v_mul_f64 v[21:22], v[23:24], v[21:22]
	ds_bpermute_b32 v16, v2, v6 offset:20
	s_waitcnt lgkmcnt(2)
	v_fma_f64 v[7:8], v[9:10], v[35:36], v[7:8]
	ds_bpermute_b32 v9, v2, v3 offset:8
	ds_bpermute_b32 v10, v2, v4 offset:8
	v_add_f64 v[11:12], v[11:12], v[19:20]
	s_waitcnt vmcnt(5)
	v_mul_f64 v[25:26], v[27:28], v[25:26]
	s_waitcnt lgkmcnt(2)
	v_add_f64 v[15:16], v[29:30], -v[15:16]
	ds_bpermute_b32 v19, v2, v3 offset:16
	ds_bpermute_b32 v20, v2, v4 offset:16
	s_waitcnt lgkmcnt(2)
	v_fma_f64 v[7:8], v[13:14], v[9:10], v[7:8]
	ds_bpermute_b32 v9, v2, v3 offset:12
	ds_bpermute_b32 v10, v2, v4 offset:12
	v_add_f64 v[11:12], v[11:12], v[23:24]
	ds_bpermute_b32 v13, v2, v5 offset:24
	ds_bpermute_b32 v14, v2, v6 offset:24
	;; [unrolled: 1-line block ×4, first 2 shown]
	s_waitcnt vmcnt(3)
	v_mul_f64 v[15:16], v[31:32], v[15:16]
	s_waitcnt lgkmcnt(4)
	v_fma_f64 v[7:8], v[21:22], v[9:10], v[7:8]
	ds_bpermute_b32 v9, v2, v3 offset:20
	ds_bpermute_b32 v10, v2, v4 offset:20
	s_waitcnt lgkmcnt(4)
	v_add_f64 v[13:14], v[69:70], -v[13:14]
	v_add_f64 v[11:12], v[11:12], v[27:28]
	s_waitcnt vmcnt(2) lgkmcnt(2)
	v_add_f64 v[5:6], v[33:34], -v[5:6]
	v_fma_f64 v[7:8], v[25:26], v[19:20], v[7:8]
	ds_bpermute_b32 v19, v2, v3 offset:24
	ds_bpermute_b32 v20, v2, v4 offset:24
	s_waitcnt vmcnt(1)
	v_mul_f64 v[13:14], v[106:107], v[13:14]
	v_add_f64 v[11:12], v[11:12], v[31:32]
	s_waitcnt vmcnt(0)
	v_mul_f64 v[5:6], v[17:18], v[5:6]
	s_waitcnt lgkmcnt(2)
	v_fma_f64 v[7:8], v[15:16], v[9:10], v[7:8]
	ds_bpermute_b32 v9, v2, v3 offset:28
	ds_bpermute_b32 v10, v2, v4 offset:28
	v_add_f64 v[3:4], v[11:12], v[106:107]
	s_waitcnt lgkmcnt(0)
	v_mul_f64 v[5:6], v[5:6], v[9:10]
	v_fma_f64 v[7:8], v[13:14], v[19:20], v[7:8]
.LBB44_54:                              ;   in Loop: Header=BB44_55 Depth=1
	v_add_co_u32 v74, vcc_lo, v74, s20
	v_add_co_ci_u32_e64 v75, null, s21, v75, vcc_lo
	v_add_co_u32 v76, vcc_lo, v76, s20
	v_add_co_ci_u32_e64 v77, null, s21, v77, vcc_lo
	;; [unrolled: 2-line block ×21, first 2 shown]
	v_add_co_u32 v88, vcc_lo, v88, s20
	v_add_f64 v[35:36], v[7:8], v[5:6]
	v_add_f64 v[37:38], v[3:4], v[17:18]
	v_add_co_ci_u32_e64 v89, null, s21, v89, vcc_lo
	v_add_co_u32 v90, vcc_lo, v90, s20
	v_add_co_ci_u32_e64 v91, null, s21, v91, vcc_lo
	v_add_co_u32 v92, vcc_lo, v92, s20
	;; [unrolled: 2-line block ×5, first 2 shown]
	s_add_u32 s2, s2, s7
	v_add_co_ci_u32_e64 v99, null, s21, v99, vcc_lo
	v_add_co_u32 v100, vcc_lo, v100, s20
	s_addc_u32 s3, s3, 0
	v_add_co_ci_u32_e64 v101, null, s21, v101, vcc_lo
	v_add_co_u32 v102, vcc_lo, v102, s20
	v_cmp_ge_i64_e64 s12, s[2:3], s[8:9]
	v_add_co_ci_u32_e64 v103, null, s21, v103, vcc_lo
	v_add_co_u32 v104, vcc_lo, v104, s20
	v_add_co_ci_u32_e64 v105, null, s21, v105, vcc_lo
	s_add_u32 s22, s22, s7
	s_addc_u32 s23, s23, 0
	s_and_b32 vcc_lo, exec_lo, s12
	s_cbranch_vccnz .LBB44_81
.LBB44_55:                              ; =>This Inner Loop Header: Depth=1
	v_cmp_ge_i64_e64 s12, s[22:23], s[8:9]
	v_add_co_u32 v106, s13, v73, s22
	v_add_co_ci_u32_e64 v107, null, 0, s23, s13
                                        ; implicit-def: $vgpr17_vgpr18
                                        ; implicit-def: $vgpr5_vgpr6
                                        ; implicit-def: $vgpr3_vgpr4
                                        ; implicit-def: $vgpr7_vgpr8
	s_and_b32 vcc_lo, exec_lo, s12
	s_mov_b32 s12, -1
	s_cbranch_vccz .LBB44_77
; %bb.56:                               ;   in Loop: Header=BB44_55 Depth=1
	s_load_dword s12, s[0:1], 0xc
	v_mov_b32_e32 v69, 0
	v_mov_b32_e32 v71, 0
	;; [unrolled: 1-line block ×4, first 2 shown]
	s_waitcnt lgkmcnt(0)
	s_and_b32 s12, s12, 0xffff
	v_mad_u32_u24 v3, v1, s12, v0
	s_mov_b32 s12, exec_lo
	v_and_b32_e32 v3, 31, v3
	v_cmpx_gt_u32_e32 8, v3
	s_cbranch_execz .LBB44_60
; %bb.57:                               ;   in Loop: Header=BB44_55 Depth=1
	v_add_co_u32 v3, vcc_lo, v106, v3
	v_add_co_ci_u32_e64 v4, null, 0, v107, vcc_lo
	v_mov_b32_e32 v71, 0
	v_add_co_u32 v3, vcc_lo, 0xffffff81, v3
	v_mov_b32_e32 v69, 0
	v_add_co_ci_u32_e64 v4, null, -1, v4, vcc_lo
	v_mov_b32_e32 v72, 0
	v_mov_b32_e32 v70, 0
	s_mov_b32 s13, exec_lo
	v_cmpx_gt_i64_e64 s[8:9], v[3:4]
	s_cbranch_execz .LBB44_59
; %bb.58:                               ;   in Loop: Header=BB44_55 Depth=1
	v_lshlrev_b64 v[3:4], 3, v[3:4]
	v_add_co_u32 v5, vcc_lo, s16, v3
	v_add_co_ci_u32_e64 v6, null, s17, v4, vcc_lo
	v_add_co_u32 v3, vcc_lo, s18, v3
	v_add_co_ci_u32_e64 v4, null, s19, v4, vcc_lo
	global_load_dwordx2 v[71:72], v[5:6], off
	global_load_dwordx2 v[69:70], v[3:4], off
.LBB44_59:                              ;   in Loop: Header=BB44_55 Depth=1
	s_or_b32 exec_lo, exec_lo, s13
.LBB44_60:                              ;   in Loop: Header=BB44_55 Depth=1
	s_or_b32 exec_lo, exec_lo, s12
	v_add_co_u32 v18, vcc_lo, 0xffffff81, v106
	v_add_co_ci_u32_e64 v19, null, -1, v107, vcc_lo
	v_mov_b32_e32 v17, v2
	v_mov_b32_e32 v3, v2
	;; [unrolled: 1-line block ×15, first 2 shown]
	v_cmp_gt_i64_e32 vcc_lo, s[8:9], v[18:19]
	v_mov_b32_e32 v34, v17
	v_mov_b32_e32 v31, v14
	;; [unrolled: 1-line block ×32, first 2 shown]
	s_and_saveexec_b32 s12, vcc_lo
	s_cbranch_execz .LBB44_62
; %bb.61:                               ;   in Loop: Header=BB44_55 Depth=1
	v_add_co_u32 v3, vcc_lo, v74, v67
	v_add_co_ci_u32_e64 v4, null, v75, v68, vcc_lo
	v_add_co_u32 v5, vcc_lo, v76, v67
	v_add_co_ci_u32_e64 v6, null, v77, v68, vcc_lo
	global_load_dwordx2 v[3:4], v[3:4], off
	global_load_dwordx2 v[19:20], v[5:6], off
	v_mov_b32_e32 v5, v2
	v_mov_b32_e32 v6, v2
	v_mov_b32_e32 v7, v2
	v_mov_b32_e32 v8, v2
	v_mov_b32_e32 v9, v2
	v_mov_b32_e32 v10, v2
	v_mov_b32_e32 v11, v2
	v_mov_b32_e32 v12, v2
	v_mov_b32_e32 v13, v2
	v_mov_b32_e32 v14, v2
	v_mov_b32_e32 v15, v2
	v_mov_b32_e32 v16, v2
	v_mov_b32_e32 v17, v2
	v_mov_b32_e32 v18, v2
	v_mov_b32_e32 v21, v2
	v_mov_b32_e32 v22, v2
	v_mov_b32_e32 v23, v2
	v_mov_b32_e32 v24, v2
	v_mov_b32_e32 v25, v2
	v_mov_b32_e32 v26, v2
	v_mov_b32_e32 v27, v2
	v_mov_b32_e32 v28, v2
	v_mov_b32_e32 v29, v2
	v_mov_b32_e32 v30, v2
	v_mov_b32_e32 v31, v2
	v_mov_b32_e32 v32, v2
	v_mov_b32_e32 v33, v2
	v_mov_b32_e32 v34, v2
.LBB44_62:                              ;   in Loop: Header=BB44_55 Depth=1
	s_or_b32 exec_lo, exec_lo, s12
	v_add_co_u32 v108, vcc_lo, 0xffffff82, v106
	v_add_co_ci_u32_e64 v109, null, -1, v107, vcc_lo
	s_mov_b32 s12, exec_lo
	v_cmpx_gt_i64_e64 s[8:9], v[108:109]
	s_cbranch_execz .LBB44_64
; %bb.63:                               ;   in Loop: Header=BB44_55 Depth=1
	v_add_co_u32 v5, vcc_lo, v102, v67
	v_add_co_ci_u32_e64 v6, null, v103, v68, vcc_lo
	v_add_co_u32 v21, vcc_lo, v104, v67
	v_add_co_ci_u32_e64 v22, null, v105, v68, vcc_lo
	global_load_dwordx2 v[5:6], v[5:6], off
	global_load_dwordx2 v[21:22], v[21:22], off
.LBB44_64:                              ;   in Loop: Header=BB44_55 Depth=1
	s_or_b32 exec_lo, exec_lo, s12
	v_add_co_u32 v108, vcc_lo, 0xffffff83, v106
	v_add_co_ci_u32_e64 v109, null, -1, v107, vcc_lo
	s_mov_b32 s12, exec_lo
	v_cmpx_gt_i64_e64 s[8:9], v[108:109]
	s_cbranch_execz .LBB44_66
; %bb.65:                               ;   in Loop: Header=BB44_55 Depth=1
	v_add_co_u32 v7, vcc_lo, v98, v67
	v_add_co_ci_u32_e64 v8, null, v99, v68, vcc_lo
	v_add_co_u32 v23, vcc_lo, v100, v67
	v_add_co_ci_u32_e64 v24, null, v101, v68, vcc_lo
	global_load_dwordx2 v[7:8], v[7:8], off
	global_load_dwordx2 v[23:24], v[23:24], off
.LBB44_66:                              ;   in Loop: Header=BB44_55 Depth=1
	;; [unrolled: 14-line block ×7, first 2 shown]
	s_or_b32 exec_lo, exec_lo, s12
	s_waitcnt vmcnt(1)
	ds_bpermute_b32 v108, v2, v71
	ds_bpermute_b32 v109, v2, v72
	ds_bpermute_b32 v110, v2, v71 offset:4
	ds_bpermute_b32 v111, v2, v72 offset:4
	;; [unrolled: 1-line block ×4, first 2 shown]
	s_mov_b32 s12, 0
	s_waitcnt vmcnt(0) lgkmcnt(4)
	v_add_f64 v[19:20], v[19:20], -v[108:109]
	ds_bpermute_b32 v108, v2, v71 offset:8
	s_waitcnt lgkmcnt(3)
	v_add_f64 v[21:22], v[21:22], -v[110:111]
	ds_bpermute_b32 v109, v2, v72 offset:8
	ds_bpermute_b32 v110, v2, v69
	ds_bpermute_b32 v111, v2, v70
	s_waitcnt lgkmcnt(4)
	v_add_f64 v[25:26], v[25:26], -v[112:113]
	v_mul_f64 v[19:20], v[3:4], v[19:20]
	v_add_f64 v[3:4], v[37:38], v[3:4]
	s_waitcnt lgkmcnt(2)
	v_add_f64 v[23:24], v[23:24], -v[108:109]
	v_mul_f64 v[21:22], v[5:6], v[21:22]
	ds_bpermute_b32 v108, v2, v69 offset:4
	ds_bpermute_b32 v109, v2, v70 offset:4
	v_mul_f64 v[25:26], v[9:10], v[25:26]
	s_waitcnt lgkmcnt(2)
	v_fma_f64 v[19:20], v[19:20], v[110:111], v[35:36]
	v_add_f64 v[3:4], v[5:6], v[3:4]
	v_mul_f64 v[5:6], v[7:8], v[23:24]
	ds_bpermute_b32 v110, v2, v71 offset:16
	ds_bpermute_b32 v111, v2, v72 offset:16
	;; [unrolled: 1-line block ×4, first 2 shown]
	s_waitcnt lgkmcnt(4)
	v_fma_f64 v[19:20], v[21:22], v[108:109], v[19:20]
	ds_bpermute_b32 v21, v2, v69 offset:8
	ds_bpermute_b32 v22, v2, v70 offset:8
	s_waitcnt lgkmcnt(4)
	v_add_f64 v[27:28], v[27:28], -v[110:111]
	v_add_f64 v[3:4], v[7:8], v[3:4]
	ds_bpermute_b32 v7, v2, v69 offset:12
	ds_bpermute_b32 v8, v2, v70 offset:12
	s_waitcnt lgkmcnt(4)
	v_add_f64 v[23:24], v[29:30], -v[23:24]
	s_waitcnt lgkmcnt(2)
	v_fma_f64 v[5:6], v[5:6], v[21:22], v[19:20]
	ds_bpermute_b32 v19, v2, v69 offset:16
	ds_bpermute_b32 v21, v2, v71 offset:24
	v_mul_f64 v[27:28], v[11:12], v[27:28]
	v_add_f64 v[3:4], v[9:10], v[3:4]
	ds_bpermute_b32 v22, v2, v72 offset:24
	ds_bpermute_b32 v20, v2, v70 offset:16
	v_mul_f64 v[23:24], v[13:14], v[23:24]
	ds_bpermute_b32 v9, v2, v69 offset:20
	ds_bpermute_b32 v10, v2, v70 offset:20
	s_waitcnt lgkmcnt(6)
	v_fma_f64 v[5:6], v[25:26], v[7:8], v[5:6]
	ds_bpermute_b32 v7, v2, v71 offset:28
	ds_bpermute_b32 v8, v2, v72 offset:28
	s_waitcnt lgkmcnt(5)
	v_add_f64 v[21:22], v[31:32], -v[21:22]
	v_add_f64 v[3:4], v[11:12], v[3:4]
	ds_bpermute_b32 v11, v2, v69 offset:24
	ds_bpermute_b32 v12, v2, v70 offset:24
	s_waitcnt lgkmcnt(2)
	v_add_f64 v[7:8], v[33:34], -v[7:8]
	v_fma_f64 v[5:6], v[27:28], v[19:20], v[5:6]
	v_mul_f64 v[19:20], v[15:16], v[21:22]
	v_add_f64 v[3:4], v[13:14], v[3:4]
	ds_bpermute_b32 v13, v2, v69 offset:28
	ds_bpermute_b32 v14, v2, v70 offset:28
	v_fma_f64 v[5:6], v[23:24], v[9:10], v[5:6]
	v_mul_f64 v[9:10], v[17:18], v[7:8]
	v_add_f64 v[3:4], v[15:16], v[3:4]
	s_waitcnt lgkmcnt(2)
	v_fma_f64 v[7:8], v[19:20], v[11:12], v[5:6]
	s_waitcnt lgkmcnt(0)
	v_mul_f64 v[5:6], v[9:10], v[13:14]
.LBB44_77:                              ;   in Loop: Header=BB44_55 Depth=1
	s_and_b32 vcc_lo, exec_lo, s12
	s_cbranch_vccz .LBB44_54
; %bb.78:                               ;   in Loop: Header=BB44_55 Depth=1
	s_load_dword s12, s[0:1], 0x0
	v_mov_b32_e32 v5, 0
	v_mov_b32_e32 v6, 0
	s_waitcnt lgkmcnt(0)
	s_cmp_lt_u32 s6, s12
	s_cselect_b32 s12, 12, 18
	s_add_u32 s12, s0, s12
	s_addc_u32 s13, s1, 0
	global_load_ushort v3, v2, s[12:13]
	s_mov_b32 s12, exec_lo
	s_waitcnt vmcnt(0)
	v_mad_u32_u24 v3, v1, v3, v0
	v_and_b32_e32 v7, 31, v3
	v_mov_b32_e32 v3, 0
	v_mov_b32_e32 v4, 0
	v_cmpx_gt_u32_e32 8, v7
	s_cbranch_execz .LBB44_53
; %bb.79:                               ;   in Loop: Header=BB44_55 Depth=1
	v_add_co_u32 v3, vcc_lo, v106, v7
	v_add_co_ci_u32_e64 v4, null, 0, v107, vcc_lo
	v_mov_b32_e32 v5, 0
	v_add_co_u32 v7, vcc_lo, 0xffffff81, v3
	v_add_co_ci_u32_e64 v8, null, -1, v4, vcc_lo
	v_mov_b32_e32 v3, 0
	v_mov_b32_e32 v6, 0
	;; [unrolled: 1-line block ×3, first 2 shown]
	s_mov_b32 s13, exec_lo
	v_cmpx_gt_i64_e64 s[8:9], v[7:8]
	s_cbranch_execz .LBB44_52
; %bb.80:                               ;   in Loop: Header=BB44_55 Depth=1
	v_lshlrev_b64 v[3:4], 3, v[7:8]
	v_add_co_u32 v5, vcc_lo, s16, v3
	v_add_co_ci_u32_e64 v6, null, s17, v4, vcc_lo
	v_add_co_u32 v3, vcc_lo, s18, v3
	v_add_co_ci_u32_e64 v4, null, s19, v4, vcc_lo
	global_load_dwordx2 v[5:6], v[5:6], off
	global_load_dwordx2 v[3:4], v[3:4], off
	s_branch .LBB44_52
.LBB44_81:
	v_mad_u32_u24 v2, v1, 33, v0
	v_lshrrev_b32_e32 v3, 5, v0
	s_mov_b32 s0, exec_lo
	v_lshl_add_u32 v2, v2, 3, 0
	v_add_nc_u32_e32 v8, v3, v1
	ds_write_b64 v2, v[35:36]
	ds_write_b64 v2, v[37:38] offset:4224
	s_waitcnt lgkmcnt(0)
	s_barrier
	buffer_gl0_inv
	v_cmpx_gt_u32_e32 32, v8
	s_cbranch_execz .LBB44_97
; %bb.82:
	s_load_dwordx4 s[12:15], s[4:5], 0x30
	v_and_b32_e32 v1, 31, v0
                                        ; implicit-def: $vgpr3_vgpr4
	v_cmp_gt_u32_e64 s0, 16, v1
	v_mul_u32_u24_e32 v7, 33, v1
                                        ; implicit-def: $vgpr1_vgpr2
	s_and_saveexec_b32 s1, s0
	s_cbranch_execz .LBB44_84
; %bb.83:
	v_add_nc_u32_e32 v1, v8, v7
	v_lshl_add_u32 v1, v1, 3, 0
	ds_read_b64 v[3:4], v1
	ds_read_b64 v[1:2], v1 offset:4224
.LBB44_84:
	s_or_b32 exec_lo, exec_lo, s1
	v_mbcnt_lo_u32_b32 v14, -1, 0
	s_mov_b32 s7, 0
	v_cmp_eq_u32_e64 s1, 0, v0
	s_lshl_b64 s[2:3], s[6:7], 5
	s_waitcnt lgkmcnt(0)
	s_cmp_lg_u64 s[12:13], 0
	v_xor_b32_e32 v5, 8, v14
	s_cselect_b32 s5, -1, 0
	s_cmp_lg_u64 s[14:15], 0
	s_cselect_b32 s4, -1, 0
	v_cmp_gt_i32_e32 vcc_lo, 32, v5
	v_cndmask_b32_e32 v5, v14, v5, vcc_lo
	v_lshlrev_b32_e32 v9, 2, v5
	ds_bpermute_b32 v5, v9, v3
	ds_bpermute_b32 v6, v9, v4
	;; [unrolled: 1-line block ×4, first 2 shown]
	s_waitcnt lgkmcnt(2)
	v_add_f64 v[3:4], v[3:4], v[5:6]
	v_xor_b32_e32 v5, 4, v14
	s_waitcnt lgkmcnt(0)
	v_add_f64 v[1:2], v[1:2], v[10:11]
	v_cmp_gt_i32_e32 vcc_lo, 32, v5
	v_cndmask_b32_e32 v5, v14, v5, vcc_lo
	v_lshlrev_b32_e32 v10, 2, v5
	ds_bpermute_b32 v5, v10, v3
	ds_bpermute_b32 v6, v10, v4
	;; [unrolled: 1-line block ×4, first 2 shown]
	s_waitcnt lgkmcnt(2)
	v_add_f64 v[3:4], v[3:4], v[5:6]
	v_xor_b32_e32 v5, 2, v14
	s_waitcnt lgkmcnt(0)
	v_add_f64 v[1:2], v[1:2], v[11:12]
	v_cmp_gt_i32_e32 vcc_lo, 32, v5
	v_cndmask_b32_e32 v5, v14, v5, vcc_lo
	v_lshlrev_b32_e32 v11, 2, v5
	ds_bpermute_b32 v5, v11, v3
	ds_bpermute_b32 v6, v11, v4
	;; [unrolled: 1-line block ×4, first 2 shown]
	s_waitcnt lgkmcnt(2)
	v_add_f64 v[3:4], v[3:4], v[5:6]
	s_waitcnt lgkmcnt(0)
	v_add_f64 v[5:6], v[1:2], v[12:13]
	v_xor_b32_e32 v1, 1, v14
	v_cmp_gt_i32_e32 vcc_lo, 32, v1
	v_cndmask_b32_e32 v1, v14, v1, vcc_lo
	v_lshlrev_b32_e32 v12, 2, v1
	ds_bpermute_b32 v1, v12, v3
	ds_bpermute_b32 v2, v12, v4
	;; [unrolled: 1-line block ×4, first 2 shown]
	s_waitcnt lgkmcnt(2)
	v_add_f64 v[1:2], v[3:4], v[1:2]
	s_waitcnt lgkmcnt(0)
	v_add_f64 v[3:4], v[5:6], v[13:14]
	v_or_b32_e32 v5, s2, v8
	v_mov_b32_e32 v6, s3
	v_cmp_gt_i64_e32 vcc_lo, s[10:11], v[5:6]
	s_and_b32 s7, s1, vcc_lo
	s_and_saveexec_b32 s6, s7
	s_cbranch_execz .LBB44_89
; %bb.85:
	v_lshlrev_b64 v[5:6], 3, v[5:6]
	s_andn2_b32 vcc_lo, exec_lo, s5
	s_cbranch_vccnz .LBB44_87
; %bb.86:
	v_add_co_u32 v13, vcc_lo, s12, v5
	v_add_co_ci_u32_e64 v14, null, s13, v6, vcc_lo
	global_store_dwordx2 v[13:14], v[1:2], off
.LBB44_87:
	s_andn2_b32 vcc_lo, exec_lo, s4
	s_cbranch_vccnz .LBB44_89
; %bb.88:
	v_add_co_u32 v5, vcc_lo, s14, v5
	v_add_co_ci_u32_e64 v6, null, s15, v6, vcc_lo
	global_store_dwordx2 v[5:6], v[3:4], off
.LBB44_89:
	s_or_b32 exec_lo, exec_lo, s6
	v_cmp_gt_u32_e32 vcc_lo, 16, v8
	s_and_b32 exec_lo, exec_lo, vcc_lo
	s_cbranch_execz .LBB44_97
; %bb.90:
	s_and_saveexec_b32 s6, s0
	s_cbranch_execz .LBB44_92
; %bb.91:
	v_add_nc_u32_e32 v0, v8, v7
	v_lshl_add_u32 v0, v0, 3, 0
	ds_read_b64 v[1:2], v0 offset:128
	ds_read_b64 v[3:4], v0 offset:4352
.LBB44_92:
	s_or_b32 exec_lo, exec_lo, s6
	s_waitcnt lgkmcnt(1)
	ds_bpermute_b32 v5, v9, v1
	ds_bpermute_b32 v6, v9, v2
	s_waitcnt lgkmcnt(2)
	ds_bpermute_b32 v13, v9, v3
	ds_bpermute_b32 v14, v9, v4
	v_add_nc_u32_e32 v9, 16, v8
	v_or_b32_e32 v9, s2, v9
	s_waitcnt lgkmcnt(2)
	v_add_f64 v[0:1], v[1:2], v[5:6]
	s_waitcnt lgkmcnt(0)
	v_add_f64 v[2:3], v[3:4], v[13:14]
	ds_bpermute_b32 v4, v10, v0
	ds_bpermute_b32 v5, v10, v1
	;; [unrolled: 1-line block ×4, first 2 shown]
	v_mov_b32_e32 v10, s3
	v_cmp_gt_i64_e32 vcc_lo, s[10:11], v[9:10]
	s_and_b32 s0, s1, vcc_lo
	s_waitcnt lgkmcnt(2)
	v_add_f64 v[0:1], v[0:1], v[4:5]
	s_waitcnt lgkmcnt(0)
	v_add_f64 v[2:3], v[2:3], v[6:7]
	ds_bpermute_b32 v4, v11, v0
	ds_bpermute_b32 v5, v11, v1
	;; [unrolled: 1-line block ×4, first 2 shown]
	s_waitcnt lgkmcnt(2)
	v_add_f64 v[4:5], v[0:1], v[4:5]
	s_waitcnt lgkmcnt(0)
	v_add_f64 v[0:1], v[2:3], v[6:7]
	ds_bpermute_b32 v6, v12, v4
	ds_bpermute_b32 v7, v12, v5
	;; [unrolled: 1-line block ×4, first 2 shown]
	s_and_b32 exec_lo, exec_lo, s0
	s_cbranch_execz .LBB44_97
; %bb.93:
	s_andn2_b32 vcc_lo, exec_lo, s5
	s_cbranch_vccnz .LBB44_95
; %bb.94:
	s_waitcnt lgkmcnt(2)
	v_add_f64 v[4:5], v[4:5], v[6:7]
	v_add_co_u32 v6, s0, s2, v8
	v_add_co_ci_u32_e64 v7, null, s3, 0, s0
	v_lshlrev_b64 v[6:7], 3, v[6:7]
	v_add_co_u32 v6, vcc_lo, s12, v6
	v_add_co_ci_u32_e64 v7, null, s13, v7, vcc_lo
	global_store_dwordx2 v[6:7], v[4:5], off offset:128
.LBB44_95:
	s_andn2_b32 vcc_lo, exec_lo, s4
	s_cbranch_vccnz .LBB44_97
; %bb.96:
	s_waitcnt lgkmcnt(0)
	v_add_f64 v[0:1], v[0:1], v[2:3]
	v_add_co_u32 v2, s0, s2, v8
	v_add_co_ci_u32_e64 v3, null, s3, 0, s0
	v_lshlrev_b64 v[2:3], 3, v[2:3]
	v_add_co_u32 v2, vcc_lo, s14, v2
	v_add_co_ci_u32_e64 v3, null, s15, v3, vcc_lo
	global_store_dwordx2 v[2:3], v[0:1], off offset:128
.LBB44_97:
	s_endpgm
	.section	.rodata,"a",@progbits
	.p2align	6, 0x0
	.amdhsa_kernel _ZN2at6native12_GLOBAL__N_135GammaBetaBackwardCUDAKernelTemplateIddLj32ELj16ELj128ELb0ELb0ELb0EEEvllPKT_S5_PKT0_S8_PS3_S9_
		.amdhsa_group_segment_fixed_size 0
		.amdhsa_private_segment_fixed_size 0
		.amdhsa_kernarg_size 320
		.amdhsa_user_sgpr_count 6
		.amdhsa_user_sgpr_private_segment_buffer 1
		.amdhsa_user_sgpr_dispatch_ptr 0
		.amdhsa_user_sgpr_queue_ptr 0
		.amdhsa_user_sgpr_kernarg_segment_ptr 1
		.amdhsa_user_sgpr_dispatch_id 0
		.amdhsa_user_sgpr_flat_scratch_init 0
		.amdhsa_user_sgpr_private_segment_size 0
		.amdhsa_wavefront_size32 1
		.amdhsa_uses_dynamic_stack 0
		.amdhsa_system_sgpr_private_segment_wavefront_offset 0
		.amdhsa_system_sgpr_workgroup_id_x 1
		.amdhsa_system_sgpr_workgroup_id_y 1
		.amdhsa_system_sgpr_workgroup_id_z 0
		.amdhsa_system_sgpr_workgroup_info 0
		.amdhsa_system_vgpr_workitem_id 1
		.amdhsa_next_free_vgpr 114
		.amdhsa_next_free_sgpr 32
		.amdhsa_reserve_vcc 1
		.amdhsa_reserve_flat_scratch 0
		.amdhsa_float_round_mode_32 0
		.amdhsa_float_round_mode_16_64 0
		.amdhsa_float_denorm_mode_32 3
		.amdhsa_float_denorm_mode_16_64 3
		.amdhsa_dx10_clamp 1
		.amdhsa_ieee_mode 1
		.amdhsa_fp16_overflow 0
		.amdhsa_workgroup_processor_mode 1
		.amdhsa_memory_ordered 1
		.amdhsa_forward_progress 1
		.amdhsa_shared_vgpr_count 0
		.amdhsa_exception_fp_ieee_invalid_op 0
		.amdhsa_exception_fp_denorm_src 0
		.amdhsa_exception_fp_ieee_div_zero 0
		.amdhsa_exception_fp_ieee_overflow 0
		.amdhsa_exception_fp_ieee_underflow 0
		.amdhsa_exception_fp_ieee_inexact 0
		.amdhsa_exception_int_div_zero 0
	.end_amdhsa_kernel
	.section	.text._ZN2at6native12_GLOBAL__N_135GammaBetaBackwardCUDAKernelTemplateIddLj32ELj16ELj128ELb0ELb0ELb0EEEvllPKT_S5_PKT0_S8_PS3_S9_,"axG",@progbits,_ZN2at6native12_GLOBAL__N_135GammaBetaBackwardCUDAKernelTemplateIddLj32ELj16ELj128ELb0ELb0ELb0EEEvllPKT_S5_PKT0_S8_PS3_S9_,comdat
.Lfunc_end44:
	.size	_ZN2at6native12_GLOBAL__N_135GammaBetaBackwardCUDAKernelTemplateIddLj32ELj16ELj128ELb0ELb0ELb0EEEvllPKT_S5_PKT0_S8_PS3_S9_, .Lfunc_end44-_ZN2at6native12_GLOBAL__N_135GammaBetaBackwardCUDAKernelTemplateIddLj32ELj16ELj128ELb0ELb0ELb0EEEvllPKT_S5_PKT0_S8_PS3_S9_
                                        ; -- End function
	.set _ZN2at6native12_GLOBAL__N_135GammaBetaBackwardCUDAKernelTemplateIddLj32ELj16ELj128ELb0ELb0ELb0EEEvllPKT_S5_PKT0_S8_PS3_S9_.num_vgpr, 114
	.set _ZN2at6native12_GLOBAL__N_135GammaBetaBackwardCUDAKernelTemplateIddLj32ELj16ELj128ELb0ELb0ELb0EEEvllPKT_S5_PKT0_S8_PS3_S9_.num_agpr, 0
	.set _ZN2at6native12_GLOBAL__N_135GammaBetaBackwardCUDAKernelTemplateIddLj32ELj16ELj128ELb0ELb0ELb0EEEvllPKT_S5_PKT0_S8_PS3_S9_.numbered_sgpr, 32
	.set _ZN2at6native12_GLOBAL__N_135GammaBetaBackwardCUDAKernelTemplateIddLj32ELj16ELj128ELb0ELb0ELb0EEEvllPKT_S5_PKT0_S8_PS3_S9_.num_named_barrier, 0
	.set _ZN2at6native12_GLOBAL__N_135GammaBetaBackwardCUDAKernelTemplateIddLj32ELj16ELj128ELb0ELb0ELb0EEEvllPKT_S5_PKT0_S8_PS3_S9_.private_seg_size, 0
	.set _ZN2at6native12_GLOBAL__N_135GammaBetaBackwardCUDAKernelTemplateIddLj32ELj16ELj128ELb0ELb0ELb0EEEvllPKT_S5_PKT0_S8_PS3_S9_.uses_vcc, 1
	.set _ZN2at6native12_GLOBAL__N_135GammaBetaBackwardCUDAKernelTemplateIddLj32ELj16ELj128ELb0ELb0ELb0EEEvllPKT_S5_PKT0_S8_PS3_S9_.uses_flat_scratch, 0
	.set _ZN2at6native12_GLOBAL__N_135GammaBetaBackwardCUDAKernelTemplateIddLj32ELj16ELj128ELb0ELb0ELb0EEEvllPKT_S5_PKT0_S8_PS3_S9_.has_dyn_sized_stack, 0
	.set _ZN2at6native12_GLOBAL__N_135GammaBetaBackwardCUDAKernelTemplateIddLj32ELj16ELj128ELb0ELb0ELb0EEEvllPKT_S5_PKT0_S8_PS3_S9_.has_recursion, 0
	.set _ZN2at6native12_GLOBAL__N_135GammaBetaBackwardCUDAKernelTemplateIddLj32ELj16ELj128ELb0ELb0ELb0EEEvllPKT_S5_PKT0_S8_PS3_S9_.has_indirect_call, 0
	.section	.AMDGPU.csdata,"",@progbits
; Kernel info:
; codeLenInByte = 10396
; TotalNumSgprs: 34
; NumVgprs: 114
; ScratchSize: 0
; MemoryBound: 1
; FloatMode: 240
; IeeeMode: 1
; LDSByteSize: 0 bytes/workgroup (compile time only)
; SGPRBlocks: 0
; VGPRBlocks: 14
; NumSGPRsForWavesPerEU: 34
; NumVGPRsForWavesPerEU: 114
; Occupancy: 8
; WaveLimiterHint : 0
; COMPUTE_PGM_RSRC2:SCRATCH_EN: 0
; COMPUTE_PGM_RSRC2:USER_SGPR: 6
; COMPUTE_PGM_RSRC2:TRAP_HANDLER: 0
; COMPUTE_PGM_RSRC2:TGID_X_EN: 1
; COMPUTE_PGM_RSRC2:TGID_Y_EN: 1
; COMPUTE_PGM_RSRC2:TGID_Z_EN: 0
; COMPUTE_PGM_RSRC2:TIDIG_COMP_CNT: 1
	.section	.text._ZN2at6native12_GLOBAL__N_135GammaBetaBackwardCUDAKernelTemplateIddLj32ELj32ELj256ELb0ELb1ELb0EEEvllPKT_S5_PKT0_S8_PS3_S9_,"axG",@progbits,_ZN2at6native12_GLOBAL__N_135GammaBetaBackwardCUDAKernelTemplateIddLj32ELj32ELj256ELb0ELb1ELb0EEEvllPKT_S5_PKT0_S8_PS3_S9_,comdat
	.globl	_ZN2at6native12_GLOBAL__N_135GammaBetaBackwardCUDAKernelTemplateIddLj32ELj32ELj256ELb0ELb1ELb0EEEvllPKT_S5_PKT0_S8_PS3_S9_ ; -- Begin function _ZN2at6native12_GLOBAL__N_135GammaBetaBackwardCUDAKernelTemplateIddLj32ELj32ELj256ELb0ELb1ELb0EEEvllPKT_S5_PKT0_S8_PS3_S9_
	.p2align	8
	.type	_ZN2at6native12_GLOBAL__N_135GammaBetaBackwardCUDAKernelTemplateIddLj32ELj32ELj256ELb0ELb1ELb0EEEvllPKT_S5_PKT0_S8_PS3_S9_,@function
_ZN2at6native12_GLOBAL__N_135GammaBetaBackwardCUDAKernelTemplateIddLj32ELj32ELj256ELb0ELb1ELb0EEEvllPKT_S5_PKT0_S8_PS3_S9_: ; @_ZN2at6native12_GLOBAL__N_135GammaBetaBackwardCUDAKernelTemplateIddLj32ELj32ELj256ELb0ELb1ELb0EEEvllPKT_S5_PKT0_S8_PS3_S9_
; %bb.0:
	s_load_dwordx4 s[20:23], s[4:5], 0x0
	s_lshl_b32 s2, s7, 8
	s_mov_b32 s3, 0
	s_waitcnt lgkmcnt(0)
	v_cmp_gt_i64_e64 s0, s[20:21], s[2:3]
	s_and_b32 vcc_lo, exec_lo, s0
	s_cbranch_vccnz .LBB45_2
; %bb.1:
	s_mov_b32 s0, s3
	s_branch .LBB45_3
.LBB45_2:
	s_mov_b32 s0, -1
.LBB45_3:
	s_load_dwordx4 s[16:19], s[4:5], 0x30
	v_mov_b32_e32 v8, 0
	v_mov_b32_e32 v12, 0
	;; [unrolled: 1-line block ×4, first 2 shown]
	s_andn2_b32 vcc_lo, exec_lo, s0
	s_cbranch_vccnz .LBB45_10
; %bb.4:
	s_clause 0x2
	s_load_dword s0, s[4:5], 0x4c
	s_load_dword s1, s[4:5], 0x44
	s_load_dwordx8 s[8:15], s[4:5], 0x10
	v_lshlrev_b32_e32 v4, 3, v1
	v_mov_b32_e32 v3, 0
	v_lshl_add_u32 v2, s6, 5, v0
	v_mov_b32_e32 v16, 4
	v_mov_b32_e32 v17, 8
	v_add_co_u32 v4, s4, v4, s2
	v_add_co_ci_u32_e64 v5, null, 0, 0, s4
	v_mov_b32_e32 v18, 12
	v_mul_lo_u32 v10, s23, v4
	v_mad_u64_u32 v[6:7], null, s22, v4, 0
	v_mul_lo_u32 v11, s22, v5
	v_mov_b32_e32 v19, 16
	v_mov_b32_e32 v20, 20
	;; [unrolled: 1-line block ×3, first 2 shown]
	s_waitcnt lgkmcnt(0)
	s_and_b32 s0, s0, 0xffff
	s_lshl_b32 s4, s1, 8
	v_mad_u32_u24 v8, v1, s0, v0
	s_mul_i32 s1, s23, s4
	v_add3_u32 v7, v7, v11, v10
	s_mul_hi_u32 s7, s22, s4
	v_mov_b32_e32 v22, 28
	v_and_b32_e32 v12, 31, v8
	v_lshlrev_b64 v[8:9], 3, v[2:3]
	v_lshlrev_b64 v[10:11], 3, v[6:7]
	s_mov_b32 s5, 0
	s_add_i32 s27, s7, s1
	v_add_co_u32 v4, vcc_lo, v4, v12
	v_add_co_ci_u32_e64 v5, null, 0, v5, vcc_lo
	v_add_co_u32 v2, vcc_lo, v10, v8
	v_cmp_gt_u32_e64 s0, 8, v12
	v_lshlrev_b64 v[6:7], 3, v[4:5]
	v_add_co_ci_u32_e64 v23, null, v11, v9, vcc_lo
	v_mov_b32_e32 v12, 0
	v_mov_b32_e32 v8, 0
	;; [unrolled: 1-line block ×4, first 2 shown]
	s_mul_i32 s26, s22, s4
	s_lshl_b64 s[24:25], s[4:5], 3
	s_lshl_b64 s[26:27], s[26:27], 3
	;; [unrolled: 1-line block ×3, first 2 shown]
	s_branch .LBB45_7
.LBB45_5:                               ;   in Loop: Header=BB45_7 Depth=1
	s_or_b32 exec_lo, exec_lo, s5
.LBB45_6:                               ;   in Loop: Header=BB45_7 Depth=1
	s_or_b32 exec_lo, exec_lo, s1
	v_add_co_u32 v24, vcc_lo, s10, v2
	v_add_co_ci_u32_e64 v25, null, s11, v23, vcc_lo
	v_add_co_u32 v28, vcc_lo, s8, v2
	v_add_co_ci_u32_e64 v29, null, s9, v23, vcc_lo
	global_load_dwordx2 v[26:27], v[24:25], off
	v_add_co_u32 v24, vcc_lo, v24, s22
	v_add_co_ci_u32_e64 v25, null, s23, v25, vcc_lo
	global_load_dwordx2 v[30:31], v[28:29], off
	global_load_dwordx2 v[32:33], v[24:25], off
	v_add_co_u32 v24, vcc_lo, v24, s22
	v_add_co_ci_u32_e64 v25, null, s23, v25, vcc_lo
	v_add_co_u32 v28, vcc_lo, v28, s22
	v_add_co_ci_u32_e64 v29, null, s23, v29, vcc_lo
	global_load_dwordx2 v[34:35], v[24:25], off
	global_load_dwordx2 v[36:37], v[28:29], off
	v_add_co_u32 v24, vcc_lo, v24, s22
	v_add_co_ci_u32_e64 v25, null, s23, v25, vcc_lo
	;; [unrolled: 6-line block ×7, first 2 shown]
	s_waitcnt vmcnt(16)
	ds_bpermute_b32 v56, v3, v14
	ds_bpermute_b32 v57, v3, v15
	s_waitcnt vmcnt(15)
	ds_bpermute_b32 v58, v3, v10
	global_load_dwordx2 v[28:29], v[28:29], off
	ds_bpermute_b32 v59, v3, v11
	s_add_u32 s2, s2, s4
	v_add_co_u32 v6, vcc_lo, v6, s24
	s_addc_u32 s3, s3, 0
	v_add_co_ci_u32_e64 v7, null, s25, v7, vcc_lo
	v_add_co_u32 v4, vcc_lo, v4, s4
	v_cmp_lt_i64_e64 s1, s[2:3], s[20:21]
	v_add_co_ci_u32_e64 v5, null, 0, v5, vcc_lo
	v_add_co_u32 v2, vcc_lo, v2, s26
	v_add_co_ci_u32_e64 v23, null, s27, v23, vcc_lo
	s_and_b32 vcc_lo, exec_lo, s1
	s_waitcnt vmcnt(15) lgkmcnt(2)
	v_add_f64 v[26:27], v[26:27], -v[56:57]
	ds_bpermute_b32 v56, v16, v14
	ds_bpermute_b32 v57, v16, v15
	s_waitcnt vmcnt(14)
	v_add_f64 v[8:9], v[8:9], v[30:31]
	s_waitcnt vmcnt(13) lgkmcnt(0)
	v_add_f64 v[32:33], v[32:33], -v[56:57]
	v_mul_f64 v[26:27], v[30:31], v[26:27]
	ds_bpermute_b32 v56, v17, v14
	ds_bpermute_b32 v57, v17, v15
	;; [unrolled: 1-line block ×4, first 2 shown]
	s_waitcnt vmcnt(11)
	v_add_f64 v[8:9], v[8:9], v[36:37]
	v_mul_f64 v[32:33], v[36:37], v[32:33]
	v_fma_f64 v[12:13], v[26:27], v[58:59], v[12:13]
	s_waitcnt lgkmcnt(2)
	v_add_f64 v[34:35], v[34:35], -v[56:57]
	ds_bpermute_b32 v26, v16, v10
	ds_bpermute_b32 v58, v18, v14
	;; [unrolled: 1-line block ×6, first 2 shown]
	s_waitcnt vmcnt(9)
	v_add_f64 v[8:9], v[8:9], v[40:41]
	v_mul_f64 v[34:35], v[40:41], v[34:35]
	s_waitcnt lgkmcnt(3)
	v_add_f64 v[38:39], v[38:39], -v[58:59]
	s_waitcnt lgkmcnt(2)
	v_fma_f64 v[12:13], v[32:33], v[26:27], v[12:13]
	ds_bpermute_b32 v26, v18, v10
	s_waitcnt vmcnt(8) lgkmcnt(1)
	v_add_f64 v[36:37], v[42:43], -v[56:57]
	ds_bpermute_b32 v32, v20, v14
	ds_bpermute_b32 v33, v20, v15
	;; [unrolled: 1-line block ×3, first 2 shown]
	s_waitcnt vmcnt(7)
	v_add_f64 v[8:9], v[8:9], v[44:45]
	v_mul_f64 v[38:39], v[44:45], v[38:39]
	v_fma_f64 v[12:13], v[34:35], v[30:31], v[12:13]
	ds_bpermute_b32 v30, v19, v10
	s_waitcnt vmcnt(6) lgkmcnt(2)
	v_add_f64 v[32:33], v[46:47], -v[32:33]
	s_waitcnt vmcnt(5)
	v_mul_f64 v[36:37], v[48:49], v[36:37]
	ds_bpermute_b32 v34, v21, v14
	ds_bpermute_b32 v35, v21, v15
	;; [unrolled: 1-line block ×3, first 2 shown]
	v_add_f64 v[8:9], v[8:9], v[48:49]
	ds_bpermute_b32 v14, v22, v14
	ds_bpermute_b32 v15, v22, v15
	s_waitcnt lgkmcnt(6)
	v_fma_f64 v[12:13], v[38:39], v[26:27], v[12:13]
	ds_bpermute_b32 v26, v20, v10
	s_waitcnt vmcnt(3)
	v_mul_f64 v[32:33], v[52:53], v[32:33]
	s_waitcnt lgkmcnt(4)
	v_add_f64 v[34:35], v[50:51], -v[34:35]
	ds_bpermute_b32 v27, v20, v11
	s_waitcnt vmcnt(2) lgkmcnt(2)
	v_add_f64 v[14:15], v[24:25], -v[14:15]
	v_add_f64 v[8:9], v[8:9], v[52:53]
	v_fma_f64 v[12:13], v[36:37], v[30:31], v[12:13]
	ds_bpermute_b32 v30, v21, v10
	ds_bpermute_b32 v31, v21, v11
	s_waitcnt vmcnt(1)
	v_mul_f64 v[24:25], v[54:55], v[34:35]
	ds_bpermute_b32 v10, v22, v10
	ds_bpermute_b32 v11, v22, v11
	s_waitcnt vmcnt(0)
	v_mul_f64 v[14:15], v[28:29], v[14:15]
	v_add_f64 v[8:9], v[8:9], v[54:55]
	s_waitcnt lgkmcnt(4)
	v_fma_f64 v[12:13], v[32:33], v[26:27], v[12:13]
	v_add_f64 v[8:9], v[8:9], v[28:29]
	s_waitcnt lgkmcnt(2)
	v_fma_f64 v[12:13], v[24:25], v[30:31], v[12:13]
	s_waitcnt lgkmcnt(0)
	v_fma_f64 v[12:13], v[14:15], v[10:11], v[12:13]
	s_cbranch_vccz .LBB45_10
.LBB45_7:                               ; =>This Inner Loop Header: Depth=1
	v_mov_b32_e32 v10, 0
	v_mov_b32_e32 v14, 0
	;; [unrolled: 1-line block ×4, first 2 shown]
	s_and_saveexec_b32 s1, s0
	s_cbranch_execz .LBB45_6
; %bb.8:                                ;   in Loop: Header=BB45_7 Depth=1
	v_mov_b32_e32 v14, 0
	v_mov_b32_e32 v10, 0
	;; [unrolled: 1-line block ×4, first 2 shown]
	s_mov_b32 s5, exec_lo
	v_cmpx_gt_i64_e64 s[20:21], v[4:5]
	s_cbranch_execz .LBB45_5
; %bb.9:                                ;   in Loop: Header=BB45_7 Depth=1
	v_add_co_u32 v10, vcc_lo, s12, v6
	v_add_co_ci_u32_e64 v11, null, s13, v7, vcc_lo
	v_add_co_u32 v24, vcc_lo, s14, v6
	v_add_co_ci_u32_e64 v25, null, s15, v7, vcc_lo
	global_load_dwordx2 v[14:15], v[10:11], off
	global_load_dwordx2 v[10:11], v[24:25], off
	s_branch .LBB45_5
.LBB45_10:
	v_mad_u32_u24 v2, v1, 33, v0
	v_lshrrev_b32_e32 v3, 5, v0
	s_mov_b32 s0, exec_lo
	v_lshl_add_u32 v2, v2, 3, 0
	v_add_nc_u32_e32 v10, v3, v1
	ds_write_b64 v2, v[12:13]
	ds_write_b64 v2, v[8:9] offset:8448
	s_waitcnt lgkmcnt(0)
	s_barrier
	buffer_gl0_inv
	v_cmpx_gt_u32_e32 32, v10
	s_cbranch_execz .LBB45_16
; %bb.11:
	v_and_b32_e32 v1, 31, v0
	v_mbcnt_lo_u32_b32 v9, -1, 0
	v_mad_u32_u24 v1, v1, 33, v10
	v_xor_b32_e32 v5, 16, v9
	v_lshl_add_u32 v3, v1, 3, 0
	v_cmp_gt_i32_e32 vcc_lo, 32, v5
	ds_read_b64 v[1:2], v3
	ds_read_b64 v[3:4], v3 offset:8448
	v_cndmask_b32_e32 v5, v9, v5, vcc_lo
	v_lshlrev_b32_e32 v8, 2, v5
	s_waitcnt lgkmcnt(1)
	ds_bpermute_b32 v5, v8, v1
	ds_bpermute_b32 v6, v8, v2
	s_waitcnt lgkmcnt(2)
	ds_bpermute_b32 v7, v8, v3
	ds_bpermute_b32 v8, v8, v4
	s_waitcnt lgkmcnt(2)
	v_add_f64 v[1:2], v[1:2], v[5:6]
	v_xor_b32_e32 v5, 8, v9
	s_waitcnt lgkmcnt(0)
	v_add_f64 v[3:4], v[3:4], v[7:8]
	v_cmp_gt_i32_e32 vcc_lo, 32, v5
	v_cndmask_b32_e32 v5, v9, v5, vcc_lo
	v_lshlrev_b32_e32 v8, 2, v5
	ds_bpermute_b32 v5, v8, v1
	ds_bpermute_b32 v6, v8, v2
	ds_bpermute_b32 v7, v8, v3
	ds_bpermute_b32 v8, v8, v4
	s_waitcnt lgkmcnt(2)
	v_add_f64 v[1:2], v[1:2], v[5:6]
	v_xor_b32_e32 v5, 4, v9
	s_waitcnt lgkmcnt(0)
	v_add_f64 v[3:4], v[3:4], v[7:8]
	v_cmp_gt_i32_e32 vcc_lo, 32, v5
	v_cndmask_b32_e32 v5, v9, v5, vcc_lo
	v_lshlrev_b32_e32 v8, 2, v5
	ds_bpermute_b32 v5, v8, v1
	ds_bpermute_b32 v6, v8, v2
	;; [unrolled: 12-line block ×3, first 2 shown]
	ds_bpermute_b32 v7, v8, v3
	ds_bpermute_b32 v8, v8, v4
	s_waitcnt lgkmcnt(2)
	v_add_f64 v[5:6], v[1:2], v[5:6]
	s_waitcnt lgkmcnt(0)
	v_add_f64 v[1:2], v[3:4], v[7:8]
	v_xor_b32_e32 v3, 1, v9
	v_cmp_gt_i32_e32 vcc_lo, 32, v3
	v_cndmask_b32_e32 v3, v9, v3, vcc_lo
	v_cmp_eq_u32_e32 vcc_lo, 0, v0
	v_lshlrev_b32_e32 v4, 2, v3
	ds_bpermute_b32 v7, v4, v5
	ds_bpermute_b32 v8, v4, v6
	;; [unrolled: 1-line block ×4, first 2 shown]
	s_and_b32 exec_lo, exec_lo, vcc_lo
	s_cbranch_execz .LBB45_16
; %bb.12:
	s_mov_b32 s7, 0
	s_lshl_b64 s[0:1], s[6:7], 5
	s_cmp_eq_u64 s[16:17], 0
	v_or_b32_e32 v9, s0, v10
	v_mov_b32_e32 v10, s1
	v_lshlrev_b64 v[9:10], 3, v[9:10]
	s_cbranch_scc1 .LBB45_14
; %bb.13:
	s_waitcnt lgkmcnt(2)
	v_add_f64 v[5:6], v[5:6], v[7:8]
	v_add_co_u32 v7, vcc_lo, s16, v9
	v_add_co_ci_u32_e64 v8, null, s17, v10, vcc_lo
	global_store_dwordx2 v[7:8], v[5:6], off
.LBB45_14:
	s_cmp_eq_u64 s[18:19], 0
	s_cbranch_scc1 .LBB45_16
; %bb.15:
	s_waitcnt lgkmcnt(0)
	v_add_f64 v[0:1], v[1:2], v[3:4]
	v_add_co_u32 v2, vcc_lo, s18, v9
	v_add_co_ci_u32_e64 v3, null, s19, v10, vcc_lo
	global_store_dwordx2 v[2:3], v[0:1], off
.LBB45_16:
	s_endpgm
	.section	.rodata,"a",@progbits
	.p2align	6, 0x0
	.amdhsa_kernel _ZN2at6native12_GLOBAL__N_135GammaBetaBackwardCUDAKernelTemplateIddLj32ELj32ELj256ELb0ELb1ELb0EEEvllPKT_S5_PKT0_S8_PS3_S9_
		.amdhsa_group_segment_fixed_size 0
		.amdhsa_private_segment_fixed_size 0
		.amdhsa_kernarg_size 320
		.amdhsa_user_sgpr_count 6
		.amdhsa_user_sgpr_private_segment_buffer 1
		.amdhsa_user_sgpr_dispatch_ptr 0
		.amdhsa_user_sgpr_queue_ptr 0
		.amdhsa_user_sgpr_kernarg_segment_ptr 1
		.amdhsa_user_sgpr_dispatch_id 0
		.amdhsa_user_sgpr_flat_scratch_init 0
		.amdhsa_user_sgpr_private_segment_size 0
		.amdhsa_wavefront_size32 1
		.amdhsa_uses_dynamic_stack 0
		.amdhsa_system_sgpr_private_segment_wavefront_offset 0
		.amdhsa_system_sgpr_workgroup_id_x 1
		.amdhsa_system_sgpr_workgroup_id_y 1
		.amdhsa_system_sgpr_workgroup_id_z 0
		.amdhsa_system_sgpr_workgroup_info 0
		.amdhsa_system_vgpr_workitem_id 1
		.amdhsa_next_free_vgpr 60
		.amdhsa_next_free_sgpr 28
		.amdhsa_reserve_vcc 1
		.amdhsa_reserve_flat_scratch 0
		.amdhsa_float_round_mode_32 0
		.amdhsa_float_round_mode_16_64 0
		.amdhsa_float_denorm_mode_32 3
		.amdhsa_float_denorm_mode_16_64 3
		.amdhsa_dx10_clamp 1
		.amdhsa_ieee_mode 1
		.amdhsa_fp16_overflow 0
		.amdhsa_workgroup_processor_mode 1
		.amdhsa_memory_ordered 1
		.amdhsa_forward_progress 1
		.amdhsa_shared_vgpr_count 0
		.amdhsa_exception_fp_ieee_invalid_op 0
		.amdhsa_exception_fp_denorm_src 0
		.amdhsa_exception_fp_ieee_div_zero 0
		.amdhsa_exception_fp_ieee_overflow 0
		.amdhsa_exception_fp_ieee_underflow 0
		.amdhsa_exception_fp_ieee_inexact 0
		.amdhsa_exception_int_div_zero 0
	.end_amdhsa_kernel
	.section	.text._ZN2at6native12_GLOBAL__N_135GammaBetaBackwardCUDAKernelTemplateIddLj32ELj32ELj256ELb0ELb1ELb0EEEvllPKT_S5_PKT0_S8_PS3_S9_,"axG",@progbits,_ZN2at6native12_GLOBAL__N_135GammaBetaBackwardCUDAKernelTemplateIddLj32ELj32ELj256ELb0ELb1ELb0EEEvllPKT_S5_PKT0_S8_PS3_S9_,comdat
.Lfunc_end45:
	.size	_ZN2at6native12_GLOBAL__N_135GammaBetaBackwardCUDAKernelTemplateIddLj32ELj32ELj256ELb0ELb1ELb0EEEvllPKT_S5_PKT0_S8_PS3_S9_, .Lfunc_end45-_ZN2at6native12_GLOBAL__N_135GammaBetaBackwardCUDAKernelTemplateIddLj32ELj32ELj256ELb0ELb1ELb0EEEvllPKT_S5_PKT0_S8_PS3_S9_
                                        ; -- End function
	.set _ZN2at6native12_GLOBAL__N_135GammaBetaBackwardCUDAKernelTemplateIddLj32ELj32ELj256ELb0ELb1ELb0EEEvllPKT_S5_PKT0_S8_PS3_S9_.num_vgpr, 60
	.set _ZN2at6native12_GLOBAL__N_135GammaBetaBackwardCUDAKernelTemplateIddLj32ELj32ELj256ELb0ELb1ELb0EEEvllPKT_S5_PKT0_S8_PS3_S9_.num_agpr, 0
	.set _ZN2at6native12_GLOBAL__N_135GammaBetaBackwardCUDAKernelTemplateIddLj32ELj32ELj256ELb0ELb1ELb0EEEvllPKT_S5_PKT0_S8_PS3_S9_.numbered_sgpr, 28
	.set _ZN2at6native12_GLOBAL__N_135GammaBetaBackwardCUDAKernelTemplateIddLj32ELj32ELj256ELb0ELb1ELb0EEEvllPKT_S5_PKT0_S8_PS3_S9_.num_named_barrier, 0
	.set _ZN2at6native12_GLOBAL__N_135GammaBetaBackwardCUDAKernelTemplateIddLj32ELj32ELj256ELb0ELb1ELb0EEEvllPKT_S5_PKT0_S8_PS3_S9_.private_seg_size, 0
	.set _ZN2at6native12_GLOBAL__N_135GammaBetaBackwardCUDAKernelTemplateIddLj32ELj32ELj256ELb0ELb1ELb0EEEvllPKT_S5_PKT0_S8_PS3_S9_.uses_vcc, 1
	.set _ZN2at6native12_GLOBAL__N_135GammaBetaBackwardCUDAKernelTemplateIddLj32ELj32ELj256ELb0ELb1ELb0EEEvllPKT_S5_PKT0_S8_PS3_S9_.uses_flat_scratch, 0
	.set _ZN2at6native12_GLOBAL__N_135GammaBetaBackwardCUDAKernelTemplateIddLj32ELj32ELj256ELb0ELb1ELb0EEEvllPKT_S5_PKT0_S8_PS3_S9_.has_dyn_sized_stack, 0
	.set _ZN2at6native12_GLOBAL__N_135GammaBetaBackwardCUDAKernelTemplateIddLj32ELj32ELj256ELb0ELb1ELb0EEEvllPKT_S5_PKT0_S8_PS3_S9_.has_recursion, 0
	.set _ZN2at6native12_GLOBAL__N_135GammaBetaBackwardCUDAKernelTemplateIddLj32ELj32ELj256ELb0ELb1ELb0EEEvllPKT_S5_PKT0_S8_PS3_S9_.has_indirect_call, 0
	.section	.AMDGPU.csdata,"",@progbits
; Kernel info:
; codeLenInByte = 2104
; TotalNumSgprs: 30
; NumVgprs: 60
; ScratchSize: 0
; MemoryBound: 0
; FloatMode: 240
; IeeeMode: 1
; LDSByteSize: 0 bytes/workgroup (compile time only)
; SGPRBlocks: 0
; VGPRBlocks: 7
; NumSGPRsForWavesPerEU: 30
; NumVGPRsForWavesPerEU: 60
; Occupancy: 16
; WaveLimiterHint : 0
; COMPUTE_PGM_RSRC2:SCRATCH_EN: 0
; COMPUTE_PGM_RSRC2:USER_SGPR: 6
; COMPUTE_PGM_RSRC2:TRAP_HANDLER: 0
; COMPUTE_PGM_RSRC2:TGID_X_EN: 1
; COMPUTE_PGM_RSRC2:TGID_Y_EN: 1
; COMPUTE_PGM_RSRC2:TGID_Z_EN: 0
; COMPUTE_PGM_RSRC2:TIDIG_COMP_CNT: 1
	.section	.text._ZN2at6native12_GLOBAL__N_135GammaBetaBackwardCUDAKernelTemplateIddLj32ELj32ELj256ELb0ELb0ELb0EEEvllPKT_S5_PKT0_S8_PS3_S9_,"axG",@progbits,_ZN2at6native12_GLOBAL__N_135GammaBetaBackwardCUDAKernelTemplateIddLj32ELj32ELj256ELb0ELb0ELb0EEEvllPKT_S5_PKT0_S8_PS3_S9_,comdat
	.globl	_ZN2at6native12_GLOBAL__N_135GammaBetaBackwardCUDAKernelTemplateIddLj32ELj32ELj256ELb0ELb0ELb0EEEvllPKT_S5_PKT0_S8_PS3_S9_ ; -- Begin function _ZN2at6native12_GLOBAL__N_135GammaBetaBackwardCUDAKernelTemplateIddLj32ELj32ELj256ELb0ELb0ELb0EEEvllPKT_S5_PKT0_S8_PS3_S9_
	.p2align	8
	.type	_ZN2at6native12_GLOBAL__N_135GammaBetaBackwardCUDAKernelTemplateIddLj32ELj32ELj256ELb0ELb0ELb0EEEvllPKT_S5_PKT0_S8_PS3_S9_,@function
_ZN2at6native12_GLOBAL__N_135GammaBetaBackwardCUDAKernelTemplateIddLj32ELj32ELj256ELb0ELb0ELb0EEEvllPKT_S5_PKT0_S8_PS3_S9_: ; @_ZN2at6native12_GLOBAL__N_135GammaBetaBackwardCUDAKernelTemplateIddLj32ELj32ELj256ELb0ELb0ELb0EEEvllPKT_S5_PKT0_S8_PS3_S9_
; %bb.0:
	s_clause 0x1
	s_load_dwordx8 s[8:15], s[4:5], 0x0
	s_load_dwordx4 s[16:19], s[4:5], 0x20
	s_lshl_b32 s28, s6, 5
	s_mov_b32 s3, 0
	s_or_b32 s2, s28, 31
	s_waitcnt lgkmcnt(0)
	v_cmp_le_i64_e64 s0, s[10:11], s[2:3]
	s_lshl_b32 s2, s7, 8
	v_cmp_gt_i64_e64 s7, s[8:9], s[2:3]
	s_and_b32 vcc_lo, exec_lo, s0
	v_cndmask_b32_e64 v2, 0, 1, s7
	v_cmp_ne_u32_e64 s0, 1, v2
	s_cbranch_vccz .LBB46_48
; %bb.1:
	v_mov_b32_e32 v37, 0
	v_mov_b32_e32 v35, 0
	v_mov_b32_e32 v38, 0
	v_mov_b32_e32 v36, 0
	s_and_b32 vcc_lo, exec_lo, s0
	s_cbranch_vccnz .LBB46_49
; %bb.2:
	v_lshlrev_b32_e32 v45, 3, v1
	v_mov_b32_e32 v2, 0
	v_add_nc_u32_e32 v5, s28, v0
	s_load_dword s1, s[4:5], 0x44
	s_add_u32 s20, s4, 64
	v_add_co_u32 v11, s0, v45, s2
	v_add_co_ci_u32_e64 v12, null, 0, 0, s0
	v_mov_b32_e32 v6, v2
	v_mul_lo_u32 v7, s11, v11
	v_mad_u64_u32 v[3:4], null, s10, v11, 0
	v_mul_lo_u32 v8, s10, v12
	v_cmp_gt_i64_e64 s0, s[10:11], v[5:6]
	v_lshlrev_b64 v[39:40], 3, v[5:6]
	s_addc_u32 s21, s5, 0
	v_mov_b32_e32 v35, 0
	v_mov_b32_e32 v37, 0
	v_mov_b32_e32 v36, 0
	v_mov_b32_e32 v38, 0
	v_add3_u32 v4, v4, v8, v7
	v_add_co_u32 v7, vcc_lo, v11, 7
	v_add_co_ci_u32_e64 v8, null, 0, v12, vcc_lo
	v_lshlrev_b64 v[5:6], 3, v[3:4]
	v_mul_lo_u32 v13, s11, v7
	s_waitcnt lgkmcnt(0)
	s_lshl_b32 s29, s1, 8
	v_mul_lo_u32 v14, s10, v8
	v_mad_u64_u32 v[7:8], null, s10, v7, 0
	v_add_co_u32 v46, vcc_lo, s12, v5
	v_add_co_ci_u32_e64 v47, null, s13, v6, vcc_lo
	v_add_co_u32 v9, vcc_lo, v11, 6
	v_add_co_ci_u32_e64 v10, null, 0, v12, vcc_lo
	v_add_co_u32 v48, vcc_lo, s14, v5
	v_mul_lo_u32 v15, s11, v9
	v_mul_lo_u32 v16, s10, v10
	v_mad_u64_u32 v[9:10], null, s10, v9, 0
	v_add3_u32 v8, v8, v14, v13
	v_add_co_ci_u32_e64 v49, null, s15, v6, vcc_lo
	v_add_co_u32 v13, vcc_lo, v11, 5
	v_add_co_ci_u32_e64 v14, null, 0, v12, vcc_lo
	v_add3_u32 v10, v10, v16, v15
	v_lshlrev_b64 v[5:6], 3, v[7:8]
	v_mul_lo_u32 v15, s11, v13
	v_mul_lo_u32 v14, s10, v14
	s_mul_i32 s1, s11, s29
	v_lshlrev_b64 v[7:8], 3, v[9:10]
	v_mad_u64_u32 v[9:10], null, s10, v13, 0
	v_add_co_u32 v50, vcc_lo, s12, v5
	v_add_co_ci_u32_e64 v51, null, s13, v6, vcc_lo
	v_add_co_u32 v52, vcc_lo, s14, v5
	v_add_co_ci_u32_e64 v53, null, s15, v6, vcc_lo
	v_add_co_u32 v54, vcc_lo, s12, v7
	v_add3_u32 v10, v10, v14, v15
	s_mul_hi_u32 s22, s10, s29
	v_add_co_ci_u32_e64 v55, null, s13, v8, vcc_lo
	v_add_co_u32 v13, vcc_lo, v11, 4
	s_add_i32 s23, s22, s1
	v_add_co_u32 v56, s1, s14, v7
	v_add_co_ci_u32_e64 v7, null, 0, v12, vcc_lo
	v_lshlrev_b64 v[5:6], 3, v[9:10]
	v_add_co_u32 v9, vcc_lo, v11, 3
	v_add_co_ci_u32_e64 v10, null, 0, v12, vcc_lo
	v_add_co_ci_u32_e64 v57, null, s15, v8, s1
	v_mul_lo_u32 v14, s11, v13
	v_mul_lo_u32 v15, s10, v7
	v_mad_u64_u32 v[7:8], null, s10, v13, 0
	v_mul_lo_u32 v13, s11, v9
	v_mul_lo_u32 v16, s10, v10
	v_mad_u64_u32 v[9:10], null, s10, v9, 0
	v_add_co_u32 v58, vcc_lo, s12, v5
	v_add_co_ci_u32_e64 v59, null, s13, v6, vcc_lo
	v_add3_u32 v8, v8, v15, v14
	v_add_co_u32 v60, vcc_lo, s14, v5
	v_add_co_ci_u32_e64 v61, null, s15, v6, vcc_lo
	v_add_co_u32 v11, vcc_lo, v11, 2
	v_add3_u32 v10, v10, v16, v13
	v_add_co_ci_u32_e64 v12, null, 0, v12, vcc_lo
	v_lshlrev_b64 v[5:6], 3, v[7:8]
	v_mul_lo_u32 v13, s11, v11
	v_lshlrev_b64 v[7:8], 3, v[9:10]
	v_mul_lo_u32 v12, s10, v12
	v_mad_u64_u32 v[9:10], null, s10, v11, 0
	v_add_co_u32 v62, vcc_lo, s12, v5
	v_add_co_ci_u32_e64 v63, null, s13, v6, vcc_lo
	v_add_co_u32 v64, vcc_lo, s14, v5
	v_add_co_ci_u32_e64 v65, null, s15, v6, vcc_lo
	;; [unrolled: 2-line block ×3, first 2 shown]
	v_add3_u32 v10, v10, v12, v13
	v_add_co_u32 v68, vcc_lo, s14, v7
	v_add_co_ci_u32_e64 v69, null, s15, v8, vcc_lo
	v_add_co_u32 v3, vcc_lo, v3, s10
	v_add_co_ci_u32_e64 v4, null, s11, v4, vcc_lo
	v_lshlrev_b64 v[5:6], 3, v[9:10]
	s_mul_i32 s22, s10, s29
	s_mov_b64 s[26:27], s[2:3]
	v_lshlrev_b64 v[3:4], 3, v[3:4]
	s_lshl_b64 s[22:23], s[22:23], 3
	s_add_u32 s24, s2, 0xff
	v_add_co_u32 v70, vcc_lo, s12, v5
	v_add_co_ci_u32_e64 v71, null, s13, v6, vcc_lo
	v_add_co_u32 v72, vcc_lo, s14, v5
	v_add_co_ci_u32_e64 v73, null, s15, v6, vcc_lo
	;; [unrolled: 2-line block ×4, first 2 shown]
	s_addc_u32 s25, 0, 0
	s_branch .LBB46_5
.LBB46_3:                               ;   in Loop: Header=BB46_5 Depth=1
	s_or_b32 exec_lo, exec_lo, s1
	s_waitcnt vmcnt(1)
	ds_bpermute_b32 v78, v2, v41
	ds_bpermute_b32 v79, v2, v42
	ds_bpermute_b32 v80, v2, v41 offset:4
	ds_bpermute_b32 v81, v2, v42 offset:4
	s_waitcnt vmcnt(0) lgkmcnt(2)
	v_add_f64 v[19:20], v[19:20], -v[78:79]
	ds_bpermute_b32 v78, v2, v41 offset:8
	s_waitcnt lgkmcnt(1)
	v_add_f64 v[21:22], v[21:22], -v[80:81]
	ds_bpermute_b32 v79, v2, v42 offset:8
	ds_bpermute_b32 v80, v2, v43
	ds_bpermute_b32 v81, v2, v44
	v_mul_f64 v[19:20], v[3:4], v[19:20]
	v_add_f64 v[3:4], v[37:38], v[3:4]
	s_waitcnt lgkmcnt(2)
	v_add_f64 v[23:24], v[23:24], -v[78:79]
	v_mul_f64 v[21:22], v[5:6], v[21:22]
	ds_bpermute_b32 v37, v2, v41 offset:12
	ds_bpermute_b32 v38, v2, v42 offset:12
	;; [unrolled: 1-line block ×4, first 2 shown]
	s_waitcnt lgkmcnt(4)
	v_fma_f64 v[19:20], v[19:20], v[80:81], v[35:36]
	ds_bpermute_b32 v35, v2, v43 offset:4
	ds_bpermute_b32 v36, v2, v44 offset:4
	s_waitcnt lgkmcnt(4)
	v_add_f64 v[25:26], v[25:26], -v[37:38]
	v_add_f64 v[3:4], v[5:6], v[3:4]
	v_mul_f64 v[5:6], v[7:8], v[23:24]
	s_waitcnt lgkmcnt(2)
	v_add_f64 v[27:28], v[27:28], -v[78:79]
	ds_bpermute_b32 v23, v2, v41 offset:20
	ds_bpermute_b32 v24, v2, v42 offset:20
	s_waitcnt lgkmcnt(2)
	v_fma_f64 v[19:20], v[21:22], v[35:36], v[19:20]
	ds_bpermute_b32 v21, v2, v43 offset:8
	ds_bpermute_b32 v22, v2, v44 offset:8
	v_mul_f64 v[25:26], v[9:10], v[25:26]
	v_add_f64 v[3:4], v[7:8], v[3:4]
	ds_bpermute_b32 v7, v2, v43 offset:12
	ds_bpermute_b32 v8, v2, v44 offset:12
	s_waitcnt lgkmcnt(2)
	v_fma_f64 v[5:6], v[5:6], v[21:22], v[19:20]
	v_add_f64 v[21:22], v[29:30], -v[23:24]
	v_mul_f64 v[23:24], v[11:12], v[27:28]
	ds_bpermute_b32 v19, v2, v41 offset:24
	v_add_f64 v[3:4], v[9:10], v[3:4]
	ds_bpermute_b32 v20, v2, v42 offset:24
	s_waitcnt lgkmcnt(2)
	v_fma_f64 v[5:6], v[25:26], v[7:8], v[5:6]
	ds_bpermute_b32 v7, v2, v43 offset:16
	ds_bpermute_b32 v8, v2, v44 offset:16
	s_waitcnt lgkmcnt(2)
	v_add_f64 v[9:10], v[31:32], -v[19:20]
	v_mul_f64 v[19:20], v[13:14], v[21:22]
	v_add_f64 v[3:4], v[11:12], v[3:4]
	ds_bpermute_b32 v11, v2, v43 offset:24
	ds_bpermute_b32 v12, v2, v44 offset:24
	s_waitcnt lgkmcnt(2)
	v_fma_f64 v[5:6], v[23:24], v[7:8], v[5:6]
	ds_bpermute_b32 v7, v2, v43 offset:20
	ds_bpermute_b32 v8, v2, v44 offset:20
	v_mul_f64 v[9:10], v[15:16], v[9:10]
	ds_bpermute_b32 v43, v2, v43 offset:28
	v_add_f64 v[3:4], v[13:14], v[3:4]
	ds_bpermute_b32 v44, v2, v44 offset:28
	s_waitcnt lgkmcnt(2)
	v_fma_f64 v[7:8], v[19:20], v[7:8], v[5:6]
	v_add_f64 v[5:6], v[15:16], v[3:4]
	v_fma_f64 v[3:4], v[9:10], v[11:12], v[7:8]
	ds_bpermute_b32 v7, v2, v41 offset:28
	ds_bpermute_b32 v8, v2, v42 offset:28
.LBB46_4:                               ;   in Loop: Header=BB46_5 Depth=1
	s_waitcnt lgkmcnt(0)
	v_add_f64 v[7:8], v[33:34], -v[7:8]
	v_add_f64 v[37:38], v[5:6], v[17:18]
	v_add_co_u32 v46, vcc_lo, v46, s22
	v_add_co_ci_u32_e64 v47, null, s23, v47, vcc_lo
	v_add_co_u32 v48, vcc_lo, v48, s22
	v_add_co_ci_u32_e64 v49, null, s23, v49, vcc_lo
	;; [unrolled: 2-line block ×5, first 2 shown]
	v_mul_f64 v[5:6], v[17:18], v[7:8]
	v_add_co_u32 v56, vcc_lo, v56, s22
	v_add_co_ci_u32_e64 v57, null, s23, v57, vcc_lo
	v_add_co_u32 v58, vcc_lo, v58, s22
	v_add_co_ci_u32_e64 v59, null, s23, v59, vcc_lo
	v_add_co_u32 v60, vcc_lo, v60, s22
	v_add_co_ci_u32_e64 v61, null, s23, v61, vcc_lo
	v_add_co_u32 v62, vcc_lo, v62, s22
	v_add_co_ci_u32_e64 v63, null, s23, v63, vcc_lo
	v_add_co_u32 v64, vcc_lo, v64, s22
	v_add_co_ci_u32_e64 v65, null, s23, v65, vcc_lo
	v_add_co_u32 v66, vcc_lo, v66, s22
	v_fma_f64 v[35:36], v[5:6], v[43:44], v[3:4]
	v_add_co_ci_u32_e64 v67, null, s23, v67, vcc_lo
	v_add_co_u32 v68, vcc_lo, v68, s22
	v_add_co_ci_u32_e64 v69, null, s23, v69, vcc_lo
	v_add_co_u32 v70, vcc_lo, v70, s22
	s_add_u32 s26, s26, s29
	v_add_co_ci_u32_e64 v71, null, s23, v71, vcc_lo
	v_add_co_u32 v72, vcc_lo, v72, s22
	s_addc_u32 s27, s27, 0
	v_add_co_ci_u32_e64 v73, null, s23, v73, vcc_lo
	v_add_co_u32 v74, vcc_lo, v74, s22
	v_cmp_lt_i64_e64 s1, s[26:27], s[8:9]
	v_add_co_ci_u32_e64 v75, null, s23, v75, vcc_lo
	v_add_co_u32 v76, vcc_lo, v76, s22
	v_add_co_ci_u32_e64 v77, null, s23, v77, vcc_lo
	s_add_u32 s24, s24, s29
	s_addc_u32 s25, s25, 0
	s_and_b32 vcc_lo, exec_lo, s1
	s_cbranch_vccz .LBB46_49
.LBB46_5:                               ; =>This Inner Loop Header: Depth=1
	v_cmp_ge_i64_e64 s1, s[24:25], s[8:9]
	v_add_co_u32 v78, s30, v45, s24
	v_add_co_ci_u32_e64 v79, null, 0, s25, s30
                                        ; implicit-def: $vgpr3_vgpr4_vgpr5_vgpr6_vgpr7_vgpr8_vgpr9_vgpr10_vgpr11_vgpr12_vgpr13_vgpr14_vgpr15_vgpr16_vgpr17_vgpr18
                                        ; implicit-def: $vgpr43_vgpr44
                                        ; implicit-def: $vgpr19_vgpr20_vgpr21_vgpr22_vgpr23_vgpr24_vgpr25_vgpr26_vgpr27_vgpr28_vgpr29_vgpr30_vgpr31_vgpr32_vgpr33_vgpr34
                                        ; implicit-def: $vgpr7
	s_and_b32 vcc_lo, exec_lo, s1
	s_mov_b32 s1, -1
                                        ; implicit-def: $vgpr5_vgpr6
                                        ; implicit-def: $vgpr3_vgpr4
	s_cbranch_vccz .LBB46_27
; %bb.6:                                ;   in Loop: Header=BB46_5 Depth=1
	s_load_dword s1, s[20:21], 0xc
	v_mov_b32_e32 v43, 0
	v_mov_b32_e32 v41, 0
	;; [unrolled: 1-line block ×4, first 2 shown]
	s_waitcnt lgkmcnt(0)
	s_and_b32 s1, s1, 0xffff
	v_mad_u32_u24 v3, v1, s1, v0
	s_mov_b32 s1, exec_lo
	v_and_b32_e32 v3, 31, v3
	v_cmpx_gt_u32_e32 8, v3
	s_cbranch_execz .LBB46_10
; %bb.7:                                ;   in Loop: Header=BB46_5 Depth=1
	v_add_co_u32 v3, vcc_lo, v78, v3
	v_add_co_ci_u32_e64 v4, null, 0, v79, vcc_lo
	v_mov_b32_e32 v41, 0
	v_add_co_u32 v3, vcc_lo, 0xffffff01, v3
	v_mov_b32_e32 v43, 0
	v_add_co_ci_u32_e64 v4, null, -1, v4, vcc_lo
	v_mov_b32_e32 v42, 0
	v_mov_b32_e32 v44, 0
	s_mov_b32 s30, exec_lo
	v_cmpx_gt_i64_e64 s[8:9], v[3:4]
	s_cbranch_execz .LBB46_9
; %bb.8:                                ;   in Loop: Header=BB46_5 Depth=1
	v_lshlrev_b64 v[3:4], 3, v[3:4]
	v_add_co_u32 v5, vcc_lo, s16, v3
	v_add_co_ci_u32_e64 v6, null, s17, v4, vcc_lo
	v_add_co_u32 v3, vcc_lo, s18, v3
	v_add_co_ci_u32_e64 v4, null, s19, v4, vcc_lo
	global_load_dwordx2 v[41:42], v[5:6], off
	global_load_dwordx2 v[43:44], v[3:4], off
.LBB46_9:                               ;   in Loop: Header=BB46_5 Depth=1
	s_or_b32 exec_lo, exec_lo, s30
.LBB46_10:                              ;   in Loop: Header=BB46_5 Depth=1
	s_or_b32 exec_lo, exec_lo, s1
	v_add_co_u32 v18, vcc_lo, 0xffffff01, v78
	v_add_co_ci_u32_e64 v19, null, -1, v79, vcc_lo
	v_mov_b32_e32 v17, v2
	v_mov_b32_e32 v3, v2
	;; [unrolled: 1-line block ×15, first 2 shown]
	v_cmp_gt_i64_e32 vcc_lo, s[8:9], v[18:19]
	v_mov_b32_e32 v34, v17
	v_mov_b32_e32 v31, v14
	;; [unrolled: 1-line block ×32, first 2 shown]
	s_and_b32 s30, s0, vcc_lo
	s_and_saveexec_b32 s1, s30
	s_cbranch_execz .LBB46_12
; %bb.11:                               ;   in Loop: Header=BB46_5 Depth=1
	v_add_co_u32 v3, vcc_lo, v46, v39
	v_add_co_ci_u32_e64 v4, null, v47, v40, vcc_lo
	v_add_co_u32 v5, vcc_lo, v48, v39
	v_add_co_ci_u32_e64 v6, null, v49, v40, vcc_lo
	global_load_dwordx2 v[3:4], v[3:4], off
	global_load_dwordx2 v[19:20], v[5:6], off
	v_mov_b32_e32 v5, v2
	v_mov_b32_e32 v6, v2
	;; [unrolled: 1-line block ×28, first 2 shown]
.LBB46_12:                              ;   in Loop: Header=BB46_5 Depth=1
	s_or_b32 exec_lo, exec_lo, s1
	v_add_co_u32 v80, vcc_lo, 0xffffff02, v78
	v_add_co_ci_u32_e64 v81, null, -1, v79, vcc_lo
	v_cmp_gt_i64_e32 vcc_lo, s[8:9], v[80:81]
	s_and_b32 s30, s0, vcc_lo
	s_and_saveexec_b32 s1, s30
	s_cbranch_execz .LBB46_14
; %bb.13:                               ;   in Loop: Header=BB46_5 Depth=1
	v_add_co_u32 v5, vcc_lo, v74, v39
	v_add_co_ci_u32_e64 v6, null, v75, v40, vcc_lo
	v_add_co_u32 v21, vcc_lo, v76, v39
	v_add_co_ci_u32_e64 v22, null, v77, v40, vcc_lo
	global_load_dwordx2 v[5:6], v[5:6], off
	global_load_dwordx2 v[21:22], v[21:22], off
.LBB46_14:                              ;   in Loop: Header=BB46_5 Depth=1
	s_or_b32 exec_lo, exec_lo, s1
	v_add_co_u32 v80, vcc_lo, 0xffffff03, v78
	v_add_co_ci_u32_e64 v81, null, -1, v79, vcc_lo
	v_cmp_gt_i64_e32 vcc_lo, s[8:9], v[80:81]
	s_and_b32 s30, s0, vcc_lo
	s_and_saveexec_b32 s1, s30
	s_cbranch_execz .LBB46_16
; %bb.15:                               ;   in Loop: Header=BB46_5 Depth=1
	v_add_co_u32 v7, vcc_lo, v70, v39
	v_add_co_ci_u32_e64 v8, null, v71, v40, vcc_lo
	v_add_co_u32 v23, vcc_lo, v72, v39
	v_add_co_ci_u32_e64 v24, null, v73, v40, vcc_lo
	global_load_dwordx2 v[7:8], v[7:8], off
	global_load_dwordx2 v[23:24], v[23:24], off
.LBB46_16:                              ;   in Loop: Header=BB46_5 Depth=1
	;; [unrolled: 15-line block ×7, first 2 shown]
	s_or_b32 exec_lo, exec_lo, s1
	s_waitcnt vmcnt(1)
	ds_bpermute_b32 v80, v2, v41
	ds_bpermute_b32 v81, v2, v42
	ds_bpermute_b32 v82, v2, v41 offset:4
	ds_bpermute_b32 v83, v2, v42 offset:4
	;; [unrolled: 1-line block ×4, first 2 shown]
	s_mov_b32 s1, 0
	s_waitcnt vmcnt(0) lgkmcnt(4)
	v_add_f64 v[19:20], v[19:20], -v[80:81]
	ds_bpermute_b32 v80, v2, v41 offset:8
	s_waitcnt lgkmcnt(3)
	v_add_f64 v[21:22], v[21:22], -v[82:83]
	ds_bpermute_b32 v81, v2, v42 offset:8
	ds_bpermute_b32 v82, v2, v43
	ds_bpermute_b32 v83, v2, v44
	s_waitcnt lgkmcnt(4)
	v_add_f64 v[25:26], v[25:26], -v[84:85]
	v_mul_f64 v[19:20], v[3:4], v[19:20]
	v_add_f64 v[3:4], v[37:38], v[3:4]
	s_waitcnt lgkmcnt(2)
	v_add_f64 v[23:24], v[23:24], -v[80:81]
	v_mul_f64 v[21:22], v[5:6], v[21:22]
	ds_bpermute_b32 v80, v2, v43 offset:4
	ds_bpermute_b32 v81, v2, v44 offset:4
	v_mul_f64 v[25:26], v[9:10], v[25:26]
	s_waitcnt lgkmcnt(2)
	v_fma_f64 v[19:20], v[19:20], v[82:83], v[35:36]
	v_add_f64 v[3:4], v[5:6], v[3:4]
	v_mul_f64 v[5:6], v[7:8], v[23:24]
	ds_bpermute_b32 v82, v2, v41 offset:16
	ds_bpermute_b32 v83, v2, v42 offset:16
	;; [unrolled: 1-line block ×4, first 2 shown]
	s_waitcnt lgkmcnt(4)
	v_fma_f64 v[19:20], v[21:22], v[80:81], v[19:20]
	ds_bpermute_b32 v21, v2, v43 offset:8
	ds_bpermute_b32 v22, v2, v44 offset:8
	s_waitcnt lgkmcnt(4)
	v_add_f64 v[27:28], v[27:28], -v[82:83]
	v_add_f64 v[3:4], v[7:8], v[3:4]
	ds_bpermute_b32 v7, v2, v43 offset:12
	ds_bpermute_b32 v8, v2, v44 offset:12
	s_waitcnt lgkmcnt(2)
	v_fma_f64 v[5:6], v[5:6], v[21:22], v[19:20]
	v_add_f64 v[21:22], v[29:30], -v[23:24]
	ds_bpermute_b32 v19, v2, v41 offset:24
	v_mul_f64 v[23:24], v[11:12], v[27:28]
	v_add_f64 v[3:4], v[9:10], v[3:4]
	ds_bpermute_b32 v20, v2, v42 offset:24
	s_waitcnt lgkmcnt(2)
	v_fma_f64 v[5:6], v[25:26], v[7:8], v[5:6]
	ds_bpermute_b32 v7, v2, v43 offset:16
	ds_bpermute_b32 v8, v2, v44 offset:16
	s_waitcnt lgkmcnt(2)
	v_add_f64 v[9:10], v[31:32], -v[19:20]
	v_mul_f64 v[19:20], v[13:14], v[21:22]
	v_add_f64 v[3:4], v[11:12], v[3:4]
	ds_bpermute_b32 v11, v2, v43 offset:24
	ds_bpermute_b32 v12, v2, v44 offset:24
	s_waitcnt lgkmcnt(2)
	v_fma_f64 v[5:6], v[23:24], v[7:8], v[5:6]
	ds_bpermute_b32 v7, v2, v43 offset:20
	ds_bpermute_b32 v8, v2, v44 offset:20
	v_mul_f64 v[9:10], v[15:16], v[9:10]
	ds_bpermute_b32 v43, v2, v43 offset:28
	v_add_f64 v[3:4], v[13:14], v[3:4]
	ds_bpermute_b32 v44, v2, v44 offset:28
	s_waitcnt lgkmcnt(2)
	v_fma_f64 v[7:8], v[19:20], v[7:8], v[5:6]
	v_add_f64 v[5:6], v[15:16], v[3:4]
	v_fma_f64 v[3:4], v[9:10], v[11:12], v[7:8]
	ds_bpermute_b32 v7, v2, v41 offset:28
	ds_bpermute_b32 v8, v2, v42 offset:28
.LBB46_27:                              ;   in Loop: Header=BB46_5 Depth=1
	s_and_b32 vcc_lo, exec_lo, s1
	s_cbranch_vccz .LBB46_4
; %bb.28:                               ;   in Loop: Header=BB46_5 Depth=1
	s_load_dword s1, s[20:21], 0x0
	s_waitcnt lgkmcnt(0)
	v_mov_b32_e32 v43, 0
	v_mov_b32_e32 v41, 0
	;; [unrolled: 1-line block ×4, first 2 shown]
	s_cmp_lt_u32 s6, s1
	s_cselect_b32 s1, 12, 18
	s_add_u32 s30, s20, s1
	s_addc_u32 s31, s21, 0
	s_mov_b32 s1, exec_lo
	global_load_ushort v3, v2, s[30:31]
	s_waitcnt vmcnt(0)
	v_mad_u32_u24 v3, v1, v3, v0
	v_and_b32_e32 v3, 31, v3
	v_cmpx_gt_u32_e32 8, v3
	s_cbranch_execz .LBB46_32
; %bb.29:                               ;   in Loop: Header=BB46_5 Depth=1
	v_add_co_u32 v3, vcc_lo, v78, v3
	v_add_co_ci_u32_e64 v4, null, 0, v79, vcc_lo
	v_mov_b32_e32 v41, 0
	v_add_co_u32 v3, vcc_lo, 0xffffff01, v3
	v_mov_b32_e32 v43, 0
	v_add_co_ci_u32_e64 v4, null, -1, v4, vcc_lo
	v_mov_b32_e32 v42, 0
	v_mov_b32_e32 v44, 0
	s_mov_b32 s30, exec_lo
	v_cmpx_gt_i64_e64 s[8:9], v[3:4]
	s_cbranch_execz .LBB46_31
; %bb.30:                               ;   in Loop: Header=BB46_5 Depth=1
	v_lshlrev_b64 v[3:4], 3, v[3:4]
	v_add_co_u32 v5, vcc_lo, s16, v3
	v_add_co_ci_u32_e64 v6, null, s17, v4, vcc_lo
	v_add_co_u32 v3, vcc_lo, s18, v3
	v_add_co_ci_u32_e64 v4, null, s19, v4, vcc_lo
	global_load_dwordx2 v[41:42], v[5:6], off
	global_load_dwordx2 v[43:44], v[3:4], off
.LBB46_31:                              ;   in Loop: Header=BB46_5 Depth=1
	s_or_b32 exec_lo, exec_lo, s30
.LBB46_32:                              ;   in Loop: Header=BB46_5 Depth=1
	s_or_b32 exec_lo, exec_lo, s1
	v_mov_b32_e32 v17, v2
	v_mov_b32_e32 v3, v2
	;; [unrolled: 1-line block ×47, first 2 shown]
	s_and_saveexec_b32 s1, s0
	s_cbranch_execz .LBB46_40
; %bb.33:                               ;   in Loop: Header=BB46_5 Depth=1
	v_add_co_u32 v3, vcc_lo, v46, v39
	v_add_co_ci_u32_e64 v4, null, v47, v40, vcc_lo
	v_add_co_u32 v5, vcc_lo, v48, v39
	v_add_co_ci_u32_e64 v6, null, v49, v40, vcc_lo
	global_load_dwordx2 v[3:4], v[3:4], off
	global_load_dwordx2 v[19:20], v[5:6], off
	v_mov_b32_e32 v5, v2
	v_mov_b32_e32 v6, v2
	;; [unrolled: 1-line block ×28, first 2 shown]
	s_or_b32 exec_lo, exec_lo, s1
	s_and_saveexec_b32 s1, s0
	s_cbranch_execnz .LBB46_41
.LBB46_34:                              ;   in Loop: Header=BB46_5 Depth=1
	s_or_b32 exec_lo, exec_lo, s1
	s_and_saveexec_b32 s1, s0
	s_cbranch_execz .LBB46_42
.LBB46_35:                              ;   in Loop: Header=BB46_5 Depth=1
	v_add_co_u32 v7, vcc_lo, v70, v39
	v_add_co_ci_u32_e64 v8, null, v71, v40, vcc_lo
	v_add_co_u32 v23, vcc_lo, v72, v39
	v_add_co_ci_u32_e64 v24, null, v73, v40, vcc_lo
	global_load_dwordx2 v[7:8], v[7:8], off
	global_load_dwordx2 v[23:24], v[23:24], off
	s_or_b32 exec_lo, exec_lo, s1
	s_and_saveexec_b32 s1, s0
	s_cbranch_execnz .LBB46_43
.LBB46_36:                              ;   in Loop: Header=BB46_5 Depth=1
	s_or_b32 exec_lo, exec_lo, s1
	s_and_saveexec_b32 s1, s0
	s_cbranch_execz .LBB46_44
.LBB46_37:                              ;   in Loop: Header=BB46_5 Depth=1
	v_add_co_u32 v11, vcc_lo, v62, v39
	v_add_co_ci_u32_e64 v12, null, v63, v40, vcc_lo
	v_add_co_u32 v27, vcc_lo, v64, v39
	v_add_co_ci_u32_e64 v28, null, v65, v40, vcc_lo
	global_load_dwordx2 v[11:12], v[11:12], off
	global_load_dwordx2 v[27:28], v[27:28], off
	s_or_b32 exec_lo, exec_lo, s1
	s_and_saveexec_b32 s1, s0
	s_cbranch_execnz .LBB46_45
.LBB46_38:                              ;   in Loop: Header=BB46_5 Depth=1
	s_or_b32 exec_lo, exec_lo, s1
	s_and_saveexec_b32 s1, s0
	s_cbranch_execz .LBB46_46
.LBB46_39:                              ;   in Loop: Header=BB46_5 Depth=1
	v_add_co_u32 v15, vcc_lo, v54, v39
	v_add_co_ci_u32_e64 v16, null, v55, v40, vcc_lo
	v_add_co_u32 v31, vcc_lo, v56, v39
	v_add_co_ci_u32_e64 v32, null, v57, v40, vcc_lo
	global_load_dwordx2 v[15:16], v[15:16], off
	global_load_dwordx2 v[31:32], v[31:32], off
	s_or_b32 exec_lo, exec_lo, s1
	s_and_saveexec_b32 s1, s0
	s_cbranch_execz .LBB46_3
	s_branch .LBB46_47
.LBB46_40:                              ;   in Loop: Header=BB46_5 Depth=1
	s_or_b32 exec_lo, exec_lo, s1
	s_and_saveexec_b32 s1, s0
	s_cbranch_execz .LBB46_34
.LBB46_41:                              ;   in Loop: Header=BB46_5 Depth=1
	v_add_co_u32 v5, vcc_lo, v74, v39
	v_add_co_ci_u32_e64 v6, null, v75, v40, vcc_lo
	v_add_co_u32 v21, vcc_lo, v76, v39
	v_add_co_ci_u32_e64 v22, null, v77, v40, vcc_lo
	global_load_dwordx2 v[5:6], v[5:6], off
	global_load_dwordx2 v[21:22], v[21:22], off
	s_or_b32 exec_lo, exec_lo, s1
	s_and_saveexec_b32 s1, s0
	s_cbranch_execnz .LBB46_35
.LBB46_42:                              ;   in Loop: Header=BB46_5 Depth=1
	s_or_b32 exec_lo, exec_lo, s1
	s_and_saveexec_b32 s1, s0
	s_cbranch_execz .LBB46_36
.LBB46_43:                              ;   in Loop: Header=BB46_5 Depth=1
	v_add_co_u32 v9, vcc_lo, v66, v39
	v_add_co_ci_u32_e64 v10, null, v67, v40, vcc_lo
	v_add_co_u32 v25, vcc_lo, v68, v39
	v_add_co_ci_u32_e64 v26, null, v69, v40, vcc_lo
	global_load_dwordx2 v[9:10], v[9:10], off
	global_load_dwordx2 v[25:26], v[25:26], off
	s_or_b32 exec_lo, exec_lo, s1
	s_and_saveexec_b32 s1, s0
	s_cbranch_execnz .LBB46_37
.LBB46_44:                              ;   in Loop: Header=BB46_5 Depth=1
	s_or_b32 exec_lo, exec_lo, s1
	s_and_saveexec_b32 s1, s0
	s_cbranch_execz .LBB46_38
.LBB46_45:                              ;   in Loop: Header=BB46_5 Depth=1
	v_add_co_u32 v13, vcc_lo, v58, v39
	v_add_co_ci_u32_e64 v14, null, v59, v40, vcc_lo
	v_add_co_u32 v29, vcc_lo, v60, v39
	v_add_co_ci_u32_e64 v30, null, v61, v40, vcc_lo
	global_load_dwordx2 v[13:14], v[13:14], off
	global_load_dwordx2 v[29:30], v[29:30], off
	s_or_b32 exec_lo, exec_lo, s1
	s_and_saveexec_b32 s1, s0
	s_cbranch_execnz .LBB46_39
.LBB46_46:                              ;   in Loop: Header=BB46_5 Depth=1
	s_or_b32 exec_lo, exec_lo, s1
	s_and_saveexec_b32 s1, s0
	s_cbranch_execz .LBB46_3
.LBB46_47:                              ;   in Loop: Header=BB46_5 Depth=1
	v_add_co_u32 v17, vcc_lo, v50, v39
	v_add_co_ci_u32_e64 v18, null, v51, v40, vcc_lo
	v_add_co_u32 v33, vcc_lo, v52, v39
	v_add_co_ci_u32_e64 v34, null, v53, v40, vcc_lo
	global_load_dwordx2 v[17:18], v[17:18], off
	global_load_dwordx2 v[33:34], v[33:34], off
	s_branch .LBB46_3
.LBB46_48:
                                        ; implicit-def: $vgpr37_vgpr38
                                        ; implicit-def: $vgpr35_vgpr36
	s_branch .LBB46_50
.LBB46_49:
	s_cbranch_execnz .LBB46_81
.LBB46_50:
	v_mov_b32_e32 v37, 0
	v_mov_b32_e32 v35, 0
	;; [unrolled: 1-line block ×4, first 2 shown]
	s_andn2_b32 vcc_lo, exec_lo, s7
	s_cbranch_vccnz .LBB46_81
; %bb.51:
	s_load_dword s7, s[4:5], 0x44
	v_lshlrev_b32_e32 v73, 3, v1
	v_lshlrev_b32_e32 v8, 6, v1
	v_mov_b32_e32 v35, 0
	v_mov_b32_e32 v37, 0
	;; [unrolled: 1-line block ×3, first 2 shown]
	v_add_co_u32 v4, s0, v73, s2
	v_add_co_ci_u32_e64 v5, null, 0, 0, s0
	s_add_u32 s0, s4, 64
	v_mul_lo_u32 v6, s11, v4
	v_mad_u64_u32 v[2:3], null, s10, v4, 0
	v_mul_lo_u32 v7, s10, v5
	s_addc_u32 s1, s5, 0
	v_mov_b32_e32 v38, 0
	s_waitcnt lgkmcnt(0)
	s_lshl_b32 s7, s7, 8
	v_add3_u32 v3, v3, v7, v6
	s_mul_i32 s21, s11, s7
	s_mul_hi_u32 s22, s10, s7
	s_mul_i32 s20, s10, s7
	s_add_i32 s21, s22, s21
	v_lshlrev_b64 v[6:7], 3, v[2:3]
	s_lshl_b64 s[20:21], s[20:21], 3
	s_add_u32 s22, s2, 0xff
	s_addc_u32 s23, 0, 0
	s_lshl_b64 s[24:25], s[2:3], 3
	v_add_co_u32 v8, s24, v8, s24
	v_add_co_ci_u32_e64 v9, null, 0, s25, s24
	v_add_co_u32 v10, vcc_lo, v8, 8
	v_add_co_ci_u32_e64 v11, null, 0, v9, vcc_lo
	v_add_co_u32 v74, vcc_lo, s12, v6
	v_add_co_ci_u32_e64 v75, null, s13, v7, vcc_lo
	;; [unrolled: 2-line block ×6, first 2 shown]
	v_add_co_u32 v19, vcc_lo, v8, 40
	v_mad_u64_u32 v[41:42], null, s10, v6, s[12:13]
	v_mul_lo_u32 v7, s10, v7
	v_mul_lo_u32 v15, s11, v6
	v_mad_u64_u32 v[55:56], null, s10, v6, s[14:15]
	v_add_co_ci_u32_e64 v20, null, 0, v9, vcc_lo
	v_add_co_u32 v22, vcc_lo, v8, 48
	v_add_co_ci_u32_e64 v24, null, 0, v9, vcc_lo
	v_add_co_u32 v8, vcc_lo, v8, 56
	v_mad_u64_u32 v[39:40], null, s10, v10, s[12:13]
	v_mul_lo_u32 v11, s10, v11
	v_mul_lo_u32 v12, s11, v10
	v_mad_u64_u32 v[53:54], null, s10, v10, s[14:15]
	v_add_co_ci_u32_e64 v9, null, 0, v9, vcc_lo
	v_add_co_u32 v6, vcc_lo, v4, 7
	v_add3_u32 v42, v15, v42, v7
	v_add3_u32 v56, v15, v56, v7
	v_add_co_ci_u32_e64 v7, null, 0, v5, vcc_lo
	v_mul_lo_u32 v26, s10, v9
	v_add_co_u32 v9, vcc_lo, v4, 6
	v_add3_u32 v40, v12, v40, v11
	v_add3_u32 v54, v12, v54, v11
	v_add_co_ci_u32_e64 v12, null, 0, v5, vcc_lo
	v_mul_lo_u32 v10, s11, v6
	v_mul_lo_u32 v11, s10, v7
	v_mad_u64_u32 v[6:7], null, s10, v6, 0
	v_mad_u64_u32 v[43:44], null, s10, v13, s[12:13]
	v_mul_lo_u32 v17, s11, v13
	v_mad_u64_u32 v[51:52], null, s10, v8, s[12:13]
	v_mul_lo_u32 v27, s11, v8
	v_mad_u64_u32 v[57:58], null, s10, v13, s[14:15]
	v_mad_u64_u32 v[65:66], null, s10, v8, s[14:15]
	v_mul_lo_u32 v13, s11, v9
	v_mul_lo_u32 v12, s10, v12
	v_mad_u64_u32 v[8:9], null, s10, v9, 0
	v_add3_u32 v7, v7, v11, v10
	v_add_co_u32 v10, vcc_lo, v4, 5
	v_add_co_ci_u32_e64 v11, null, 0, v5, vcc_lo
	v_lshlrev_b64 v[6:7], 3, v[6:7]
	v_add3_u32 v9, v9, v12, v13
	v_mul_lo_u32 v12, s11, v10
	v_mul_lo_u32 v13, s10, v11
	v_mad_u64_u32 v[10:11], null, s10, v10, 0
	v_lshlrev_b64 v[8:9], 3, v[8:9]
	v_add_co_u32 v78, vcc_lo, s12, v6
	v_add_co_ci_u32_e64 v79, null, s13, v7, vcc_lo
	v_add_co_u32 v80, vcc_lo, s14, v6
	v_add_co_ci_u32_e64 v81, null, s15, v7, vcc_lo
	;; [unrolled: 2-line block ×3, first 2 shown]
	v_add3_u32 v11, v11, v13, v12
	v_add_co_u32 v12, vcc_lo, v4, 4
	v_add_co_ci_u32_e64 v13, null, 0, v5, vcc_lo
	v_add_co_u32 v84, vcc_lo, s14, v8
	v_mul_lo_u32 v14, s10, v14
	v_add_co_ci_u32_e64 v85, null, s15, v9, vcc_lo
	v_lshlrev_b64 v[6:7], 3, v[10:11]
	v_mul_lo_u32 v10, s11, v12
	v_mul_lo_u32 v11, s10, v13
	v_mad_u64_u32 v[8:9], null, s10, v12, 0
	v_add_co_u32 v12, vcc_lo, v4, 3
	v_add_co_ci_u32_e64 v13, null, 0, v5, vcc_lo
	v_add_co_u32 v86, vcc_lo, s12, v6
	v_add3_u32 v44, v17, v44, v14
	v_add3_u32 v58, v17, v58, v14
	v_add_co_ci_u32_e64 v87, null, s13, v7, vcc_lo
	v_add3_u32 v9, v9, v11, v10
	v_mul_lo_u32 v14, s11, v12
	v_mad_u64_u32 v[10:11], null, s10, v12, 0
	v_add_co_u32 v12, vcc_lo, v4, 2
	v_mul_lo_u32 v13, s10, v13
	v_add_co_ci_u32_e64 v15, null, 0, v5, vcc_lo
	v_add_co_u32 v88, vcc_lo, s14, v6
	v_lshlrev_b64 v[4:5], 3, v[8:9]
	v_add_co_ci_u32_e64 v89, null, s15, v7, vcc_lo
	v_mul_lo_u32 v8, s11, v12
	v_mul_lo_u32 v9, s10, v15
	v_mad_u64_u32 v[6:7], null, s10, v12, 0
	v_add3_u32 v11, v11, v13, v14
	v_add_co_u32 v90, vcc_lo, s12, v4
	v_add_co_ci_u32_e64 v91, null, s13, v5, vcc_lo
	v_add_co_u32 v92, vcc_lo, s14, v4
	v_add_co_ci_u32_e64 v93, null, s15, v5, vcc_lo
	v_lshlrev_b64 v[4:5], 3, v[10:11]
	v_add3_u32 v7, v7, v9, v8
	v_add_co_u32 v2, vcc_lo, v2, s10
	v_add_co_ci_u32_e64 v3, null, s11, v3, vcc_lo
	v_lshlrev_b64 v[6:7], 3, v[6:7]
	v_add_co_u32 v94, vcc_lo, s12, v4
	v_add_co_ci_u32_e64 v95, null, s13, v5, vcc_lo
	v_add_co_u32 v96, vcc_lo, s14, v4
	v_lshlrev_b64 v[3:4], 3, v[2:3]
	v_mov_b32_e32 v2, 0
	v_mad_u64_u32 v[45:46], null, s10, v16, s[12:13]
	v_mul_lo_u32 v18, s10, v18
	v_mul_lo_u32 v21, s11, v16
	v_mad_u64_u32 v[47:48], null, s10, v19, s[12:13]
	v_mul_lo_u32 v20, s10, v20
	v_mul_lo_u32 v23, s11, v19
	;; [unrolled: 3-line block ×3, first 2 shown]
	v_mad_u64_u32 v[59:60], null, s10, v16, s[14:15]
	v_mad_u64_u32 v[61:62], null, s10, v19, s[14:15]
	;; [unrolled: 1-line block ×3, first 2 shown]
	v_add_co_ci_u32_e64 v97, null, s15, v5, vcc_lo
	v_add_co_u32 v98, vcc_lo, s12, v6
	v_add_co_ci_u32_e64 v99, null, s13, v7, vcc_lo
	v_add_co_u32 v100, vcc_lo, s14, v6
	v_add_nc_u32_e32 v5, s28, v0
	v_mov_b32_e32 v6, v2
	v_add_co_ci_u32_e64 v101, null, s15, v7, vcc_lo
	v_add_co_u32 v102, vcc_lo, s12, v3
	v_add_co_ci_u32_e64 v103, null, s13, v4, vcc_lo
	v_add_co_u32 v104, vcc_lo, s14, v3
	v_lshlrev_b64 v[67:68], 3, v[5:6]
	v_add3_u32 v46, v21, v46, v18
	v_add3_u32 v48, v23, v48, v20
	;; [unrolled: 1-line block ×8, first 2 shown]
	v_add_co_ci_u32_e64 v105, null, s15, v4, vcc_lo
	s_branch .LBB46_55
.LBB46_52:                              ;   in Loop: Header=BB46_55 Depth=1
	s_or_b32 exec_lo, exec_lo, s13
.LBB46_53:                              ;   in Loop: Header=BB46_55 Depth=1
	s_or_b32 exec_lo, exec_lo, s12
	v_add_co_u32 v7, vcc_lo, v76, v67
	v_add_co_ci_u32_e64 v8, null, v77, v68, vcc_lo
	v_add_co_u32 v9, vcc_lo, v53, v67
	v_add_co_ci_u32_e64 v10, null, v54, v68, vcc_lo
	global_load_dwordx2 v[7:8], v[7:8], off
	v_add_co_u32 v11, vcc_lo, v74, v67
	v_add_co_ci_u32_e64 v12, null, v75, v68, vcc_lo
	global_load_dwordx2 v[13:14], v[9:10], off
	global_load_dwordx2 v[9:10], v[11:12], off
	v_add_co_u32 v11, vcc_lo, v55, v67
	v_add_co_ci_u32_e64 v12, null, v56, v68, vcc_lo
	v_add_co_u32 v15, vcc_lo, v39, v67
	v_add_co_ci_u32_e64 v16, null, v40, v68, vcc_lo
	global_load_dwordx2 v[11:12], v[11:12], off
	global_load_dwordx2 v[15:16], v[15:16], off
	v_add_co_u32 v17, vcc_lo, v57, v67
	v_add_co_ci_u32_e64 v18, null, v58, v68, vcc_lo
	;; [unrolled: 6-line block ×5, first 2 shown]
	v_add_co_u32 v31, vcc_lo, v47, v67
	v_add_co_ci_u32_e64 v32, null, v48, v68, vcc_lo
	v_add_co_u32 v33, vcc_lo, v65, v67
	v_add_co_ci_u32_e64 v34, null, v66, v68, vcc_lo
	global_load_dwordx2 v[69:70], v[17:18], off
	global_load_dwordx2 v[31:32], v[31:32], off
	;; [unrolled: 1-line block ×3, first 2 shown]
	v_add_co_u32 v17, vcc_lo, v49, v67
	v_add_co_ci_u32_e64 v18, null, v50, v68, vcc_lo
	v_add_co_u32 v71, vcc_lo, v51, v67
	v_add_co_ci_u32_e64 v72, null, v52, v68, vcc_lo
	global_load_dwordx2 v[106:107], v[17:18], off
	global_load_dwordx2 v[17:18], v[71:72], off
	s_waitcnt vmcnt(17)
	ds_bpermute_b32 v71, v2, v5
	ds_bpermute_b32 v72, v2, v6
	ds_bpermute_b32 v108, v2, v5 offset:4
	ds_bpermute_b32 v109, v2, v6 offset:4
	;; [unrolled: 1-line block ×4, first 2 shown]
	s_waitcnt vmcnt(15) lgkmcnt(4)
	v_add_f64 v[7:8], v[7:8], -v[71:72]
	ds_bpermute_b32 v71, v2, v5 offset:8
	ds_bpermute_b32 v72, v2, v6 offset:8
	s_waitcnt vmcnt(14) lgkmcnt(4)
	v_add_f64 v[13:14], v[13:14], -v[108:109]
	ds_bpermute_b32 v108, v2, v3
	ds_bpermute_b32 v109, v2, v4
	s_waitcnt vmcnt(12) lgkmcnt(2)
	v_add_f64 v[11:12], v[11:12], -v[71:72]
	v_mul_f64 v[7:8], v[9:10], v[7:8]
	v_add_f64 v[9:10], v[37:38], v[9:10]
	ds_bpermute_b32 v37, v2, v5 offset:16
	ds_bpermute_b32 v38, v2, v6 offset:16
	s_waitcnt vmcnt(11)
	v_mul_f64 v[13:14], v[15:16], v[13:14]
	s_waitcnt vmcnt(10)
	v_add_f64 v[21:22], v[21:22], -v[110:111]
	s_waitcnt vmcnt(9)
	v_mul_f64 v[11:12], v[19:20], v[11:12]
	s_waitcnt lgkmcnt(2)
	v_fma_f64 v[7:8], v[7:8], v[108:109], v[35:36]
	ds_bpermute_b32 v35, v2, v3 offset:4
	ds_bpermute_b32 v36, v2, v4 offset:4
	v_add_f64 v[9:10], v[9:10], v[15:16]
	s_waitcnt vmcnt(8) lgkmcnt(2)
	v_add_f64 v[25:26], v[25:26], -v[37:38]
	ds_bpermute_b32 v15, v2, v5 offset:20
	s_waitcnt vmcnt(7)
	v_mul_f64 v[21:22], v[23:24], v[21:22]
	ds_bpermute_b32 v16, v2, v6 offset:20
	s_waitcnt lgkmcnt(2)
	v_fma_f64 v[7:8], v[13:14], v[35:36], v[7:8]
	ds_bpermute_b32 v13, v2, v3 offset:8
	ds_bpermute_b32 v14, v2, v4 offset:8
	v_add_f64 v[9:10], v[9:10], v[19:20]
	s_waitcnt vmcnt(5)
	v_mul_f64 v[25:26], v[27:28], v[25:26]
	s_waitcnt lgkmcnt(2)
	v_add_f64 v[15:16], v[29:30], -v[15:16]
	ds_bpermute_b32 v19, v2, v3 offset:16
	ds_bpermute_b32 v20, v2, v4 offset:16
	s_waitcnt lgkmcnt(2)
	v_fma_f64 v[7:8], v[11:12], v[13:14], v[7:8]
	ds_bpermute_b32 v11, v2, v3 offset:12
	ds_bpermute_b32 v12, v2, v4 offset:12
	v_add_f64 v[9:10], v[9:10], v[23:24]
	ds_bpermute_b32 v13, v2, v5 offset:24
	ds_bpermute_b32 v14, v2, v6 offset:24
	;; [unrolled: 1-line block ×4, first 2 shown]
	s_waitcnt vmcnt(3)
	v_mul_f64 v[15:16], v[31:32], v[15:16]
	s_waitcnt lgkmcnt(4)
	v_fma_f64 v[7:8], v[21:22], v[11:12], v[7:8]
	ds_bpermute_b32 v11, v2, v3 offset:20
	ds_bpermute_b32 v12, v2, v4 offset:20
	s_waitcnt lgkmcnt(4)
	v_add_f64 v[13:14], v[69:70], -v[13:14]
	v_add_f64 v[9:10], v[9:10], v[27:28]
	s_waitcnt vmcnt(2) lgkmcnt(2)
	v_add_f64 v[5:6], v[33:34], -v[5:6]
	v_fma_f64 v[7:8], v[25:26], v[19:20], v[7:8]
	ds_bpermute_b32 v19, v2, v3 offset:24
	ds_bpermute_b32 v20, v2, v4 offset:24
	s_waitcnt vmcnt(1)
	v_mul_f64 v[13:14], v[106:107], v[13:14]
	v_add_f64 v[9:10], v[9:10], v[31:32]
	s_waitcnt vmcnt(0)
	v_mul_f64 v[5:6], v[17:18], v[5:6]
	s_waitcnt lgkmcnt(2)
	v_fma_f64 v[7:8], v[15:16], v[11:12], v[7:8]
	ds_bpermute_b32 v11, v2, v3 offset:28
	ds_bpermute_b32 v12, v2, v4 offset:28
	v_add_f64 v[3:4], v[9:10], v[106:107]
	s_waitcnt lgkmcnt(0)
	v_mul_f64 v[5:6], v[5:6], v[11:12]
	v_fma_f64 v[7:8], v[13:14], v[19:20], v[7:8]
.LBB46_54:                              ;   in Loop: Header=BB46_55 Depth=1
	v_add_co_u32 v74, vcc_lo, v74, s20
	v_add_co_ci_u32_e64 v75, null, s21, v75, vcc_lo
	v_add_co_u32 v76, vcc_lo, v76, s20
	v_add_co_ci_u32_e64 v77, null, s21, v77, vcc_lo
	;; [unrolled: 2-line block ×21, first 2 shown]
	v_add_co_u32 v88, vcc_lo, v88, s20
	v_add_f64 v[35:36], v[7:8], v[5:6]
	v_add_f64 v[37:38], v[3:4], v[17:18]
	v_add_co_ci_u32_e64 v89, null, s21, v89, vcc_lo
	v_add_co_u32 v90, vcc_lo, v90, s20
	v_add_co_ci_u32_e64 v91, null, s21, v91, vcc_lo
	v_add_co_u32 v92, vcc_lo, v92, s20
	;; [unrolled: 2-line block ×5, first 2 shown]
	s_add_u32 s2, s2, s7
	v_add_co_ci_u32_e64 v99, null, s21, v99, vcc_lo
	v_add_co_u32 v100, vcc_lo, v100, s20
	s_addc_u32 s3, s3, 0
	v_add_co_ci_u32_e64 v101, null, s21, v101, vcc_lo
	v_add_co_u32 v102, vcc_lo, v102, s20
	v_cmp_ge_i64_e64 s12, s[2:3], s[8:9]
	v_add_co_ci_u32_e64 v103, null, s21, v103, vcc_lo
	v_add_co_u32 v104, vcc_lo, v104, s20
	v_add_co_ci_u32_e64 v105, null, s21, v105, vcc_lo
	s_add_u32 s22, s22, s7
	s_addc_u32 s23, s23, 0
	s_and_b32 vcc_lo, exec_lo, s12
	s_cbranch_vccnz .LBB46_81
.LBB46_55:                              ; =>This Inner Loop Header: Depth=1
	v_cmp_ge_i64_e64 s12, s[22:23], s[8:9]
	v_add_co_u32 v106, s13, v73, s22
	v_add_co_ci_u32_e64 v107, null, 0, s23, s13
                                        ; implicit-def: $vgpr17_vgpr18
                                        ; implicit-def: $vgpr5_vgpr6
                                        ; implicit-def: $vgpr3_vgpr4
                                        ; implicit-def: $vgpr7_vgpr8
	s_and_b32 vcc_lo, exec_lo, s12
	s_mov_b32 s12, -1
	s_cbranch_vccz .LBB46_77
; %bb.56:                               ;   in Loop: Header=BB46_55 Depth=1
	s_load_dword s12, s[0:1], 0xc
	v_mov_b32_e32 v69, 0
	v_mov_b32_e32 v71, 0
	;; [unrolled: 1-line block ×4, first 2 shown]
	s_waitcnt lgkmcnt(0)
	s_and_b32 s12, s12, 0xffff
	v_mad_u32_u24 v3, v1, s12, v0
	s_mov_b32 s12, exec_lo
	v_and_b32_e32 v3, 31, v3
	v_cmpx_gt_u32_e32 8, v3
	s_cbranch_execz .LBB46_60
; %bb.57:                               ;   in Loop: Header=BB46_55 Depth=1
	v_add_co_u32 v3, vcc_lo, v106, v3
	v_add_co_ci_u32_e64 v4, null, 0, v107, vcc_lo
	v_mov_b32_e32 v71, 0
	v_add_co_u32 v3, vcc_lo, 0xffffff01, v3
	v_mov_b32_e32 v69, 0
	v_add_co_ci_u32_e64 v4, null, -1, v4, vcc_lo
	v_mov_b32_e32 v72, 0
	v_mov_b32_e32 v70, 0
	s_mov_b32 s13, exec_lo
	v_cmpx_gt_i64_e64 s[8:9], v[3:4]
	s_cbranch_execz .LBB46_59
; %bb.58:                               ;   in Loop: Header=BB46_55 Depth=1
	v_lshlrev_b64 v[3:4], 3, v[3:4]
	v_add_co_u32 v5, vcc_lo, s16, v3
	v_add_co_ci_u32_e64 v6, null, s17, v4, vcc_lo
	v_add_co_u32 v3, vcc_lo, s18, v3
	v_add_co_ci_u32_e64 v4, null, s19, v4, vcc_lo
	global_load_dwordx2 v[71:72], v[5:6], off
	global_load_dwordx2 v[69:70], v[3:4], off
.LBB46_59:                              ;   in Loop: Header=BB46_55 Depth=1
	s_or_b32 exec_lo, exec_lo, s13
.LBB46_60:                              ;   in Loop: Header=BB46_55 Depth=1
	s_or_b32 exec_lo, exec_lo, s12
	v_add_co_u32 v18, vcc_lo, 0xffffff01, v106
	v_add_co_ci_u32_e64 v19, null, -1, v107, vcc_lo
	v_mov_b32_e32 v17, v2
	v_mov_b32_e32 v3, v2
	;; [unrolled: 1-line block ×15, first 2 shown]
	v_cmp_gt_i64_e32 vcc_lo, s[8:9], v[18:19]
	v_mov_b32_e32 v34, v17
	v_mov_b32_e32 v31, v14
	;; [unrolled: 1-line block ×32, first 2 shown]
	s_and_saveexec_b32 s12, vcc_lo
	s_cbranch_execz .LBB46_62
; %bb.61:                               ;   in Loop: Header=BB46_55 Depth=1
	v_add_co_u32 v3, vcc_lo, v74, v67
	v_add_co_ci_u32_e64 v4, null, v75, v68, vcc_lo
	v_add_co_u32 v5, vcc_lo, v76, v67
	v_add_co_ci_u32_e64 v6, null, v77, v68, vcc_lo
	global_load_dwordx2 v[3:4], v[3:4], off
	global_load_dwordx2 v[19:20], v[5:6], off
	v_mov_b32_e32 v5, v2
	v_mov_b32_e32 v6, v2
	;; [unrolled: 1-line block ×28, first 2 shown]
.LBB46_62:                              ;   in Loop: Header=BB46_55 Depth=1
	s_or_b32 exec_lo, exec_lo, s12
	v_add_co_u32 v108, vcc_lo, 0xffffff02, v106
	v_add_co_ci_u32_e64 v109, null, -1, v107, vcc_lo
	s_mov_b32 s12, exec_lo
	v_cmpx_gt_i64_e64 s[8:9], v[108:109]
	s_cbranch_execz .LBB46_64
; %bb.63:                               ;   in Loop: Header=BB46_55 Depth=1
	v_add_co_u32 v5, vcc_lo, v102, v67
	v_add_co_ci_u32_e64 v6, null, v103, v68, vcc_lo
	v_add_co_u32 v21, vcc_lo, v104, v67
	v_add_co_ci_u32_e64 v22, null, v105, v68, vcc_lo
	global_load_dwordx2 v[5:6], v[5:6], off
	global_load_dwordx2 v[21:22], v[21:22], off
.LBB46_64:                              ;   in Loop: Header=BB46_55 Depth=1
	s_or_b32 exec_lo, exec_lo, s12
	v_add_co_u32 v108, vcc_lo, 0xffffff03, v106
	v_add_co_ci_u32_e64 v109, null, -1, v107, vcc_lo
	s_mov_b32 s12, exec_lo
	v_cmpx_gt_i64_e64 s[8:9], v[108:109]
	s_cbranch_execz .LBB46_66
; %bb.65:                               ;   in Loop: Header=BB46_55 Depth=1
	v_add_co_u32 v7, vcc_lo, v98, v67
	v_add_co_ci_u32_e64 v8, null, v99, v68, vcc_lo
	v_add_co_u32 v23, vcc_lo, v100, v67
	v_add_co_ci_u32_e64 v24, null, v101, v68, vcc_lo
	global_load_dwordx2 v[7:8], v[7:8], off
	global_load_dwordx2 v[23:24], v[23:24], off
.LBB46_66:                              ;   in Loop: Header=BB46_55 Depth=1
	;; [unrolled: 14-line block ×7, first 2 shown]
	s_or_b32 exec_lo, exec_lo, s12
	s_waitcnt vmcnt(1)
	ds_bpermute_b32 v108, v2, v71
	ds_bpermute_b32 v109, v2, v72
	ds_bpermute_b32 v110, v2, v71 offset:4
	ds_bpermute_b32 v111, v2, v72 offset:4
	;; [unrolled: 1-line block ×4, first 2 shown]
	s_mov_b32 s12, 0
	s_waitcnt vmcnt(0) lgkmcnt(4)
	v_add_f64 v[19:20], v[19:20], -v[108:109]
	ds_bpermute_b32 v108, v2, v71 offset:8
	s_waitcnt lgkmcnt(3)
	v_add_f64 v[21:22], v[21:22], -v[110:111]
	ds_bpermute_b32 v109, v2, v72 offset:8
	ds_bpermute_b32 v110, v2, v69
	ds_bpermute_b32 v111, v2, v70
	s_waitcnt lgkmcnt(4)
	v_add_f64 v[25:26], v[25:26], -v[112:113]
	v_mul_f64 v[19:20], v[3:4], v[19:20]
	v_add_f64 v[3:4], v[37:38], v[3:4]
	s_waitcnt lgkmcnt(2)
	v_add_f64 v[23:24], v[23:24], -v[108:109]
	v_mul_f64 v[21:22], v[5:6], v[21:22]
	ds_bpermute_b32 v108, v2, v69 offset:4
	ds_bpermute_b32 v109, v2, v70 offset:4
	v_mul_f64 v[25:26], v[9:10], v[25:26]
	s_waitcnt lgkmcnt(2)
	v_fma_f64 v[19:20], v[19:20], v[110:111], v[35:36]
	v_add_f64 v[3:4], v[5:6], v[3:4]
	v_mul_f64 v[5:6], v[7:8], v[23:24]
	ds_bpermute_b32 v110, v2, v71 offset:16
	ds_bpermute_b32 v111, v2, v72 offset:16
	;; [unrolled: 1-line block ×4, first 2 shown]
	s_waitcnt lgkmcnt(4)
	v_fma_f64 v[19:20], v[21:22], v[108:109], v[19:20]
	ds_bpermute_b32 v21, v2, v69 offset:8
	ds_bpermute_b32 v22, v2, v70 offset:8
	s_waitcnt lgkmcnt(4)
	v_add_f64 v[27:28], v[27:28], -v[110:111]
	v_add_f64 v[3:4], v[7:8], v[3:4]
	ds_bpermute_b32 v7, v2, v69 offset:12
	ds_bpermute_b32 v8, v2, v70 offset:12
	s_waitcnt lgkmcnt(4)
	v_add_f64 v[23:24], v[29:30], -v[23:24]
	s_waitcnt lgkmcnt(2)
	v_fma_f64 v[5:6], v[5:6], v[21:22], v[19:20]
	ds_bpermute_b32 v19, v2, v69 offset:16
	ds_bpermute_b32 v21, v2, v71 offset:24
	v_mul_f64 v[27:28], v[11:12], v[27:28]
	v_add_f64 v[3:4], v[9:10], v[3:4]
	ds_bpermute_b32 v22, v2, v72 offset:24
	ds_bpermute_b32 v20, v2, v70 offset:16
	v_mul_f64 v[23:24], v[13:14], v[23:24]
	ds_bpermute_b32 v9, v2, v69 offset:20
	ds_bpermute_b32 v10, v2, v70 offset:20
	s_waitcnt lgkmcnt(6)
	v_fma_f64 v[5:6], v[25:26], v[7:8], v[5:6]
	ds_bpermute_b32 v7, v2, v71 offset:28
	ds_bpermute_b32 v8, v2, v72 offset:28
	s_waitcnt lgkmcnt(5)
	v_add_f64 v[21:22], v[31:32], -v[21:22]
	v_add_f64 v[3:4], v[11:12], v[3:4]
	ds_bpermute_b32 v11, v2, v69 offset:24
	ds_bpermute_b32 v12, v2, v70 offset:24
	s_waitcnt lgkmcnt(2)
	v_add_f64 v[7:8], v[33:34], -v[7:8]
	v_fma_f64 v[5:6], v[27:28], v[19:20], v[5:6]
	v_mul_f64 v[19:20], v[15:16], v[21:22]
	v_add_f64 v[3:4], v[13:14], v[3:4]
	ds_bpermute_b32 v13, v2, v69 offset:28
	ds_bpermute_b32 v14, v2, v70 offset:28
	v_fma_f64 v[5:6], v[23:24], v[9:10], v[5:6]
	v_mul_f64 v[9:10], v[17:18], v[7:8]
	v_add_f64 v[3:4], v[15:16], v[3:4]
	s_waitcnt lgkmcnt(2)
	v_fma_f64 v[7:8], v[19:20], v[11:12], v[5:6]
	s_waitcnt lgkmcnt(0)
	v_mul_f64 v[5:6], v[9:10], v[13:14]
.LBB46_77:                              ;   in Loop: Header=BB46_55 Depth=1
	s_and_b32 vcc_lo, exec_lo, s12
	s_cbranch_vccz .LBB46_54
; %bb.78:                               ;   in Loop: Header=BB46_55 Depth=1
	s_load_dword s12, s[0:1], 0x0
	v_mov_b32_e32 v5, 0
	v_mov_b32_e32 v6, 0
	s_waitcnt lgkmcnt(0)
	s_cmp_lt_u32 s6, s12
	s_cselect_b32 s12, 12, 18
	s_add_u32 s12, s0, s12
	s_addc_u32 s13, s1, 0
	global_load_ushort v3, v2, s[12:13]
	s_mov_b32 s12, exec_lo
	s_waitcnt vmcnt(0)
	v_mad_u32_u24 v3, v1, v3, v0
	v_and_b32_e32 v7, 31, v3
	v_mov_b32_e32 v3, 0
	v_mov_b32_e32 v4, 0
	v_cmpx_gt_u32_e32 8, v7
	s_cbranch_execz .LBB46_53
; %bb.79:                               ;   in Loop: Header=BB46_55 Depth=1
	v_add_co_u32 v3, vcc_lo, v106, v7
	v_add_co_ci_u32_e64 v4, null, 0, v107, vcc_lo
	v_mov_b32_e32 v5, 0
	v_add_co_u32 v7, vcc_lo, 0xffffff01, v3
	v_add_co_ci_u32_e64 v8, null, -1, v4, vcc_lo
	v_mov_b32_e32 v3, 0
	v_mov_b32_e32 v6, 0
	;; [unrolled: 1-line block ×3, first 2 shown]
	s_mov_b32 s13, exec_lo
	v_cmpx_gt_i64_e64 s[8:9], v[7:8]
	s_cbranch_execz .LBB46_52
; %bb.80:                               ;   in Loop: Header=BB46_55 Depth=1
	v_lshlrev_b64 v[3:4], 3, v[7:8]
	v_add_co_u32 v5, vcc_lo, s16, v3
	v_add_co_ci_u32_e64 v6, null, s17, v4, vcc_lo
	v_add_co_u32 v3, vcc_lo, s18, v3
	v_add_co_ci_u32_e64 v4, null, s19, v4, vcc_lo
	global_load_dwordx2 v[5:6], v[5:6], off
	global_load_dwordx2 v[3:4], v[3:4], off
	s_branch .LBB46_52
.LBB46_81:
	v_mad_u32_u24 v2, v1, 33, v0
	v_lshrrev_b32_e32 v3, 5, v0
	s_mov_b32 s7, 0
	s_mov_b32 s0, exec_lo
	v_lshl_add_u32 v2, v2, 3, 0
	v_add_nc_u32_e32 v9, v3, v1
	ds_write_b64 v2, v[35:36]
	ds_write_b64 v2, v[37:38] offset:8448
	s_waitcnt lgkmcnt(0)
	s_barrier
	buffer_gl0_inv
	v_cmpx_gt_u32_e32 32, v9
	s_cbranch_execz .LBB46_87
; %bb.82:
	v_and_b32_e32 v1, 31, v0
	v_mbcnt_lo_u32_b32 v10, -1, 0
	s_lshl_b64 s[0:1], s[6:7], 5
	v_mad_u32_u24 v1, v1, 33, v9
	v_xor_b32_e32 v5, 16, v10
	v_or_b32_e32 v9, s0, v9
	v_cmp_eq_u32_e64 s0, 0, v0
	v_lshl_add_u32 v3, v1, 3, 0
	v_cmp_gt_i32_e32 vcc_lo, 32, v5
	ds_read_b64 v[1:2], v3
	ds_read_b64 v[3:4], v3 offset:8448
	v_cndmask_b32_e32 v5, v10, v5, vcc_lo
	v_lshlrev_b32_e32 v8, 2, v5
	s_waitcnt lgkmcnt(1)
	ds_bpermute_b32 v5, v8, v1
	ds_bpermute_b32 v6, v8, v2
	s_waitcnt lgkmcnt(2)
	ds_bpermute_b32 v7, v8, v3
	ds_bpermute_b32 v8, v8, v4
	s_waitcnt lgkmcnt(2)
	v_add_f64 v[1:2], v[1:2], v[5:6]
	v_xor_b32_e32 v5, 8, v10
	s_waitcnt lgkmcnt(0)
	v_add_f64 v[3:4], v[3:4], v[7:8]
	v_cmp_gt_i32_e32 vcc_lo, 32, v5
	v_cndmask_b32_e32 v5, v10, v5, vcc_lo
	v_lshlrev_b32_e32 v8, 2, v5
	ds_bpermute_b32 v5, v8, v1
	ds_bpermute_b32 v6, v8, v2
	ds_bpermute_b32 v7, v8, v3
	ds_bpermute_b32 v8, v8, v4
	s_waitcnt lgkmcnt(2)
	v_add_f64 v[1:2], v[1:2], v[5:6]
	v_xor_b32_e32 v5, 4, v10
	s_waitcnt lgkmcnt(0)
	v_add_f64 v[3:4], v[3:4], v[7:8]
	v_cmp_gt_i32_e32 vcc_lo, 32, v5
	v_cndmask_b32_e32 v5, v10, v5, vcc_lo
	v_lshlrev_b32_e32 v8, 2, v5
	ds_bpermute_b32 v5, v8, v1
	ds_bpermute_b32 v6, v8, v2
	;; [unrolled: 12-line block ×3, first 2 shown]
	ds_bpermute_b32 v7, v8, v3
	ds_bpermute_b32 v8, v8, v4
	s_waitcnt lgkmcnt(2)
	v_add_f64 v[5:6], v[1:2], v[5:6]
	s_waitcnt lgkmcnt(0)
	v_add_f64 v[1:2], v[3:4], v[7:8]
	v_xor_b32_e32 v3, 1, v10
	v_cmp_gt_i32_e32 vcc_lo, 32, v3
	v_cndmask_b32_e32 v3, v10, v3, vcc_lo
	v_mov_b32_e32 v10, s1
	v_lshlrev_b32_e32 v4, 2, v3
	v_cmp_gt_i64_e32 vcc_lo, s[10:11], v[9:10]
	ds_bpermute_b32 v7, v4, v5
	ds_bpermute_b32 v8, v4, v6
	ds_bpermute_b32 v3, v4, v1
	ds_bpermute_b32 v4, v4, v2
	s_and_b32 s0, s0, vcc_lo
	s_and_b32 exec_lo, exec_lo, s0
	s_cbranch_execz .LBB46_87
; %bb.83:
	s_load_dwordx4 s[0:3], s[4:5], 0x30
	v_lshlrev_b64 v[9:10], 3, v[9:10]
	s_waitcnt lgkmcnt(0)
	s_cmp_eq_u64 s[0:1], 0
	s_cbranch_scc1 .LBB46_85
; %bb.84:
	v_add_f64 v[5:6], v[5:6], v[7:8]
	v_add_co_u32 v7, vcc_lo, s0, v9
	v_add_co_ci_u32_e64 v8, null, s1, v10, vcc_lo
	global_store_dwordx2 v[7:8], v[5:6], off
.LBB46_85:
	s_cmp_eq_u64 s[2:3], 0
	s_cbranch_scc1 .LBB46_87
; %bb.86:
	v_add_f64 v[0:1], v[1:2], v[3:4]
	v_add_co_u32 v2, vcc_lo, s2, v9
	v_add_co_ci_u32_e64 v3, null, s3, v10, vcc_lo
	global_store_dwordx2 v[2:3], v[0:1], off
.LBB46_87:
	s_endpgm
	.section	.rodata,"a",@progbits
	.p2align	6, 0x0
	.amdhsa_kernel _ZN2at6native12_GLOBAL__N_135GammaBetaBackwardCUDAKernelTemplateIddLj32ELj32ELj256ELb0ELb0ELb0EEEvllPKT_S5_PKT0_S8_PS3_S9_
		.amdhsa_group_segment_fixed_size 0
		.amdhsa_private_segment_fixed_size 0
		.amdhsa_kernarg_size 320
		.amdhsa_user_sgpr_count 6
		.amdhsa_user_sgpr_private_segment_buffer 1
		.amdhsa_user_sgpr_dispatch_ptr 0
		.amdhsa_user_sgpr_queue_ptr 0
		.amdhsa_user_sgpr_kernarg_segment_ptr 1
		.amdhsa_user_sgpr_dispatch_id 0
		.amdhsa_user_sgpr_flat_scratch_init 0
		.amdhsa_user_sgpr_private_segment_size 0
		.amdhsa_wavefront_size32 1
		.amdhsa_uses_dynamic_stack 0
		.amdhsa_system_sgpr_private_segment_wavefront_offset 0
		.amdhsa_system_sgpr_workgroup_id_x 1
		.amdhsa_system_sgpr_workgroup_id_y 1
		.amdhsa_system_sgpr_workgroup_id_z 0
		.amdhsa_system_sgpr_workgroup_info 0
		.amdhsa_system_vgpr_workitem_id 1
		.amdhsa_next_free_vgpr 114
		.amdhsa_next_free_sgpr 32
		.amdhsa_reserve_vcc 1
		.amdhsa_reserve_flat_scratch 0
		.amdhsa_float_round_mode_32 0
		.amdhsa_float_round_mode_16_64 0
		.amdhsa_float_denorm_mode_32 3
		.amdhsa_float_denorm_mode_16_64 3
		.amdhsa_dx10_clamp 1
		.amdhsa_ieee_mode 1
		.amdhsa_fp16_overflow 0
		.amdhsa_workgroup_processor_mode 1
		.amdhsa_memory_ordered 1
		.amdhsa_forward_progress 1
		.amdhsa_shared_vgpr_count 0
		.amdhsa_exception_fp_ieee_invalid_op 0
		.amdhsa_exception_fp_denorm_src 0
		.amdhsa_exception_fp_ieee_div_zero 0
		.amdhsa_exception_fp_ieee_overflow 0
		.amdhsa_exception_fp_ieee_underflow 0
		.amdhsa_exception_fp_ieee_inexact 0
		.amdhsa_exception_int_div_zero 0
	.end_amdhsa_kernel
	.section	.text._ZN2at6native12_GLOBAL__N_135GammaBetaBackwardCUDAKernelTemplateIddLj32ELj32ELj256ELb0ELb0ELb0EEEvllPKT_S5_PKT0_S8_PS3_S9_,"axG",@progbits,_ZN2at6native12_GLOBAL__N_135GammaBetaBackwardCUDAKernelTemplateIddLj32ELj32ELj256ELb0ELb0ELb0EEEvllPKT_S5_PKT0_S8_PS3_S9_,comdat
.Lfunc_end46:
	.size	_ZN2at6native12_GLOBAL__N_135GammaBetaBackwardCUDAKernelTemplateIddLj32ELj32ELj256ELb0ELb0ELb0EEEvllPKT_S5_PKT0_S8_PS3_S9_, .Lfunc_end46-_ZN2at6native12_GLOBAL__N_135GammaBetaBackwardCUDAKernelTemplateIddLj32ELj32ELj256ELb0ELb0ELb0EEEvllPKT_S5_PKT0_S8_PS3_S9_
                                        ; -- End function
	.set _ZN2at6native12_GLOBAL__N_135GammaBetaBackwardCUDAKernelTemplateIddLj32ELj32ELj256ELb0ELb0ELb0EEEvllPKT_S5_PKT0_S8_PS3_S9_.num_vgpr, 114
	.set _ZN2at6native12_GLOBAL__N_135GammaBetaBackwardCUDAKernelTemplateIddLj32ELj32ELj256ELb0ELb0ELb0EEEvllPKT_S5_PKT0_S8_PS3_S9_.num_agpr, 0
	.set _ZN2at6native12_GLOBAL__N_135GammaBetaBackwardCUDAKernelTemplateIddLj32ELj32ELj256ELb0ELb0ELb0EEEvllPKT_S5_PKT0_S8_PS3_S9_.numbered_sgpr, 32
	.set _ZN2at6native12_GLOBAL__N_135GammaBetaBackwardCUDAKernelTemplateIddLj32ELj32ELj256ELb0ELb0ELb0EEEvllPKT_S5_PKT0_S8_PS3_S9_.num_named_barrier, 0
	.set _ZN2at6native12_GLOBAL__N_135GammaBetaBackwardCUDAKernelTemplateIddLj32ELj32ELj256ELb0ELb0ELb0EEEvllPKT_S5_PKT0_S8_PS3_S9_.private_seg_size, 0
	.set _ZN2at6native12_GLOBAL__N_135GammaBetaBackwardCUDAKernelTemplateIddLj32ELj32ELj256ELb0ELb0ELb0EEEvllPKT_S5_PKT0_S8_PS3_S9_.uses_vcc, 1
	.set _ZN2at6native12_GLOBAL__N_135GammaBetaBackwardCUDAKernelTemplateIddLj32ELj32ELj256ELb0ELb0ELb0EEEvllPKT_S5_PKT0_S8_PS3_S9_.uses_flat_scratch, 0
	.set _ZN2at6native12_GLOBAL__N_135GammaBetaBackwardCUDAKernelTemplateIddLj32ELj32ELj256ELb0ELb0ELb0EEEvllPKT_S5_PKT0_S8_PS3_S9_.has_dyn_sized_stack, 0
	.set _ZN2at6native12_GLOBAL__N_135GammaBetaBackwardCUDAKernelTemplateIddLj32ELj32ELj256ELb0ELb0ELb0EEEvllPKT_S5_PKT0_S8_PS3_S9_.has_recursion, 0
	.set _ZN2at6native12_GLOBAL__N_135GammaBetaBackwardCUDAKernelTemplateIddLj32ELj32ELj256ELb0ELb0ELb0EEEvllPKT_S5_PKT0_S8_PS3_S9_.has_indirect_call, 0
	.section	.AMDGPU.csdata,"",@progbits
; Kernel info:
; codeLenInByte = 10004
; TotalNumSgprs: 34
; NumVgprs: 114
; ScratchSize: 0
; MemoryBound: 1
; FloatMode: 240
; IeeeMode: 1
; LDSByteSize: 0 bytes/workgroup (compile time only)
; SGPRBlocks: 0
; VGPRBlocks: 14
; NumSGPRsForWavesPerEU: 34
; NumVGPRsForWavesPerEU: 114
; Occupancy: 8
; WaveLimiterHint : 0
; COMPUTE_PGM_RSRC2:SCRATCH_EN: 0
; COMPUTE_PGM_RSRC2:USER_SGPR: 6
; COMPUTE_PGM_RSRC2:TRAP_HANDLER: 0
; COMPUTE_PGM_RSRC2:TGID_X_EN: 1
; COMPUTE_PGM_RSRC2:TGID_Y_EN: 1
; COMPUTE_PGM_RSRC2:TGID_Z_EN: 0
; COMPUTE_PGM_RSRC2:TIDIG_COMP_CNT: 1
	.section	.text._ZN2at6native12_GLOBAL__N_118cuComputeGradInputIffLb0EEEvPKT_S5_llPKT0_S8_S5_PS3_,"axG",@progbits,_ZN2at6native12_GLOBAL__N_118cuComputeGradInputIffLb0EEEvPKT_S5_llPKT0_S8_S5_PS3_,comdat
	.globl	_ZN2at6native12_GLOBAL__N_118cuComputeGradInputIffLb0EEEvPKT_S5_llPKT0_S8_S5_PS3_ ; -- Begin function _ZN2at6native12_GLOBAL__N_118cuComputeGradInputIffLb0EEEvPKT_S5_llPKT0_S8_S5_PS3_
	.p2align	8
	.type	_ZN2at6native12_GLOBAL__N_118cuComputeGradInputIffLb0EEEvPKT_S5_llPKT0_S8_S5_PS3_,@function
_ZN2at6native12_GLOBAL__N_118cuComputeGradInputIffLb0EEEvPKT_S5_llPKT0_S8_S5_PS3_: ; @_ZN2at6native12_GLOBAL__N_118cuComputeGradInputIffLb0EEEvPKT_S5_llPKT0_S8_S5_PS3_
; %bb.0:
	s_load_dwordx4 s[16:19], s[4:5], 0x10
	s_mov_b32 s6, s7
	s_ashr_i32 s7, s7, 31
	s_waitcnt lgkmcnt(0)
	v_cmp_le_i64_e64 s0, s[16:17], s[6:7]
	s_and_b32 vcc_lo, exec_lo, s0
	s_cbranch_vccnz .LBB47_47
; %bb.1:
	s_clause 0x1
	s_load_dword s0, s[4:5], 0x4c
	s_load_dwordx8 s[8:15], s[4:5], 0x20
	s_flbit_i32 s1, s19
	s_clause 0x1
	s_load_dword s31, s[4:5], 0x44
	s_load_dwordx4 s[20:23], s[4:5], 0x0
	v_mov_b32_e32 v3, 0
	v_cmp_gt_i64_e64 s33, s[18:19], 0
	v_lshlrev_b32_e32 v8, 3, v0
	v_mbcnt_lo_u32_b32 v14, -1, 0
	v_cndmask_b32_e64 v13, 0, 1, s33
	v_add_nc_u32_e32 v17, 0, v8
	s_waitcnt lgkmcnt(0)
	s_lshr_b32 s26, s0, 16
	s_and_b32 s27, s0, 0xffff
	s_cmp_lg_u64 s[12:13], 0
	s_mul_i32 s34, s26, s27
	s_cselect_b32 s28, -1, 0
	s_cmp_gt_u32 s27, 1
	s_cselect_b32 s29, -1, 0
	s_cmp_gt_u32 s26, 1
	s_cselect_b32 s30, -1, 0
	s_xor_b32 s0, s18, s19
	s_add_i32 s1, s1, -1
	s_ashr_i32 s0, s0, 31
	s_ashr_i32 s35, s34, 31
	s_add_i32 s0, s0, 32
	s_min_u32 s2, s1, s0
	s_lshl_b64 s[0:1], s[18:19], s2
	s_min_u32 s0, s0, 1
	s_or_b32 s0, s1, s0
	v_cmp_ne_u32_e64 s1, 0, v1
	v_cvt_f32_i32_e32 v2, s0
	s_sub_i32 s0, 32, s2
	v_ldexp_f32 v12, v2, s0
	v_cmp_eq_u32_e64 s0, 0, v1
	v_div_scale_f32 v4, null, v12, v12, 1.0
	v_div_scale_f32 v6, vcc_lo, 1.0, v12, 1.0
	v_rcp_f32_e32 v5, v4
	v_fma_f32 v2, -v4, v5, 1.0
	v_fmac_f32_e32 v5, v2, v5
	v_mad_u32_u24 v2, v1, s27, v0
	v_mul_f32_e32 v7, v6, v5
	v_lshlrev_b32_e32 v10, 3, v2
	v_cmp_gt_i64_e64 s2, s[18:19], v[2:3]
	v_fma_f32 v9, -v4, v7, v6
	v_add_nc_u32_e32 v15, 0, v10
	v_fmac_f32_e32 v7, v9, v5
	v_add_nc_u32_e32 v9, s34, v2
	v_fma_f32 v4, -v4, v7, v6
	v_ashrrev_i32_e32 v6, 31, v9
	v_div_fmas_f32 v7, v4, v5, v7
	v_sub_co_u32 v4, vcc_lo, v9, s34
	v_subrev_co_ci_u32_e64 v5, null, s35, v6, vcc_lo
	v_div_fixup_f32 v16, v7, v12, 1.0
	s_branch .LBB47_4
.LBB47_2:                               ;   in Loop: Header=BB47_4 Depth=1
	s_inst_prefetch 0x2
	s_or_b32 exec_lo, exec_lo, s24
.LBB47_3:                               ;   in Loop: Header=BB47_4 Depth=1
	s_add_i32 s6, s31, s6
	s_waitcnt_vscnt null, 0x0
	s_ashr_i32 s7, s6, 31
	s_barrier
	v_cmp_le_i64_e64 s3, s[16:17], s[6:7]
	buffer_gl0_inv
	s_and_b32 vcc_lo, exec_lo, s3
	s_cbranch_vccnz .LBB47_47
.LBB47_4:                               ; =>This Loop Header: Depth=1
                                        ;     Child Loop BB47_8 Depth 2
                                        ;     Child Loop BB47_19 Depth 2
	;; [unrolled: 1-line block ×6, first 2 shown]
	s_mul_i32 s3, s6, s19
	s_mul_hi_u32 s4, s6, s18
	s_mul_i32 s24, s7, s18
	s_add_i32 s3, s4, s3
	s_lshl_b64 s[4:5], s[6:7], 2
	s_add_i32 s25, s3, s24
	s_add_u32 s36, s8, s4
	s_addc_u32 s37, s9, s5
	s_add_u32 s4, s10, s4
	s_addc_u32 s5, s11, s5
	s_load_dword s7, s[36:37], 0x0
	s_load_dword s36, s[4:5], 0x0
	s_mul_i32 s24, s6, s18
	v_cmp_ne_u32_e64 s3, 1, v13
	s_lshl_b64 s[24:25], s[24:25], 2
	s_mov_b32 s4, -1
	s_add_u32 s37, s22, s24
	s_addc_u32 s38, s23, s25
	s_add_u32 s39, s20, s24
	s_addc_u32 s40, s21, s25
	s_andn2_b32 vcc_lo, exec_lo, s28
                                        ; implicit-def: $vgpr6
	s_cbranch_vccnz .LBB47_15
; %bb.5:                                ;   in Loop: Header=BB47_4 Depth=1
	v_mov_b32_e32 v6, 0
	s_and_b32 vcc_lo, exec_lo, s3
	v_mov_b32_e32 v7, v6
	s_cbranch_vccnz .LBB47_14
; %bb.6:                                ;   in Loop: Header=BB47_4 Depth=1
	s_mov_b32 s4, 0
	s_inst_prefetch 0x1
	s_branch .LBB47_8
	.p2align	6
.LBB47_7:                               ;   in Loop: Header=BB47_8 Depth=2
	s_or_b32 exec_lo, exec_lo, s3
	s_waitcnt vmcnt(0)
	v_mul_f32_e32 v8, v10, v11
	s_waitcnt lgkmcnt(0)
	v_subrev_f32_e32 v9, s7, v18
	s_add_i32 s4, s4, s34
	v_fmac_f32_e32 v6, v10, v11
	s_ashr_i32 s5, s4, 31
	v_mul_f32_e32 v8, v9, v8
	v_cmp_le_i64_e64 s3, s[18:19], s[4:5]
	v_fmac_f32_e32 v7, s36, v8
	s_and_b32 vcc_lo, exec_lo, s3
	s_cbranch_vccnz .LBB47_14
.LBB47_8:                               ;   Parent Loop BB47_4 Depth=1
                                        ; =>  This Inner Loop Header: Depth=2
	v_add_nc_u32_e32 v8, s4, v2
	v_mov_b32_e32 v10, 0
	v_ashrrev_i32_e32 v9, 31, v8
	v_cmp_gt_i64_e32 vcc_lo, s[18:19], v[8:9]
	v_lshlrev_b64 v[8:9], 2, v[8:9]
	s_and_saveexec_b32 s5, vcc_lo
	s_cbranch_execz .LBB47_10
; %bb.9:                                ;   in Loop: Header=BB47_8 Depth=2
	v_add_co_u32 v10, s3, s12, v8
	v_add_co_ci_u32_e64 v11, null, s13, v9, s3
	global_load_dword v10, v[10:11], off
.LBB47_10:                              ;   in Loop: Header=BB47_8 Depth=2
	s_or_b32 exec_lo, exec_lo, s5
	v_mov_b32_e32 v11, 0
	v_mov_b32_e32 v18, 0
	s_and_saveexec_b32 s5, vcc_lo
	s_cbranch_execz .LBB47_12
; %bb.11:                               ;   in Loop: Header=BB47_8 Depth=2
	v_add_co_u32 v18, s3, s37, v8
	v_add_co_ci_u32_e64 v19, null, s38, v9, s3
	global_load_dword v18, v[18:19], off
.LBB47_12:                              ;   in Loop: Header=BB47_8 Depth=2
	s_or_b32 exec_lo, exec_lo, s5
	s_and_saveexec_b32 s3, vcc_lo
	s_cbranch_execz .LBB47_7
; %bb.13:                               ;   in Loop: Header=BB47_8 Depth=2
	v_add_co_u32 v8, vcc_lo, s39, v8
	v_add_co_ci_u32_e64 v9, null, s40, v9, vcc_lo
	global_load_dword v11, v[8:9], off
	s_branch .LBB47_7
.LBB47_14:                              ;   in Loop: Header=BB47_4 Depth=1
	s_inst_prefetch 0x2
	s_mov_b32 s4, 0
.LBB47_15:                              ;   in Loop: Header=BB47_4 Depth=1
	s_andn2_b32 vcc_lo, exec_lo, s4
	s_cbranch_vccnz .LBB47_23
; %bb.16:                               ;   in Loop: Header=BB47_4 Depth=1
	v_mov_b32_e32 v6, 0
	s_andn2_b32 vcc_lo, exec_lo, s33
	v_mov_b32_e32 v7, v6
	s_cbranch_vccnz .LBB47_23
; %bb.17:                               ;   in Loop: Header=BB47_4 Depth=1
	s_mov_b32 s4, 0
	s_inst_prefetch 0x1
	s_branch .LBB47_19
	.p2align	6
.LBB47_18:                              ;   in Loop: Header=BB47_19 Depth=2
	s_or_b32 exec_lo, exec_lo, s3
	s_waitcnt vmcnt(0) lgkmcnt(0)
	v_subrev_f32_e32 v8, s7, v10
	s_add_i32 s4, s4, s34
	v_add_f32_e32 v6, v6, v11
	s_ashr_i32 s5, s4, 31
	v_cmp_le_i64_e64 s3, s[18:19], s[4:5]
	v_mul_f32_e32 v8, v8, v11
	v_fmac_f32_e32 v7, s36, v8
	s_and_b32 vcc_lo, exec_lo, s3
	s_cbranch_vccnz .LBB47_23
.LBB47_19:                              ;   Parent Loop BB47_4 Depth=1
                                        ; =>  This Inner Loop Header: Depth=2
	v_add_nc_u32_e32 v8, s4, v2
	v_mov_b32_e32 v10, 0
	v_ashrrev_i32_e32 v9, 31, v8
	v_cmp_gt_i64_e32 vcc_lo, s[18:19], v[8:9]
	v_lshlrev_b64 v[8:9], 2, v[8:9]
	s_and_saveexec_b32 s5, vcc_lo
	s_cbranch_execz .LBB47_21
; %bb.20:                               ;   in Loop: Header=BB47_19 Depth=2
	v_add_co_u32 v10, s3, s37, v8
	v_add_co_ci_u32_e64 v11, null, s38, v9, s3
	global_load_dword v10, v[10:11], off
.LBB47_21:                              ;   in Loop: Header=BB47_19 Depth=2
	s_or_b32 exec_lo, exec_lo, s5
	v_mov_b32_e32 v11, 0
	s_and_saveexec_b32 s3, vcc_lo
	s_cbranch_execz .LBB47_18
; %bb.22:                               ;   in Loop: Header=BB47_19 Depth=2
	v_add_co_u32 v8, vcc_lo, s39, v8
	v_add_co_ci_u32_e64 v9, null, s40, v9, vcc_lo
	global_load_dword v11, v[8:9], off
	s_branch .LBB47_18
.LBB47_23:                              ;   in Loop: Header=BB47_4 Depth=1
	s_inst_prefetch 0x2
	s_andn2_b32 vcc_lo, exec_lo, s29
	s_cbranch_vccnz .LBB47_26
; %bb.24:                               ;   in Loop: Header=BB47_4 Depth=1
	s_mov_b32 s3, s27
.LBB47_25:                              ;   Parent Loop BB47_4 Depth=1
                                        ; =>  This Inner Loop Header: Depth=2
	s_lshr_b32 s4, s3, 1
	s_cmp_lt_u32 s3, 4
	v_xor_b32_e32 v8, s4, v14
	s_mov_b32 s3, s4
	v_cmp_gt_i32_e32 vcc_lo, 32, v8
	v_cndmask_b32_e32 v8, v14, v8, vcc_lo
	v_lshlrev_b32_e32 v8, 2, v8
	ds_bpermute_b32 v9, v8, v6
	ds_bpermute_b32 v8, v8, v7
	s_waitcnt lgkmcnt(0)
	v_add_f32_e32 v6, v6, v9
	v_add_f32_e32 v7, v7, v8
	s_cbranch_scc0 .LBB47_25
.LBB47_26:                              ;   in Loop: Header=BB47_4 Depth=1
	s_andn2_b32 vcc_lo, exec_lo, s30
	s_mov_b32 s5, s26
	s_cbranch_vccnz .LBB47_38
	.p2align	6
.LBB47_27:                              ;   Parent Loop BB47_4 Depth=1
                                        ; =>  This Inner Loop Header: Depth=2
	s_lshr_b32 s41, s5, 1
	s_and_b32 s4, s5, 0xfffe
	v_cmp_le_u32_e64 s3, s41, v1
	v_cmp_gt_u32_e64 s4, s4, v1
	v_cmp_gt_u32_e32 vcc_lo, s41, v1
	s_and_b32 s4, s3, s4
	s_and_saveexec_b32 s3, s4
	s_cbranch_execz .LBB47_29
; %bb.28:                               ;   in Loop: Header=BB47_27 Depth=2
	v_subrev_nc_u32_e32 v8, s41, v1
	v_mad_u32_u24 v8, v8, s27, v0
	v_lshl_add_u32 v8, v8, 3, 0
	ds_write_b64 v8, v[6:7]
.LBB47_29:                              ;   in Loop: Header=BB47_27 Depth=2
	s_or_b32 exec_lo, exec_lo, s3
	s_waitcnt lgkmcnt(0)
	s_barrier
	buffer_gl0_inv
	s_and_saveexec_b32 s3, vcc_lo
	s_cbranch_execz .LBB47_31
; %bb.30:                               ;   in Loop: Header=BB47_27 Depth=2
	ds_read_b64 v[8:9], v15
	s_waitcnt lgkmcnt(0)
	v_add_f32_e32 v6, v6, v8
	v_add_f32_e32 v7, v7, v9
.LBB47_31:                              ;   in Loop: Header=BB47_27 Depth=2
	s_or_b32 exec_lo, exec_lo, s3
	s_cmp_lt_u32 s5, 4
	s_barrier
	buffer_gl0_inv
	s_cbranch_scc1 .LBB47_33
; %bb.32:                               ;   in Loop: Header=BB47_27 Depth=2
	s_mov_b32 s5, s41
	s_branch .LBB47_27
.LBB47_33:                              ;   in Loop: Header=BB47_4 Depth=1
	s_and_saveexec_b32 s3, s0
; %bb.34:                               ;   in Loop: Header=BB47_4 Depth=1
	ds_write_b64 v17, v[6:7]
; %bb.35:                               ;   in Loop: Header=BB47_4 Depth=1
	s_or_b32 exec_lo, exec_lo, s3
	s_waitcnt lgkmcnt(0)
	s_barrier
	buffer_gl0_inv
	s_and_saveexec_b32 s3, s1
; %bb.36:                               ;   in Loop: Header=BB47_4 Depth=1
	ds_read_b64 v[6:7], v17
; %bb.37:                               ;   in Loop: Header=BB47_4 Depth=1
	s_or_b32 exec_lo, exec_lo, s3
.LBB47_38:                              ;   in Loop: Header=BB47_4 Depth=1
	s_waitcnt lgkmcnt(0)
	v_mul_f32_e32 v18, s36, v16
	s_add_u32 s4, s14, s24
	s_addc_u32 s5, s15, s25
	s_andn2_b32 vcc_lo, exec_lo, s28
	s_cbranch_vccnz .LBB47_43
; %bb.39:                               ;   in Loop: Header=BB47_4 Depth=1
	s_and_saveexec_b32 s24, s2
	s_cbranch_execz .LBB47_42
; %bb.40:                               ;   in Loop: Header=BB47_4 Depth=1
	v_mov_b32_e32 v9, v5
	v_mov_b32_e32 v11, v3
	;; [unrolled: 1-line block ×4, first 2 shown]
	s_mov_b32 s25, 0
	s_inst_prefetch 0x1
	.p2align	6
.LBB47_41:                              ;   Parent Loop BB47_4 Depth=1
                                        ; =>  This Inner Loop Header: Depth=2
	v_lshlrev_b64 v[19:20], 2, v[10:11]
	v_add_co_u32 v10, vcc_lo, s37, v19
	v_add_co_ci_u32_e64 v11, null, s38, v20, vcc_lo
	v_add_co_u32 v21, vcc_lo, s39, v19
	v_add_co_ci_u32_e64 v22, null, s40, v20, vcc_lo
	;; [unrolled: 2-line block ×3, first 2 shown]
	global_load_dword v21, v[21:22], off
	global_load_dword v10, v[10:11], off
	;; [unrolled: 1-line block ×3, first 2 shown]
	v_add_co_u32 v8, vcc_lo, v8, s34
	v_add_co_ci_u32_e64 v9, null, s35, v9, vcc_lo
	v_add_co_u32 v19, s3, s4, v19
	v_add_co_ci_u32_e64 v20, null, s5, v20, s3
	v_cmp_le_i64_e32 vcc_lo, s[18:19], v[8:9]
	s_or_b32 s25, vcc_lo, s25
	s_waitcnt vmcnt(2)
	v_mul_f32_e32 v21, v21, v12
	s_waitcnt vmcnt(1)
	v_subrev_f32_e32 v10, s7, v10
	s_waitcnt vmcnt(0)
	v_fma_f32 v21, v21, v11, -v6
	v_mul_f32_e32 v10, s36, v10
	v_ashrrev_i32_e32 v11, 31, v8
	v_fma_f32 v10, -v7, v10, v21
	v_mul_f32_e32 v21, v18, v10
	v_mov_b32_e32 v10, v8
	global_store_dword v[19:20], v21, off
	s_andn2_b32 exec_lo, exec_lo, s25
	s_cbranch_execnz .LBB47_41
.LBB47_42:                              ;   in Loop: Header=BB47_4 Depth=1
	s_inst_prefetch 0x2
	s_or_b32 exec_lo, exec_lo, s24
	s_cbranch_execnz .LBB47_3
	s_branch .LBB47_44
.LBB47_43:                              ;   in Loop: Header=BB47_4 Depth=1
.LBB47_44:                              ;   in Loop: Header=BB47_4 Depth=1
	s_and_saveexec_b32 s24, s2
	s_cbranch_execz .LBB47_2
; %bb.45:                               ;   in Loop: Header=BB47_4 Depth=1
	v_mov_b32_e32 v9, v5
	v_mov_b32_e32 v11, v3
	;; [unrolled: 1-line block ×4, first 2 shown]
	s_mov_b32 s25, 0
	s_inst_prefetch 0x1
	.p2align	6
.LBB47_46:                              ;   Parent Loop BB47_4 Depth=1
                                        ; =>  This Inner Loop Header: Depth=2
	v_lshlrev_b64 v[19:20], 2, v[10:11]
	v_add_co_u32 v10, vcc_lo, s37, v19
	v_add_co_ci_u32_e64 v11, null, s38, v20, vcc_lo
	v_add_co_u32 v21, vcc_lo, s39, v19
	v_add_co_ci_u32_e64 v22, null, s40, v20, vcc_lo
	global_load_dword v10, v[10:11], off
	global_load_dword v11, v[21:22], off
	v_add_co_u32 v8, vcc_lo, v8, s34
	v_add_co_ci_u32_e64 v9, null, s35, v9, vcc_lo
	v_add_co_u32 v19, s3, s4, v19
	v_add_co_ci_u32_e64 v20, null, s5, v20, s3
	v_cmp_le_i64_e32 vcc_lo, s[18:19], v[8:9]
	s_or_b32 s25, vcc_lo, s25
	s_waitcnt vmcnt(1)
	v_subrev_f32_e32 v10, s7, v10
	s_waitcnt vmcnt(0)
	v_fma_f32 v21, v11, v12, -v6
	v_ashrrev_i32_e32 v11, 31, v8
	v_mul_f32_e32 v10, s36, v10
	v_fma_f32 v10, -v7, v10, v21
	v_mul_f32_e32 v21, v18, v10
	v_mov_b32_e32 v10, v8
	global_store_dword v[19:20], v21, off
	s_andn2_b32 exec_lo, exec_lo, s25
	s_cbranch_execnz .LBB47_46
	s_branch .LBB47_2
.LBB47_47:
	s_endpgm
	.section	.rodata,"a",@progbits
	.p2align	6, 0x0
	.amdhsa_kernel _ZN2at6native12_GLOBAL__N_118cuComputeGradInputIffLb0EEEvPKT_S5_llPKT0_S8_S5_PS3_
		.amdhsa_group_segment_fixed_size 0
		.amdhsa_private_segment_fixed_size 0
		.amdhsa_kernarg_size 320
		.amdhsa_user_sgpr_count 6
		.amdhsa_user_sgpr_private_segment_buffer 1
		.amdhsa_user_sgpr_dispatch_ptr 0
		.amdhsa_user_sgpr_queue_ptr 0
		.amdhsa_user_sgpr_kernarg_segment_ptr 1
		.amdhsa_user_sgpr_dispatch_id 0
		.amdhsa_user_sgpr_flat_scratch_init 0
		.amdhsa_user_sgpr_private_segment_size 0
		.amdhsa_wavefront_size32 1
		.amdhsa_uses_dynamic_stack 0
		.amdhsa_system_sgpr_private_segment_wavefront_offset 0
		.amdhsa_system_sgpr_workgroup_id_x 1
		.amdhsa_system_sgpr_workgroup_id_y 1
		.amdhsa_system_sgpr_workgroup_id_z 0
		.amdhsa_system_sgpr_workgroup_info 0
		.amdhsa_system_vgpr_workitem_id 1
		.amdhsa_next_free_vgpr 25
		.amdhsa_next_free_sgpr 42
		.amdhsa_reserve_vcc 1
		.amdhsa_reserve_flat_scratch 0
		.amdhsa_float_round_mode_32 0
		.amdhsa_float_round_mode_16_64 0
		.amdhsa_float_denorm_mode_32 3
		.amdhsa_float_denorm_mode_16_64 3
		.amdhsa_dx10_clamp 1
		.amdhsa_ieee_mode 1
		.amdhsa_fp16_overflow 0
		.amdhsa_workgroup_processor_mode 1
		.amdhsa_memory_ordered 1
		.amdhsa_forward_progress 1
		.amdhsa_shared_vgpr_count 0
		.amdhsa_exception_fp_ieee_invalid_op 0
		.amdhsa_exception_fp_denorm_src 0
		.amdhsa_exception_fp_ieee_div_zero 0
		.amdhsa_exception_fp_ieee_overflow 0
		.amdhsa_exception_fp_ieee_underflow 0
		.amdhsa_exception_fp_ieee_inexact 0
		.amdhsa_exception_int_div_zero 0
	.end_amdhsa_kernel
	.section	.text._ZN2at6native12_GLOBAL__N_118cuComputeGradInputIffLb0EEEvPKT_S5_llPKT0_S8_S5_PS3_,"axG",@progbits,_ZN2at6native12_GLOBAL__N_118cuComputeGradInputIffLb0EEEvPKT_S5_llPKT0_S8_S5_PS3_,comdat
.Lfunc_end47:
	.size	_ZN2at6native12_GLOBAL__N_118cuComputeGradInputIffLb0EEEvPKT_S5_llPKT0_S8_S5_PS3_, .Lfunc_end47-_ZN2at6native12_GLOBAL__N_118cuComputeGradInputIffLb0EEEvPKT_S5_llPKT0_S8_S5_PS3_
                                        ; -- End function
	.set _ZN2at6native12_GLOBAL__N_118cuComputeGradInputIffLb0EEEvPKT_S5_llPKT0_S8_S5_PS3_.num_vgpr, 25
	.set _ZN2at6native12_GLOBAL__N_118cuComputeGradInputIffLb0EEEvPKT_S5_llPKT0_S8_S5_PS3_.num_agpr, 0
	.set _ZN2at6native12_GLOBAL__N_118cuComputeGradInputIffLb0EEEvPKT_S5_llPKT0_S8_S5_PS3_.numbered_sgpr, 42
	.set _ZN2at6native12_GLOBAL__N_118cuComputeGradInputIffLb0EEEvPKT_S5_llPKT0_S8_S5_PS3_.num_named_barrier, 0
	.set _ZN2at6native12_GLOBAL__N_118cuComputeGradInputIffLb0EEEvPKT_S5_llPKT0_S8_S5_PS3_.private_seg_size, 0
	.set _ZN2at6native12_GLOBAL__N_118cuComputeGradInputIffLb0EEEvPKT_S5_llPKT0_S8_S5_PS3_.uses_vcc, 1
	.set _ZN2at6native12_GLOBAL__N_118cuComputeGradInputIffLb0EEEvPKT_S5_llPKT0_S8_S5_PS3_.uses_flat_scratch, 0
	.set _ZN2at6native12_GLOBAL__N_118cuComputeGradInputIffLb0EEEvPKT_S5_llPKT0_S8_S5_PS3_.has_dyn_sized_stack, 0
	.set _ZN2at6native12_GLOBAL__N_118cuComputeGradInputIffLb0EEEvPKT_S5_llPKT0_S8_S5_PS3_.has_recursion, 0
	.set _ZN2at6native12_GLOBAL__N_118cuComputeGradInputIffLb0EEEvPKT_S5_llPKT0_S8_S5_PS3_.has_indirect_call, 0
	.section	.AMDGPU.csdata,"",@progbits
; Kernel info:
; codeLenInByte = 1764
; TotalNumSgprs: 44
; NumVgprs: 25
; ScratchSize: 0
; MemoryBound: 0
; FloatMode: 240
; IeeeMode: 1
; LDSByteSize: 0 bytes/workgroup (compile time only)
; SGPRBlocks: 0
; VGPRBlocks: 3
; NumSGPRsForWavesPerEU: 44
; NumVGPRsForWavesPerEU: 25
; Occupancy: 16
; WaveLimiterHint : 0
; COMPUTE_PGM_RSRC2:SCRATCH_EN: 0
; COMPUTE_PGM_RSRC2:USER_SGPR: 6
; COMPUTE_PGM_RSRC2:TRAP_HANDLER: 0
; COMPUTE_PGM_RSRC2:TGID_X_EN: 1
; COMPUTE_PGM_RSRC2:TGID_Y_EN: 1
; COMPUTE_PGM_RSRC2:TGID_Z_EN: 0
; COMPUTE_PGM_RSRC2:TIDIG_COMP_CNT: 1
	.section	.text._ZN2at6native12_GLOBAL__N_128layer_norm_grad_input_kernelIffLb0EEEvPKT_S5_PKT0_S8_S5_PS3_i,"axG",@progbits,_ZN2at6native12_GLOBAL__N_128layer_norm_grad_input_kernelIffLb0EEEvPKT_S5_PKT0_S8_S5_PS3_i,comdat
	.globl	_ZN2at6native12_GLOBAL__N_128layer_norm_grad_input_kernelIffLb0EEEvPKT_S5_PKT0_S8_S5_PS3_i ; -- Begin function _ZN2at6native12_GLOBAL__N_128layer_norm_grad_input_kernelIffLb0EEEvPKT_S5_PKT0_S8_S5_PS3_i
	.p2align	8
	.type	_ZN2at6native12_GLOBAL__N_128layer_norm_grad_input_kernelIffLb0EEEvPKT_S5_PKT0_S8_S5_PS3_i,@function
_ZN2at6native12_GLOBAL__N_128layer_norm_grad_input_kernelIffLb0EEEvPKT_S5_PKT0_S8_S5_PS3_i: ; @_ZN2at6native12_GLOBAL__N_128layer_norm_grad_input_kernelIffLb0EEEvPKT_S5_PKT0_S8_S5_PS3_i
; %bb.0:
	s_clause 0x2
	s_load_dword s16, s[4:5], 0x30
	s_load_dwordx8 s[8:15], s[4:5], 0x0
	s_load_dwordx2 s[2:3], s[4:5], 0x20
	s_mov_b32 s7, 0
	v_lshlrev_b32_e32 v1, 2, v0
	v_mov_b32_e32 v10, 0
	v_mov_b32_e32 v9, 0
	v_or_b32_e32 v2, 3, v1
	s_waitcnt lgkmcnt(0)
	s_ashr_i32 s0, s16, 31
	s_mul_hi_u32 s17, s16, s6
	s_mul_i32 s18, s0, s6
	s_lshl_b64 s[0:1], s[6:7], 2
	s_add_i32 s19, s17, s18
	s_add_u32 s12, s12, s0
	s_addc_u32 s13, s13, s1
	s_add_u32 s0, s14, s0
	s_addc_u32 s1, s15, s1
	s_load_dword s14, s[12:13], 0x0
	s_load_dword s15, s[0:1], 0x0
	s_mul_i32 s18, s16, s6
	s_mov_b32 s0, exec_lo
	s_lshl_b64 s[12:13], s[18:19], 2
	s_add_u32 s6, s10, s12
	s_addc_u32 s17, s11, s13
	s_add_u32 s18, s8, s12
	s_addc_u32 s19, s9, s13
	v_cmpx_gt_u32_e64 s16, v2
	s_cbranch_execz .LBB48_12
; %bb.1:
	s_load_dword s20, s[4:5], 0x44
	s_cmp_lg_u64 s[2:3], 0
	v_mov_b32_e32 v2, 0
	v_mov_b32_e32 v10, 0
	;; [unrolled: 1-line block ×3, first 2 shown]
	s_cselect_b32 s1, -1, 0
	s_waitcnt lgkmcnt(0)
	s_and_b32 s20, s20, 0xffff
	s_lshl_b32 s20, s20, 2
	s_branch .LBB48_3
.LBB48_2:                               ;   in Loop: Header=BB48_3 Depth=1
	global_load_dword v5, v[5:6], off offset:12
	global_load_dword v3, v[3:4], off offset:12
	s_waitcnt vmcnt(6)
	v_mul_f32_e32 v4, v12, v13
	v_subrev_f32_e32 v6, s14, v15
	s_waitcnt vmcnt(4)
	v_mul_f32_e32 v7, v11, v16
	v_subrev_f32_e32 v8, s14, v19
	v_fmac_f32_e32 v10, v12, v13
	s_waitcnt vmcnt(3)
	v_subrev_f32_e32 v12, s14, v20
	v_mul_f32_e32 v4, v6, v4
	s_waitcnt vmcnt(2)
	v_mul_f32_e32 v6, v17, v18
	v_mul_f32_e32 v7, v8, v7
	v_add_nc_u32_e32 v1, s20, v1
	v_fmac_f32_e32 v10, v11, v16
	v_fmac_f32_e32 v9, s15, v4
	v_mul_f32_e32 v4, v12, v6
	v_fmac_f32_e32 v10, v17, v18
	v_fmac_f32_e32 v9, s15, v7
	v_add_nc_u32_e32 v7, 3, v1
	v_fmac_f32_e32 v9, s15, v4
	v_cmp_le_u32_e32 vcc_lo, s16, v7
	s_or_b32 s7, vcc_lo, s7
	s_waitcnt vmcnt(1)
	v_mul_f32_e32 v6, v14, v5
	s_waitcnt vmcnt(0)
	v_subrev_f32_e32 v3, s14, v3
	v_fmac_f32_e32 v10, v14, v5
	v_mul_f32_e32 v3, v3, v6
	v_fmac_f32_e32 v9, s15, v3
	s_andn2_b32 exec_lo, exec_lo, s7
	s_cbranch_execz .LBB48_11
.LBB48_3:                               ; =>This Inner Loop Header: Depth=1
	v_lshlrev_b64 v[7:8], 2, v[1:2]
	v_mov_b32_e32 v11, 1.0
	v_mov_b32_e32 v12, 1.0
	s_and_b32 vcc_lo, exec_lo, s1
	s_cbranch_vccz .LBB48_5
; %bb.4:                                ;   in Loop: Header=BB48_3 Depth=1
	v_add_co_u32 v3, vcc_lo, s2, v7
	v_add_co_ci_u32_e64 v4, null, s3, v8, vcc_lo
	global_load_dword v12, v[3:4], off
.LBB48_5:                               ;   in Loop: Header=BB48_3 Depth=1
	v_add_co_u32 v3, vcc_lo, s6, v7
	v_add_co_ci_u32_e64 v4, null, s17, v8, vcc_lo
	v_add_co_u32 v5, vcc_lo, s18, v7
	v_add_co_ci_u32_e64 v6, null, s19, v8, vcc_lo
	global_load_dword v15, v[3:4], off
	global_load_dword v13, v[5:6], off
	s_andn2_b32 vcc_lo, exec_lo, s1
	s_cbranch_vccnz .LBB48_7
; %bb.6:                                ;   in Loop: Header=BB48_3 Depth=1
	v_add_co_u32 v16, vcc_lo, s2, v7
	v_add_co_ci_u32_e64 v17, null, s3, v8, vcc_lo
	global_load_dword v11, v[16:17], off offset:4
.LBB48_7:                               ;   in Loop: Header=BB48_3 Depth=1
	global_load_dword v19, v[3:4], off offset:4
	global_load_dword v16, v[5:6], off offset:4
	v_mov_b32_e32 v14, 1.0
	v_mov_b32_e32 v17, 1.0
	s_andn2_b32 vcc_lo, exec_lo, s1
	s_cbranch_vccnz .LBB48_9
; %bb.8:                                ;   in Loop: Header=BB48_3 Depth=1
	v_add_co_u32 v17, vcc_lo, s2, v7
	v_add_co_ci_u32_e64 v18, null, s3, v8, vcc_lo
	global_load_dword v17, v[17:18], off offset:8
.LBB48_9:                               ;   in Loop: Header=BB48_3 Depth=1
	global_load_dword v20, v[3:4], off offset:8
	global_load_dword v18, v[5:6], off offset:8
	s_andn2_b32 vcc_lo, exec_lo, s1
	s_cbranch_vccnz .LBB48_2
; %bb.10:                               ;   in Loop: Header=BB48_3 Depth=1
	v_add_co_u32 v7, vcc_lo, s2, v7
	v_add_co_ci_u32_e64 v8, null, s3, v8, vcc_lo
	global_load_dword v14, v[7:8], off offset:12
	s_branch .LBB48_2
.LBB48_11:
	s_or_b32 exec_lo, exec_lo, s7
.LBB48_12:
	s_or_b32 exec_lo, exec_lo, s0
	s_mov_b32 s1, exec_lo
	v_cmpx_gt_u32_e64 s16, v1
	s_cbranch_execz .LBB48_19
; %bb.13:
	v_mov_b32_e32 v2, 0
	s_cmp_lg_u64 s[2:3], 0
	s_cselect_b32 s7, -1, 0
	v_lshlrev_b64 v[2:3], 2, v[1:2]
	v_add_co_u32 v6, vcc_lo, s12, v2
	v_add_co_ci_u32_e64 v7, null, s13, v3, vcc_lo
	v_add_co_u32 v2, vcc_lo, s2, v2
	v_add_co_ci_u32_e64 v3, null, s3, v3, vcc_lo
	;; [unrolled: 2-line block ×4, first 2 shown]
	s_mov_b32 s8, 0
	s_inst_prefetch 0x1
	s_branch .LBB48_16
	.p2align	6
.LBB48_14:                              ;   in Loop: Header=BB48_16 Depth=1
	global_load_dword v8, v[2:3], off
.LBB48_15:                              ;   in Loop: Header=BB48_16 Depth=1
	global_load_dword v11, v[6:7], off
	global_load_dword v12, v[4:5], off
	v_add_nc_u32_e32 v1, 1, v1
	v_add_co_u32 v2, vcc_lo, v2, 4
	v_add_co_ci_u32_e64 v3, null, 0, v3, vcc_lo
	v_add_co_u32 v4, vcc_lo, v4, 4
	v_add_co_ci_u32_e64 v5, null, 0, v5, vcc_lo
	v_cmp_le_u32_e32 vcc_lo, s16, v1
	v_add_co_u32 v6, s0, v6, 4
	v_add_co_ci_u32_e64 v7, null, 0, v7, s0
	s_or_b32 s8, vcc_lo, s8
	s_waitcnt vmcnt(1)
	v_mul_f32_e32 v13, v8, v11
	s_waitcnt vmcnt(0) lgkmcnt(0)
	v_subrev_f32_e32 v12, s14, v12
	v_fmac_f32_e32 v10, v8, v11
	v_mul_f32_e32 v12, v12, v13
	v_fmac_f32_e32 v9, s15, v12
	s_andn2_b32 exec_lo, exec_lo, s8
	s_cbranch_execz .LBB48_18
.LBB48_16:                              ; =>This Inner Loop Header: Depth=1
	s_andn2_b32 vcc_lo, exec_lo, s7
	s_cbranch_vccz .LBB48_14
; %bb.17:                               ;   in Loop: Header=BB48_16 Depth=1
	v_mov_b32_e32 v8, 1.0
	s_branch .LBB48_15
.LBB48_18:
	s_inst_prefetch 0x2
	s_or_b32 exec_lo, exec_lo, s8
.LBB48_19:
	s_or_b32 exec_lo, exec_lo, s1
	v_mbcnt_lo_u32_b32 v1, -1, 0
	s_waitcnt lgkmcnt(0)
	s_barrier
	buffer_gl0_inv
	v_lshl_or_b32 v3, v1, 2, 64
	v_cmp_gt_u32_e32 vcc_lo, 24, v1
	ds_bpermute_b32 v2, v3, v10
	v_cndmask_b32_e64 v4, 0, 8, vcc_lo
	v_cmp_gt_u32_e32 vcc_lo, 28, v1
	v_add_lshl_u32 v4, v4, v1, 2
	v_cndmask_b32_e64 v5, 0, 4, vcc_lo
	v_cmp_gt_u32_e32 vcc_lo, 30, v1
	v_add_lshl_u32 v5, v5, v1, 2
	s_waitcnt lgkmcnt(0)
	v_add_f32_e32 v2, v10, v2
	ds_bpermute_b32 v6, v4, v2
	s_waitcnt lgkmcnt(0)
	v_add_f32_e32 v2, v2, v6
	v_cndmask_b32_e64 v6, 0, 2, vcc_lo
	v_cmp_ne_u32_e32 vcc_lo, 31, v1
	ds_bpermute_b32 v7, v5, v2
	v_add_lshl_u32 v6, v6, v1, 2
	v_add_co_ci_u32_e64 v8, null, 0, v1, vcc_lo
	s_waitcnt lgkmcnt(0)
	v_add_f32_e32 v2, v2, v7
	ds_bpermute_b32 v7, v6, v2
	s_waitcnt lgkmcnt(0)
	v_add_f32_e32 v1, v2, v7
	v_lshlrev_b32_e32 v7, 2, v8
	v_and_b32_e32 v8, 31, v0
	v_lshrrev_b32_e32 v2, 3, v0
	ds_bpermute_b32 v10, v7, v1
	v_cmp_eq_u32_e32 vcc_lo, 0, v8
	s_and_saveexec_b32 s0, vcc_lo
	s_cbranch_execz .LBB48_21
; %bb.20:
	v_add_nc_u32_e32 v11, 0, v2
	s_waitcnt lgkmcnt(0)
	v_add_f32_e32 v1, v1, v10
	ds_write_b32 v11, v1
.LBB48_21:
	s_or_b32 exec_lo, exec_lo, s0
	s_waitcnt lgkmcnt(0)
	s_barrier
	buffer_gl0_inv
	s_load_dword s7, s[4:5], 0x44
	v_mov_b32_e32 v1, 0
	v_lshl_add_u32 v8, v8, 2, 0
	s_waitcnt lgkmcnt(0)
	s_bfe_u32 s0, s7, 0xb0005
	v_cmp_gt_u32_e64 s0, s0, v0
	s_and_saveexec_b32 s1, s0
; %bb.22:
	ds_read_b32 v1, v8
; %bb.23:
	s_or_b32 exec_lo, exec_lo, s1
	v_cmp_gt_u32_e64 s1, 32, v0
	s_and_saveexec_b32 s8, s1
	s_cbranch_execz .LBB48_25
; %bb.24:
	s_waitcnt lgkmcnt(0)
	ds_bpermute_b32 v10, v3, v1
	s_waitcnt lgkmcnt(0)
	v_add_f32_e32 v1, v1, v10
	ds_bpermute_b32 v10, v4, v1
	s_waitcnt lgkmcnt(0)
	v_add_f32_e32 v1, v1, v10
	;; [unrolled: 3-line block ×5, first 2 shown]
.LBB48_25:
	s_or_b32 exec_lo, exec_lo, s8
	ds_bpermute_b32 v10, v3, v9
	s_waitcnt lgkmcnt(0)
	s_barrier
	buffer_gl0_inv
	v_add_f32_e32 v9, v9, v10
	ds_bpermute_b32 v10, v4, v9
	s_waitcnt lgkmcnt(0)
	v_add_f32_e32 v9, v9, v10
	ds_bpermute_b32 v10, v5, v9
	s_waitcnt lgkmcnt(0)
	;; [unrolled: 3-line block ×3, first 2 shown]
	v_add_f32_e32 v9, v9, v10
	ds_bpermute_b32 v10, v7, v9
	s_and_saveexec_b32 s8, vcc_lo
	s_cbranch_execz .LBB48_27
; %bb.26:
	v_add_nc_u32_e32 v2, 0, v2
	s_waitcnt lgkmcnt(0)
	v_add_f32_e32 v9, v9, v10
	ds_write_b32 v2, v9
.LBB48_27:
	s_or_b32 exec_lo, exec_lo, s8
	v_mov_b32_e32 v2, 0
	s_waitcnt lgkmcnt(0)
	s_barrier
	buffer_gl0_inv
	s_and_saveexec_b32 s8, s0
; %bb.28:
	ds_read_b32 v2, v8
; %bb.29:
	s_or_b32 exec_lo, exec_lo, s8
	s_and_saveexec_b32 s0, s1
	s_cbranch_execz .LBB48_31
; %bb.30:
	s_waitcnt lgkmcnt(0)
	ds_bpermute_b32 v3, v3, v2
	s_waitcnt lgkmcnt(0)
	v_add_f32_e32 v2, v2, v3
	ds_bpermute_b32 v3, v4, v2
	s_waitcnt lgkmcnt(0)
	v_add_f32_e32 v2, v2, v3
	;; [unrolled: 3-line block ×5, first 2 shown]
.LBB48_31:
	s_or_b32 exec_lo, exec_lo, s0
	s_mov_b32 s0, exec_lo
	v_cmpx_eq_u32_e32 0, v0
	s_cbranch_execz .LBB48_33
; %bb.32:
	v_mov_b32_e32 v3, 0
	s_waitcnt lgkmcnt(0)
	ds_write_b64 v3, v[1:2]
.LBB48_33:
	s_or_b32 exec_lo, exec_lo, s0
	s_waitcnt lgkmcnt(0)
	s_barrier
	buffer_gl0_inv
	s_mov_b32 s0, exec_lo
	v_cmpx_gt_i32_e64 s16, v0
	s_cbranch_execz .LBB48_39
; %bb.34:
	v_cvt_f32_i32_e32 v6, s16
	s_load_dwordx2 s[4:5], s[4:5], 0x28
	s_and_b32 s1, 0xffff, s7
	s_mov_b32 s8, 0
	v_div_scale_f32 v1, null, v6, v6, 1.0
	v_div_scale_f32 v3, vcc_lo, 1.0, v6, 1.0
	v_rcp_f32_e32 v4, v1
	v_fma_f32 v2, -v1, v4, 1.0
	s_waitcnt lgkmcnt(0)
	s_add_u32 s4, s4, s12
	s_addc_u32 s5, s5, s13
	s_cmp_lg_u64 s[2:3], 0
	s_cselect_b32 s7, -1, 0
	v_fmac_f32_e32 v4, v2, v4
	v_mul_f32_e32 v5, v3, v4
	v_fma_f32 v2, -v1, v5, v3
	v_fmac_f32_e32 v5, v2, v4
	v_mov_b32_e32 v2, 0
	v_fma_f32 v1, -v1, v5, v3
	ds_read_b64 v[2:3], v2
	v_div_fmas_f32 v1, v1, v4, v5
	v_div_fixup_f32 v1, v1, v6, 1.0
	v_mul_f32_e32 v7, s15, v1
	s_inst_prefetch 0x1
	s_branch .LBB48_37
	.p2align	6
.LBB48_35:                              ;   in Loop: Header=BB48_37 Depth=1
	v_add_co_u32 v9, vcc_lo, s2, v4
	v_add_co_ci_u32_e64 v10, null, s3, v5, vcc_lo
	global_load_dword v9, v[9:10], off
.LBB48_36:                              ;   in Loop: Header=BB48_37 Depth=1
	s_waitcnt vmcnt(1)
	v_subrev_f32_e32 v8, s14, v8
	s_waitcnt vmcnt(0)
	v_mul_f32_e32 v9, v9, v6
	v_add_nc_u32_e32 v0, s1, v0
	v_add_co_u32 v4, s0, s4, v4
	v_mul_f32_e32 v8, s15, v8
	v_add_co_ci_u32_e64 v5, null, s5, v5, s0
	v_cmp_le_i32_e32 vcc_lo, s16, v0
	s_waitcnt lgkmcnt(0)
	v_mul_f32_e32 v8, v3, v8
	s_or_b32 s8, vcc_lo, s8
	v_fma_f32 v1, v1, v9, -v8
	v_sub_f32_e32 v1, v1, v2
	v_mul_f32_e32 v1, v7, v1
	global_store_dword v[4:5], v1, off
	s_andn2_b32 exec_lo, exec_lo, s8
	s_cbranch_execz .LBB48_39
.LBB48_37:                              ; =>This Inner Loop Header: Depth=1
	v_ashrrev_i32_e32 v1, 31, v0
	v_lshlrev_b64 v[4:5], 2, v[0:1]
	v_add_co_u32 v8, vcc_lo, s6, v4
	v_add_co_ci_u32_e64 v9, null, s17, v5, vcc_lo
	v_add_co_u32 v10, vcc_lo, s18, v4
	v_add_co_ci_u32_e64 v11, null, s19, v5, vcc_lo
	global_load_dword v8, v[8:9], off
	global_load_dword v1, v[10:11], off
	s_andn2_b32 vcc_lo, exec_lo, s7
	s_cbranch_vccz .LBB48_35
; %bb.38:                               ;   in Loop: Header=BB48_37 Depth=1
	v_mov_b32_e32 v9, 1.0
	s_branch .LBB48_36
.LBB48_39:
	s_inst_prefetch 0x2
	s_endpgm
	.section	.rodata,"a",@progbits
	.p2align	6, 0x0
	.amdhsa_kernel _ZN2at6native12_GLOBAL__N_128layer_norm_grad_input_kernelIffLb0EEEvPKT_S5_PKT0_S8_S5_PS3_i
		.amdhsa_group_segment_fixed_size 0
		.amdhsa_private_segment_fixed_size 0
		.amdhsa_kernarg_size 312
		.amdhsa_user_sgpr_count 6
		.amdhsa_user_sgpr_private_segment_buffer 1
		.amdhsa_user_sgpr_dispatch_ptr 0
		.amdhsa_user_sgpr_queue_ptr 0
		.amdhsa_user_sgpr_kernarg_segment_ptr 1
		.amdhsa_user_sgpr_dispatch_id 0
		.amdhsa_user_sgpr_flat_scratch_init 0
		.amdhsa_user_sgpr_private_segment_size 0
		.amdhsa_wavefront_size32 1
		.amdhsa_uses_dynamic_stack 0
		.amdhsa_system_sgpr_private_segment_wavefront_offset 0
		.amdhsa_system_sgpr_workgroup_id_x 1
		.amdhsa_system_sgpr_workgroup_id_y 0
		.amdhsa_system_sgpr_workgroup_id_z 0
		.amdhsa_system_sgpr_workgroup_info 0
		.amdhsa_system_vgpr_workitem_id 0
		.amdhsa_next_free_vgpr 21
		.amdhsa_next_free_sgpr 21
		.amdhsa_reserve_vcc 1
		.amdhsa_reserve_flat_scratch 0
		.amdhsa_float_round_mode_32 0
		.amdhsa_float_round_mode_16_64 0
		.amdhsa_float_denorm_mode_32 3
		.amdhsa_float_denorm_mode_16_64 3
		.amdhsa_dx10_clamp 1
		.amdhsa_ieee_mode 1
		.amdhsa_fp16_overflow 0
		.amdhsa_workgroup_processor_mode 1
		.amdhsa_memory_ordered 1
		.amdhsa_forward_progress 1
		.amdhsa_shared_vgpr_count 0
		.amdhsa_exception_fp_ieee_invalid_op 0
		.amdhsa_exception_fp_denorm_src 0
		.amdhsa_exception_fp_ieee_div_zero 0
		.amdhsa_exception_fp_ieee_overflow 0
		.amdhsa_exception_fp_ieee_underflow 0
		.amdhsa_exception_fp_ieee_inexact 0
		.amdhsa_exception_int_div_zero 0
	.end_amdhsa_kernel
	.section	.text._ZN2at6native12_GLOBAL__N_128layer_norm_grad_input_kernelIffLb0EEEvPKT_S5_PKT0_S8_S5_PS3_i,"axG",@progbits,_ZN2at6native12_GLOBAL__N_128layer_norm_grad_input_kernelIffLb0EEEvPKT_S5_PKT0_S8_S5_PS3_i,comdat
.Lfunc_end48:
	.size	_ZN2at6native12_GLOBAL__N_128layer_norm_grad_input_kernelIffLb0EEEvPKT_S5_PKT0_S8_S5_PS3_i, .Lfunc_end48-_ZN2at6native12_GLOBAL__N_128layer_norm_grad_input_kernelIffLb0EEEvPKT_S5_PKT0_S8_S5_PS3_i
                                        ; -- End function
	.set _ZN2at6native12_GLOBAL__N_128layer_norm_grad_input_kernelIffLb0EEEvPKT_S5_PKT0_S8_S5_PS3_i.num_vgpr, 21
	.set _ZN2at6native12_GLOBAL__N_128layer_norm_grad_input_kernelIffLb0EEEvPKT_S5_PKT0_S8_S5_PS3_i.num_agpr, 0
	.set _ZN2at6native12_GLOBAL__N_128layer_norm_grad_input_kernelIffLb0EEEvPKT_S5_PKT0_S8_S5_PS3_i.numbered_sgpr, 21
	.set _ZN2at6native12_GLOBAL__N_128layer_norm_grad_input_kernelIffLb0EEEvPKT_S5_PKT0_S8_S5_PS3_i.num_named_barrier, 0
	.set _ZN2at6native12_GLOBAL__N_128layer_norm_grad_input_kernelIffLb0EEEvPKT_S5_PKT0_S8_S5_PS3_i.private_seg_size, 0
	.set _ZN2at6native12_GLOBAL__N_128layer_norm_grad_input_kernelIffLb0EEEvPKT_S5_PKT0_S8_S5_PS3_i.uses_vcc, 1
	.set _ZN2at6native12_GLOBAL__N_128layer_norm_grad_input_kernelIffLb0EEEvPKT_S5_PKT0_S8_S5_PS3_i.uses_flat_scratch, 0
	.set _ZN2at6native12_GLOBAL__N_128layer_norm_grad_input_kernelIffLb0EEEvPKT_S5_PKT0_S8_S5_PS3_i.has_dyn_sized_stack, 0
	.set _ZN2at6native12_GLOBAL__N_128layer_norm_grad_input_kernelIffLb0EEEvPKT_S5_PKT0_S8_S5_PS3_i.has_recursion, 0
	.set _ZN2at6native12_GLOBAL__N_128layer_norm_grad_input_kernelIffLb0EEEvPKT_S5_PKT0_S8_S5_PS3_i.has_indirect_call, 0
	.section	.AMDGPU.csdata,"",@progbits
; Kernel info:
; codeLenInByte = 1924
; TotalNumSgprs: 23
; NumVgprs: 21
; ScratchSize: 0
; MemoryBound: 0
; FloatMode: 240
; IeeeMode: 1
; LDSByteSize: 0 bytes/workgroup (compile time only)
; SGPRBlocks: 0
; VGPRBlocks: 2
; NumSGPRsForWavesPerEU: 23
; NumVGPRsForWavesPerEU: 21
; Occupancy: 16
; WaveLimiterHint : 0
; COMPUTE_PGM_RSRC2:SCRATCH_EN: 0
; COMPUTE_PGM_RSRC2:USER_SGPR: 6
; COMPUTE_PGM_RSRC2:TRAP_HANDLER: 0
; COMPUTE_PGM_RSRC2:TGID_X_EN: 1
; COMPUTE_PGM_RSRC2:TGID_Y_EN: 0
; COMPUTE_PGM_RSRC2:TGID_Z_EN: 0
; COMPUTE_PGM_RSRC2:TIDIG_COMP_CNT: 0
	.section	.text._ZN2at6native12_GLOBAL__N_133GammaBetaBackwardSimpleCUDAKernelIffLb0EEEvllPKT_S5_PKT0_S8_PS3_S9_,"axG",@progbits,_ZN2at6native12_GLOBAL__N_133GammaBetaBackwardSimpleCUDAKernelIffLb0EEEvllPKT_S5_PKT0_S8_PS3_S9_,comdat
	.globl	_ZN2at6native12_GLOBAL__N_133GammaBetaBackwardSimpleCUDAKernelIffLb0EEEvllPKT_S5_PKT0_S8_PS3_S9_ ; -- Begin function _ZN2at6native12_GLOBAL__N_133GammaBetaBackwardSimpleCUDAKernelIffLb0EEEvllPKT_S5_PKT0_S8_PS3_S9_
	.p2align	8
	.type	_ZN2at6native12_GLOBAL__N_133GammaBetaBackwardSimpleCUDAKernelIffLb0EEEvllPKT_S5_PKT0_S8_PS3_S9_,@function
_ZN2at6native12_GLOBAL__N_133GammaBetaBackwardSimpleCUDAKernelIffLb0EEEvllPKT_S5_PKT0_S8_PS3_S9_: ; @_ZN2at6native12_GLOBAL__N_133GammaBetaBackwardSimpleCUDAKernelIffLb0EEEvllPKT_S5_PKT0_S8_PS3_S9_
; %bb.0:
	s_clause 0x1
	s_load_dword s0, s[4:5], 0x4c
	s_load_dwordx16 s[8:23], s[4:5], 0x0
	v_mov_b32_e32 v1, 0
	s_waitcnt lgkmcnt(0)
	s_and_b32 s0, s0, 0xffff
	v_mad_u64_u32 v[2:3], null, s0, s6, v[0:1]
	s_mov_b32 s0, exec_lo
	v_cmpx_gt_i64_e64 s[10:11], v[2:3]
	s_cbranch_execz .LBB49_13
; %bb.1:
	v_cmp_lt_i64_e64 s0, s[8:9], 1
	v_lshlrev_b64 v[2:3], 2, v[2:3]
	v_mov_b32_e32 v0, 0
	s_and_b32 vcc_lo, exec_lo, s0
	s_cbranch_vccnz .LBB49_9
; %bb.2:
	s_cmp_lg_u64 s[20:21], 0
	v_mov_b32_e32 v5, v3
	v_mov_b32_e32 v1, 0
	;; [unrolled: 1-line block ×4, first 2 shown]
	s_cselect_b32 s2, -1, 0
	s_cmp_lg_u64 s[22:23], 0
	s_cselect_b32 s3, -1, 0
	s_lshl_b64 s[0:1], s[10:11], 2
	s_inst_prefetch 0x1
	s_branch .LBB49_5
	.p2align	6
.LBB49_3:                               ;   in Loop: Header=BB49_5 Depth=1
	v_add_co_u32 v7, vcc_lo, s12, v4
	v_add_co_ci_u32_e64 v8, null, s13, v5, vcc_lo
	global_load_dword v7, v[7:8], off
.LBB49_4:                               ;   in Loop: Header=BB49_5 Depth=1
	s_add_u32 s8, s8, -1
	s_addc_u32 s9, s9, -1
	v_add_co_u32 v4, vcc_lo, v4, s0
	s_add_u32 s18, s18, 4
	v_add_f32_e32 v1, v1, v6
	s_waitcnt vmcnt(0)
	v_add_f32_e32 v0, v0, v7
	v_add_co_ci_u32_e64 v5, null, s1, v5, vcc_lo
	s_addc_u32 s19, s19, 0
	s_add_u32 s16, s16, 4
	s_addc_u32 s17, s17, 0
	s_cmp_eq_u64 s[8:9], 0
	s_cbranch_scc1 .LBB49_9
.LBB49_5:                               ; =>This Inner Loop Header: Depth=1
	v_mov_b32_e32 v6, 0
	s_andn2_b32 vcc_lo, exec_lo, s2
	s_cbranch_vccnz .LBB49_7
; %bb.6:                                ;   in Loop: Header=BB49_5 Depth=1
	v_add_co_u32 v6, vcc_lo, s14, v4
	v_add_co_ci_u32_e64 v7, null, s15, v5, vcc_lo
	v_add_co_u32 v8, vcc_lo, s12, v4
	v_add_co_ci_u32_e64 v9, null, s13, v5, vcc_lo
	global_load_dword v6, v[6:7], off
	global_load_dword v7, v[8:9], off
	s_load_dword s4, s[16:17], 0x0
	s_load_dword s5, s[18:19], 0x0
	s_waitcnt vmcnt(1) lgkmcnt(0)
	v_subrev_f32_e32 v6, s4, v6
	s_waitcnt vmcnt(0)
	v_mul_f32_e32 v6, v7, v6
	v_mul_f32_e32 v6, s5, v6
.LBB49_7:                               ;   in Loop: Header=BB49_5 Depth=1
	s_andn2_b32 vcc_lo, exec_lo, s3
	s_cbranch_vccz .LBB49_3
; %bb.8:                                ;   in Loop: Header=BB49_5 Depth=1
	v_mov_b32_e32 v7, 0
	s_branch .LBB49_4
.LBB49_9:
	s_inst_prefetch 0x2
	s_cmp_lg_u64 s[20:21], 0
	s_cbranch_scc0 .LBB49_11
; %bb.10:
	v_add_co_u32 v4, vcc_lo, s20, v2
	v_add_co_ci_u32_e64 v5, null, s21, v3, vcc_lo
	global_store_dword v[4:5], v1, off
.LBB49_11:
	s_cmp_eq_u64 s[22:23], 0
	s_cbranch_scc1 .LBB49_13
; %bb.12:
	v_add_co_u32 v1, vcc_lo, s22, v2
	v_add_co_ci_u32_e64 v2, null, s23, v3, vcc_lo
	global_store_dword v[1:2], v0, off
.LBB49_13:
	s_endpgm
	.section	.rodata,"a",@progbits
	.p2align	6, 0x0
	.amdhsa_kernel _ZN2at6native12_GLOBAL__N_133GammaBetaBackwardSimpleCUDAKernelIffLb0EEEvllPKT_S5_PKT0_S8_PS3_S9_
		.amdhsa_group_segment_fixed_size 0
		.amdhsa_private_segment_fixed_size 0
		.amdhsa_kernarg_size 320
		.amdhsa_user_sgpr_count 6
		.amdhsa_user_sgpr_private_segment_buffer 1
		.amdhsa_user_sgpr_dispatch_ptr 0
		.amdhsa_user_sgpr_queue_ptr 0
		.amdhsa_user_sgpr_kernarg_segment_ptr 1
		.amdhsa_user_sgpr_dispatch_id 0
		.amdhsa_user_sgpr_flat_scratch_init 0
		.amdhsa_user_sgpr_private_segment_size 0
		.amdhsa_wavefront_size32 1
		.amdhsa_uses_dynamic_stack 0
		.amdhsa_system_sgpr_private_segment_wavefront_offset 0
		.amdhsa_system_sgpr_workgroup_id_x 1
		.amdhsa_system_sgpr_workgroup_id_y 0
		.amdhsa_system_sgpr_workgroup_id_z 0
		.amdhsa_system_sgpr_workgroup_info 0
		.amdhsa_system_vgpr_workitem_id 0
		.amdhsa_next_free_vgpr 10
		.amdhsa_next_free_sgpr 24
		.amdhsa_reserve_vcc 1
		.amdhsa_reserve_flat_scratch 0
		.amdhsa_float_round_mode_32 0
		.amdhsa_float_round_mode_16_64 0
		.amdhsa_float_denorm_mode_32 3
		.amdhsa_float_denorm_mode_16_64 3
		.amdhsa_dx10_clamp 1
		.amdhsa_ieee_mode 1
		.amdhsa_fp16_overflow 0
		.amdhsa_workgroup_processor_mode 1
		.amdhsa_memory_ordered 1
		.amdhsa_forward_progress 1
		.amdhsa_shared_vgpr_count 0
		.amdhsa_exception_fp_ieee_invalid_op 0
		.amdhsa_exception_fp_denorm_src 0
		.amdhsa_exception_fp_ieee_div_zero 0
		.amdhsa_exception_fp_ieee_overflow 0
		.amdhsa_exception_fp_ieee_underflow 0
		.amdhsa_exception_fp_ieee_inexact 0
		.amdhsa_exception_int_div_zero 0
	.end_amdhsa_kernel
	.section	.text._ZN2at6native12_GLOBAL__N_133GammaBetaBackwardSimpleCUDAKernelIffLb0EEEvllPKT_S5_PKT0_S8_PS3_S9_,"axG",@progbits,_ZN2at6native12_GLOBAL__N_133GammaBetaBackwardSimpleCUDAKernelIffLb0EEEvllPKT_S5_PKT0_S8_PS3_S9_,comdat
.Lfunc_end49:
	.size	_ZN2at6native12_GLOBAL__N_133GammaBetaBackwardSimpleCUDAKernelIffLb0EEEvllPKT_S5_PKT0_S8_PS3_S9_, .Lfunc_end49-_ZN2at6native12_GLOBAL__N_133GammaBetaBackwardSimpleCUDAKernelIffLb0EEEvllPKT_S5_PKT0_S8_PS3_S9_
                                        ; -- End function
	.set _ZN2at6native12_GLOBAL__N_133GammaBetaBackwardSimpleCUDAKernelIffLb0EEEvllPKT_S5_PKT0_S8_PS3_S9_.num_vgpr, 10
	.set _ZN2at6native12_GLOBAL__N_133GammaBetaBackwardSimpleCUDAKernelIffLb0EEEvllPKT_S5_PKT0_S8_PS3_S9_.num_agpr, 0
	.set _ZN2at6native12_GLOBAL__N_133GammaBetaBackwardSimpleCUDAKernelIffLb0EEEvllPKT_S5_PKT0_S8_PS3_S9_.numbered_sgpr, 24
	.set _ZN2at6native12_GLOBAL__N_133GammaBetaBackwardSimpleCUDAKernelIffLb0EEEvllPKT_S5_PKT0_S8_PS3_S9_.num_named_barrier, 0
	.set _ZN2at6native12_GLOBAL__N_133GammaBetaBackwardSimpleCUDAKernelIffLb0EEEvllPKT_S5_PKT0_S8_PS3_S9_.private_seg_size, 0
	.set _ZN2at6native12_GLOBAL__N_133GammaBetaBackwardSimpleCUDAKernelIffLb0EEEvllPKT_S5_PKT0_S8_PS3_S9_.uses_vcc, 1
	.set _ZN2at6native12_GLOBAL__N_133GammaBetaBackwardSimpleCUDAKernelIffLb0EEEvllPKT_S5_PKT0_S8_PS3_S9_.uses_flat_scratch, 0
	.set _ZN2at6native12_GLOBAL__N_133GammaBetaBackwardSimpleCUDAKernelIffLb0EEEvllPKT_S5_PKT0_S8_PS3_S9_.has_dyn_sized_stack, 0
	.set _ZN2at6native12_GLOBAL__N_133GammaBetaBackwardSimpleCUDAKernelIffLb0EEEvllPKT_S5_PKT0_S8_PS3_S9_.has_recursion, 0
	.set _ZN2at6native12_GLOBAL__N_133GammaBetaBackwardSimpleCUDAKernelIffLb0EEEvllPKT_S5_PKT0_S8_PS3_S9_.has_indirect_call, 0
	.section	.AMDGPU.csdata,"",@progbits
; Kernel info:
; codeLenInByte = 460
; TotalNumSgprs: 26
; NumVgprs: 10
; ScratchSize: 0
; MemoryBound: 0
; FloatMode: 240
; IeeeMode: 1
; LDSByteSize: 0 bytes/workgroup (compile time only)
; SGPRBlocks: 0
; VGPRBlocks: 1
; NumSGPRsForWavesPerEU: 26
; NumVGPRsForWavesPerEU: 10
; Occupancy: 16
; WaveLimiterHint : 0
; COMPUTE_PGM_RSRC2:SCRATCH_EN: 0
; COMPUTE_PGM_RSRC2:USER_SGPR: 6
; COMPUTE_PGM_RSRC2:TRAP_HANDLER: 0
; COMPUTE_PGM_RSRC2:TGID_X_EN: 1
; COMPUTE_PGM_RSRC2:TGID_Y_EN: 0
; COMPUTE_PGM_RSRC2:TGID_Z_EN: 0
; COMPUTE_PGM_RSRC2:TIDIG_COMP_CNT: 0
	.section	.text._ZN2at6native12_GLOBAL__N_135GammaBetaBackwardCUDAKernelTemplateIffLj64ELj1ELj32ELb1ELb1ELb0EEEvllPKT_S5_PKT0_S8_PS3_S9_,"axG",@progbits,_ZN2at6native12_GLOBAL__N_135GammaBetaBackwardCUDAKernelTemplateIffLj64ELj1ELj32ELb1ELb1ELb0EEEvllPKT_S5_PKT0_S8_PS3_S9_,comdat
	.globl	_ZN2at6native12_GLOBAL__N_135GammaBetaBackwardCUDAKernelTemplateIffLj64ELj1ELj32ELb1ELb1ELb0EEEvllPKT_S5_PKT0_S8_PS3_S9_ ; -- Begin function _ZN2at6native12_GLOBAL__N_135GammaBetaBackwardCUDAKernelTemplateIffLj64ELj1ELj32ELb1ELb1ELb0EEEvllPKT_S5_PKT0_S8_PS3_S9_
	.p2align	8
	.type	_ZN2at6native12_GLOBAL__N_135GammaBetaBackwardCUDAKernelTemplateIffLj64ELj1ELj32ELb1ELb1ELb0EEEvllPKT_S5_PKT0_S8_PS3_S9_,@function
_ZN2at6native12_GLOBAL__N_135GammaBetaBackwardCUDAKernelTemplateIffLj64ELj1ELj32ELb1ELb1ELb0EEEvllPKT_S5_PKT0_S8_PS3_S9_: ; @_ZN2at6native12_GLOBAL__N_135GammaBetaBackwardCUDAKernelTemplateIffLj64ELj1ELj32ELb1ELb1ELb0EEEvllPKT_S5_PKT0_S8_PS3_S9_
; %bb.0:
	s_load_dwordx4 s[16:19], s[4:5], 0x0
	s_lshl_b32 s2, s7, 5
	s_mov_b32 s3, 0
	s_waitcnt lgkmcnt(0)
	v_cmp_gt_i64_e64 s0, s[16:17], s[2:3]
	s_and_b32 vcc_lo, exec_lo, s0
	s_cbranch_vccnz .LBB50_2
; %bb.1:
	s_add_u32 s24, s4, 64
	s_addc_u32 s25, s5, 0
	s_mov_b32 s0, s3
	s_branch .LBB50_3
.LBB50_2:
	s_mov_b32 s0, -1
                                        ; implicit-def: $sgpr24_sgpr25
.LBB50_3:
	s_load_dwordx4 s[20:23], s[4:5], 0x30
	v_mov_b32_e32 v43, 0
	v_mov_b32_e32 v26, 0
	s_andn2_b32 vcc_lo, exec_lo, s0
	s_cbranch_vccnz .LBB50_8
; %bb.4:
	s_clause 0x2
	s_load_dword s0, s[4:5], 0x4c
	s_load_dword s1, s[4:5], 0x44
	s_load_dwordx8 s[8:15], s[4:5], 0x10
	v_lshlrev_b32_e32 v4, 5, v1
	s_add_u32 s24, s4, 64
	s_addc_u32 s25, s5, 0
	v_mov_b32_e32 v3, 0
	v_lshl_or_b32 v2, s6, 6, v0
	v_mov_b32_e32 v8, 4
	v_mov_b32_e32 v9, 8
	;; [unrolled: 1-line block ×4, first 2 shown]
	v_lshlrev_b64 v[40:41], 2, v[2:3]
	v_mov_b32_e32 v12, 20
	v_mov_b32_e32 v13, 24
	;; [unrolled: 1-line block ×7, first 2 shown]
	s_waitcnt lgkmcnt(0)
	s_and_b32 s0, s0, 0xffff
	s_lshl_b32 s26, s1, 5
	v_mad_u32_u24 v5, v1, s0, v0
	v_add_co_u32 v42, s0, v4, s2
	v_add_co_ci_u32_e64 v43, null, 0, 0, s0
	v_and_b32_e32 v26, 31, v5
	v_mul_lo_u32 v6, s19, v42
	v_mad_u64_u32 v[4:5], null, s18, v42, 0
	v_mul_lo_u32 v7, s18, v43
	s_mul_i32 s0, s19, s26
	s_mul_hi_u32 s1, s18, s26
	v_mov_b32_e32 v19, 48
	v_mov_b32_e32 v20, 52
	;; [unrolled: 1-line block ×5, first 2 shown]
	v_add3_u32 v5, v5, v7, v6
	v_mov_b32_e32 v24, 0x44
	v_mov_b32_e32 v25, 0x48
	v_mov_b32_e32 v27, 0x4c
	v_mov_b32_e32 v28, 0x50
	v_lshlrev_b64 v[6:7], 2, v[4:5]
	v_add_co_u32 v4, vcc_lo, v42, v26
	v_add_co_ci_u32_e64 v5, null, 0, v43, vcc_lo
	v_mov_b32_e32 v29, 0x54
	v_add_co_u32 v2, vcc_lo, v6, v40
	v_add_co_ci_u32_e64 v40, null, v7, v41, vcc_lo
	v_lshlrev_b64 v[6:7], 2, v[4:5]
	v_mov_b32_e32 v30, 0x58
	v_mov_b32_e32 v31, 0x5c
	;; [unrolled: 1-line block ×12, first 2 shown]
	s_mov_b32 s27, 0
	s_add_i32 s1, s1, s0
	s_mul_i32 s0, s18, s26
	s_lshl_b64 s[28:29], s[26:27], 2
	s_lshl_b64 s[4:5], s[0:1], 2
	;; [unrolled: 1-line block ×3, first 2 shown]
	s_branch .LBB50_6
.LBB50_5:                               ;   in Loop: Header=BB50_6 Depth=1
	s_or_b32 exec_lo, exec_lo, s0
	v_add_co_u32 v45, vcc_lo, s10, v2
	v_add_co_ci_u32_e64 v46, null, s11, v40, vcc_lo
	v_add_co_u32 v47, vcc_lo, s8, v2
	v_add_co_ci_u32_e64 v48, null, s9, v40, vcc_lo
	v_add_co_u32 v49, vcc_lo, v45, s30
	global_load_dword v63, v[45:46], off
	v_add_co_ci_u32_e64 v50, null, s31, v46, vcc_lo
	v_add_co_u32 v46, vcc_lo, v47, s30
	global_load_dword v44, v[47:48], off
	global_load_dword v64, v[49:50], off
	v_add_co_ci_u32_e64 v47, null, s31, v48, vcc_lo
	v_add_co_u32 v48, vcc_lo, v49, s30
	v_add_co_ci_u32_e64 v49, null, s31, v50, vcc_lo
	global_load_dword v45, v[46:47], off
	v_add_co_u32 v50, vcc_lo, v46, s30
	global_load_dword v65, v[48:49], off
	v_add_co_ci_u32_e64 v51, null, s31, v47, vcc_lo
	v_add_co_u32 v48, vcc_lo, v48, s30
	v_add_co_ci_u32_e64 v49, null, s31, v49, vcc_lo
	global_load_dword v46, v[50:51], off
	v_add_co_u32 v50, vcc_lo, v50, s30
	;; [unrolled: 6-line block ×4, first 2 shown]
	global_load_dword v68, v[51:52], off
	v_add_co_ci_u32_e64 v50, null, s31, v50, vcc_lo
	v_add_co_u32 v53, vcc_lo, v49, s30
	v_add_co_u32 v51, s0, v51, s30
	global_load_dword v49, v[49:50], off
	v_add_co_ci_u32_e64 v52, null, s31, v52, s0
	v_add_co_ci_u32_e64 v54, null, s31, v50, vcc_lo
	v_add_co_u32 v57, s0, v51, s30
	global_load_dword v69, v[51:52], off
	global_load_dword v50, v[53:54], off
	v_add_co_ci_u32_e64 v58, null, s31, v52, s0
	v_add_co_u32 v55, vcc_lo, v53, s30
	v_add_co_ci_u32_e64 v56, null, s31, v54, vcc_lo
	global_load_dword v70, v[57:58], off
	v_add_co_u32 v59, s0, v55, s30
	global_load_dword v51, v[55:56], off
	v_add_co_ci_u32_e64 v60, null, s31, v56, s0
	s_add_u32 s2, s2, s26
	s_addc_u32 s3, s3, 0
	global_load_dword v52, v[59:60], off
	v_add_co_u32 v53, vcc_lo, v57, s30
	v_add_co_ci_u32_e64 v54, null, s31, v58, vcc_lo
	v_add_co_u32 v55, vcc_lo, v59, s30
	v_add_co_ci_u32_e64 v56, null, s31, v60, vcc_lo
	global_load_dword v71, v[53:54], off
	v_add_co_u32 v57, s0, v53, s30
	v_add_co_ci_u32_e64 v58, null, s31, v54, s0
	s_waitcnt vmcnt(19)
	ds_bpermute_b32 v54, v3, v42
	v_add_co_u32 v59, vcc_lo, v57, s30
	v_add_co_ci_u32_e64 v60, null, s31, v58, vcc_lo
	v_add_co_u32 v61, s0, v55, s30
	global_load_dword v53, v[55:56], off
	v_add_co_u32 v55, vcc_lo, v59, s30
	global_load_dword v73, v[59:60], off
	ds_bpermute_b32 v59, v8, v42
	global_load_dword v72, v[57:58], off
	s_waitcnt vmcnt(21)
	ds_bpermute_b32 v57, v3, v41
	v_add_co_ci_u32_e64 v62, null, s31, v56, s0
	v_add_co_ci_u32_e64 v56, null, s31, v60, vcc_lo
	ds_bpermute_b32 v60, v8, v41
	v_cmp_lt_i64_e64 s0, s[2:3], s[16:17]
	s_waitcnt vmcnt(20) lgkmcnt(3)
	v_sub_f32_e32 v54, v63, v54
	global_load_dword v63, v[55:56], off
	s_waitcnt vmcnt(20)
	v_mul_f32_e32 v54, v44, v54
	s_waitcnt vmcnt(19) lgkmcnt(2)
	v_sub_f32_e32 v59, v64, v59
	v_add_f32_e32 v43, v43, v44
	ds_bpermute_b32 v44, v31, v42
	s_waitcnt lgkmcnt(2)
	v_fmac_f32_e32 v26, v54, v57
	v_add_co_u32 v57, vcc_lo, v61, s30
	s_waitcnt vmcnt(18)
	v_mul_f32_e32 v59, v45, v59
	v_add_co_ci_u32_e64 v58, null, s31, v62, vcc_lo
	global_load_dword v54, v[61:62], off
	v_add_f32_e32 v43, v43, v45
	s_waitcnt lgkmcnt(1)
	v_fmac_f32_e32 v26, v59, v60
	v_add_co_u32 v59, vcc_lo, v55, s30
	ds_bpermute_b32 v55, v9, v42
	v_add_co_ci_u32_e64 v60, null, s31, v56, vcc_lo
	ds_bpermute_b32 v56, v9, v41
	v_add_co_u32 v61, vcc_lo, v57, s30
	v_add_co_ci_u32_e64 v62, null, s31, v58, vcc_lo
	global_load_dword v64, v[59:60], off
	s_waitcnt vmcnt(18)
	v_add_f32_e32 v43, v43, v46
	ds_bpermute_b32 v45, v32, v42
	s_waitcnt vmcnt(16)
	v_add_f32_e32 v43, v43, v47
	s_waitcnt lgkmcnt(2)
	v_sub_f32_e32 v55, v65, v55
	s_waitcnt vmcnt(14)
	v_add_f32_e32 v43, v43, v48
	v_mul_f32_e32 v55, v46, v55
	ds_bpermute_b32 v46, v31, v41
	s_waitcnt lgkmcnt(2)
	v_fmac_f32_e32 v26, v55, v56
	ds_bpermute_b32 v56, v10, v42
	global_load_dword v55, v[57:58], off
	ds_bpermute_b32 v57, v10, v41
	ds_bpermute_b32 v58, v11, v42
	s_waitcnt vmcnt(13)
	v_add_f32_e32 v43, v43, v49
	s_waitcnt vmcnt(11)
	v_add_f32_e32 v43, v43, v50
	;; [unrolled: 2-line block ×3, first 2 shown]
	s_waitcnt lgkmcnt(2)
	v_sub_f32_e32 v56, v66, v56
	s_waitcnt lgkmcnt(0)
	v_sub_f32_e32 v58, v67, v58
	v_mul_f32_e32 v56, v47, v56
	s_waitcnt vmcnt(8)
	v_add_f32_e32 v43, v43, v52
	ds_bpermute_b32 v47, v33, v42
	v_mul_f32_e32 v58, v48, v58
	ds_bpermute_b32 v48, v32, v41
	v_fmac_f32_e32 v26, v56, v57
	v_add_co_u32 v56, vcc_lo, v59, s30
	ds_bpermute_b32 v59, v11, v41
	v_add_co_ci_u32_e64 v57, null, s31, v60, vcc_lo
	ds_bpermute_b32 v60, v12, v42
	global_load_dword v65, v[56:57], off
	s_waitcnt vmcnt(7)
	v_add_f32_e32 v43, v43, v53
	s_waitcnt lgkmcnt(1)
	v_fmac_f32_e32 v26, v58, v59
	v_add_co_u32 v58, vcc_lo, v61, s30
	v_add_co_ci_u32_e64 v59, null, s31, v62, vcc_lo
	global_load_dword v62, v[61:62], off
	ds_bpermute_b32 v61, v12, v41
	s_waitcnt lgkmcnt(1)
	v_sub_f32_e32 v60, v68, v60
	global_load_dword v66, v[58:59], off
	v_mul_f32_e32 v60, v49, v60
	ds_bpermute_b32 v49, v34, v42
	s_waitcnt lgkmcnt(1)
	v_fmac_f32_e32 v26, v60, v61
	v_add_co_u32 v60, vcc_lo, v56, s30
	ds_bpermute_b32 v56, v13, v42
	v_add_co_ci_u32_e64 v61, null, s31, v57, vcc_lo
	ds_bpermute_b32 v57, v13, v41
	global_load_dword v67, v[60:61], off
	s_waitcnt lgkmcnt(1)
	v_sub_f32_e32 v56, v69, v56
	v_mul_f32_e32 v56, v50, v56
	ds_bpermute_b32 v50, v33, v41
	s_waitcnt lgkmcnt(1)
	v_fmac_f32_e32 v26, v56, v57
	v_add_co_u32 v56, vcc_lo, v58, s30
	ds_bpermute_b32 v58, v14, v42
	v_add_co_ci_u32_e64 v57, null, s31, v59, vcc_lo
	ds_bpermute_b32 v59, v14, v41
	global_load_dword v68, v[56:57], off
	s_waitcnt lgkmcnt(1)
	v_sub_f32_e32 v58, v70, v58
	;; [unrolled: 11-line block ×3, first 2 shown]
	v_mul_f32_e32 v60, v52, v60
	s_waitcnt lgkmcnt(0)
	v_fmac_f32_e32 v26, v60, v61
	v_add_co_u32 v60, vcc_lo, v56, s30
	ds_bpermute_b32 v56, v16, v42
	v_add_co_ci_u32_e64 v61, null, s31, v57, vcc_lo
	ds_bpermute_b32 v57, v16, v41
	global_load_dword v70, v[60:61], off
	s_waitcnt vmcnt(11) lgkmcnt(1)
	v_sub_f32_e32 v56, v72, v56
	v_mul_f32_e32 v56, v53, v56
	s_waitcnt lgkmcnt(0)
	v_fmac_f32_e32 v26, v56, v57
	v_add_co_u32 v56, vcc_lo, v58, s30
	ds_bpermute_b32 v58, v17, v42
	v_add_co_ci_u32_e64 v57, null, s31, v59, vcc_lo
	ds_bpermute_b32 v59, v17, v41
	s_waitcnt lgkmcnt(1)
	v_sub_f32_e32 v58, v73, v58
	s_waitcnt vmcnt(9)
	v_mul_f32_e32 v58, v54, v58
	v_add_f32_e32 v43, v43, v54
	s_waitcnt lgkmcnt(0)
	v_fmac_f32_e32 v26, v58, v59
	v_add_co_u32 v58, vcc_lo, v60, s30
	ds_bpermute_b32 v60, v18, v42
	v_add_co_ci_u32_e64 v59, null, s31, v61, vcc_lo
	ds_bpermute_b32 v61, v18, v41
	s_waitcnt lgkmcnt(1)
	v_sub_f32_e32 v60, v63, v60
	global_load_dword v63, v[56:57], off
	s_waitcnt vmcnt(8)
	v_mul_f32_e32 v60, v55, v60
	v_add_f32_e32 v43, v43, v55
	s_waitcnt lgkmcnt(0)
	v_fmac_f32_e32 v26, v60, v61
	v_add_co_u32 v60, vcc_lo, v56, s30
	ds_bpermute_b32 v56, v19, v42
	v_add_co_ci_u32_e64 v61, null, s31, v57, vcc_lo
	ds_bpermute_b32 v57, v19, v41
	s_waitcnt lgkmcnt(1)
	v_sub_f32_e32 v56, v64, v56
	global_load_dword v64, v[58:59], off
	s_waitcnt vmcnt(7)
	v_mul_f32_e32 v56, v62, v56
	v_add_f32_e32 v43, v43, v62
	s_waitcnt lgkmcnt(0)
	v_fmac_f32_e32 v26, v56, v57
	v_add_co_u32 v56, vcc_lo, v58, s30
	ds_bpermute_b32 v58, v20, v42
	v_add_co_ci_u32_e64 v57, null, s31, v59, vcc_lo
	ds_bpermute_b32 v59, v20, v41
	s_waitcnt vmcnt(6)
	v_add_f32_e32 v43, v43, v66
	s_waitcnt lgkmcnt(1)
	v_sub_f32_e32 v58, v65, v58
	global_load_dword v65, v[60:61], off
	v_mul_f32_e32 v58, v66, v58
	s_waitcnt lgkmcnt(0)
	v_fmac_f32_e32 v26, v58, v59
	v_add_co_u32 v58, vcc_lo, v60, s30
	ds_bpermute_b32 v60, v21, v42
	v_add_co_ci_u32_e64 v59, null, s31, v61, vcc_lo
	ds_bpermute_b32 v61, v21, v41
	s_waitcnt vmcnt(6) lgkmcnt(1)
	v_sub_f32_e32 v60, v67, v60
	global_load_dword v67, v[56:57], off
	s_waitcnt vmcnt(6)
	v_add_f32_e32 v43, v43, v68
	v_mul_f32_e32 v60, v68, v60
	s_waitcnt lgkmcnt(0)
	v_fmac_f32_e32 v26, v60, v61
	v_add_co_u32 v60, vcc_lo, v56, s30
	ds_bpermute_b32 v56, v22, v42
	v_add_co_ci_u32_e64 v61, null, s31, v57, vcc_lo
	ds_bpermute_b32 v57, v22, v41
	s_waitcnt vmcnt(5) lgkmcnt(1)
	v_sub_f32_e32 v56, v69, v56
	global_load_dword v69, v[58:59], off
	s_waitcnt vmcnt(5)
	v_mul_f32_e32 v56, v70, v56
	v_add_f32_e32 v43, v43, v70
	s_waitcnt lgkmcnt(0)
	v_fmac_f32_e32 v26, v56, v57
	v_add_co_u32 v56, vcc_lo, v58, s30
	ds_bpermute_b32 v58, v23, v42
	v_add_co_ci_u32_e64 v57, null, s31, v59, vcc_lo
	ds_bpermute_b32 v59, v23, v41
	s_waitcnt vmcnt(4) lgkmcnt(1)
	v_sub_f32_e32 v58, v63, v58
	global_load_dword v63, v[60:61], off
	s_waitcnt vmcnt(4)
	v_mul_f32_e32 v58, v64, v58
	v_add_f32_e32 v43, v43, v64
	;; [unrolled: 12-line block ×4, first 2 shown]
	s_waitcnt lgkmcnt(0)
	v_fmac_f32_e32 v26, v56, v57
	v_add_co_u32 v56, vcc_lo, v58, s30
	ds_bpermute_b32 v58, v27, v42
	v_add_co_ci_u32_e64 v57, null, s31, v59, vcc_lo
	ds_bpermute_b32 v59, v27, v41
	global_load_dword v71, v[56:57], off
	s_waitcnt vmcnt(2) lgkmcnt(1)
	v_sub_f32_e32 v58, v65, v58
	global_load_dword v65, v[60:61], off
	s_waitcnt vmcnt(2)
	v_mul_f32_e32 v58, v69, v58
	v_add_f32_e32 v43, v43, v69
	s_waitcnt lgkmcnt(0)
	v_fmac_f32_e32 v26, v58, v59
	v_add_co_u32 v58, vcc_lo, v60, s30
	v_add_co_ci_u32_e64 v59, null, s31, v61, vcc_lo
	v_add_co_u32 v60, vcc_lo, v56, s30
	ds_bpermute_b32 v56, v28, v42
	v_add_co_ci_u32_e64 v61, null, s31, v57, vcc_lo
	ds_bpermute_b32 v57, v28, v41
	global_load_dword v72, v[60:61], off
	s_waitcnt vmcnt(2)
	v_add_f32_e32 v43, v43, v71
	s_waitcnt vmcnt(1) lgkmcnt(1)
	v_sub_f32_e32 v56, v65, v56
	global_load_dword v65, v[58:59], off
	v_mul_f32_e32 v56, v71, v56
	s_waitcnt lgkmcnt(0)
	v_fmac_f32_e32 v26, v56, v57
	v_add_co_u32 v56, vcc_lo, v58, s30
	v_add_co_ci_u32_e64 v57, null, s31, v59, vcc_lo
	v_add_co_u32 v58, vcc_lo, v60, s30
	ds_bpermute_b32 v60, v29, v42
	v_add_co_ci_u32_e64 v59, null, s31, v61, vcc_lo
	ds_bpermute_b32 v61, v29, v41
	global_load_dword v73, v[58:59], off
	s_waitcnt vmcnt(2)
	v_add_f32_e32 v43, v43, v72
	s_waitcnt vmcnt(1) lgkmcnt(1)
	v_sub_f32_e32 v60, v65, v60
	global_load_dword v65, v[56:57], off
	v_mul_f32_e32 v60, v72, v60
	s_waitcnt lgkmcnt(0)
	v_fmac_f32_e32 v26, v60, v61
	v_add_co_u32 v60, vcc_lo, v56, s30
	v_add_co_ci_u32_e64 v61, null, s31, v57, vcc_lo
	v_add_co_u32 v56, vcc_lo, v58, s30
	ds_bpermute_b32 v58, v30, v42
	v_add_co_ci_u32_e64 v57, null, s31, v59, vcc_lo
	ds_bpermute_b32 v59, v30, v41
	s_waitcnt vmcnt(1)
	v_add_f32_e32 v43, v43, v73
	global_load_dword v74, v[56:57], off
	s_waitcnt vmcnt(1) lgkmcnt(1)
	v_sub_f32_e32 v58, v65, v58
	global_load_dword v65, v[60:61], off
	v_mul_f32_e32 v58, v73, v58
	s_waitcnt lgkmcnt(0)
	v_fmac_f32_e32 v26, v58, v59
	v_add_co_u32 v58, vcc_lo, v60, s30
	v_add_co_ci_u32_e64 v59, null, s31, v61, vcc_lo
	v_add_co_u32 v60, vcc_lo, v56, s30
	v_add_co_ci_u32_e64 v61, null, s31, v57, vcc_lo
	;; [unrolled: 2-line block ×3, first 2 shown]
	global_load_dword v75, v[58:59], off
	v_add_co_u32 v58, vcc_lo, v60, s30
	v_add_co_ci_u32_e64 v59, null, s31, v61, vcc_lo
	global_load_dword v76, v[60:61], off
	v_add_co_u32 v60, vcc_lo, v56, s30
	v_add_co_ci_u32_e64 v61, null, s31, v57, vcc_lo
	;; [unrolled: 3-line block ×3, first 2 shown]
	global_load_dword v78, v[58:59], off
	v_add_co_u32 v58, vcc_lo, v60, s30
	global_load_dword v79, v[60:61], off
	v_add_co_ci_u32_e64 v59, null, s31, v61, vcc_lo
	v_add_co_u32 v60, vcc_lo, v56, s30
	v_add_co_ci_u32_e64 v61, null, s31, v57, vcc_lo
	global_load_dword v80, v[56:57], off
	v_add_co_u32 v56, vcc_lo, v60, s30
	v_add_co_ci_u32_e64 v57, null, s31, v61, vcc_lo
	global_load_dword v81, v[60:61], off
	;; [unrolled: 3-line block ×7, first 2 shown]
	v_add_co_u32 v58, vcc_lo, v60, s30
	global_load_dword v87, v[60:61], off
	v_add_co_ci_u32_e64 v59, null, s31, v61, vcc_lo
	v_add_co_u32 v60, vcc_lo, v56, s30
	v_add_co_ci_u32_e64 v61, null, s31, v57, vcc_lo
	global_load_dword v56, v[56:57], off
	global_load_dword v57, v[58:59], off
	;; [unrolled: 1-line block ×3, first 2 shown]
	s_waitcnt vmcnt(17)
	v_add_f32_e32 v43, v43, v74
	v_add_co_u32 v2, vcc_lo, v2, s4
	v_add_co_ci_u32_e64 v40, null, s5, v40, vcc_lo
	v_add_co_u32 v6, vcc_lo, v6, s28
	v_add_co_ci_u32_e64 v7, null, s29, v7, vcc_lo
	;; [unrolled: 2-line block ×3, first 2 shown]
	s_and_b32 vcc_lo, exec_lo, s0
	s_waitcnt vmcnt(16)
	v_sub_f32_e32 v44, v65, v44
	v_mul_f32_e32 v44, v74, v44
	v_fmac_f32_e32 v26, v44, v46
	ds_bpermute_b32 v44, v35, v42
	ds_bpermute_b32 v46, v34, v41
	s_waitcnt vmcnt(15)
	v_sub_f32_e32 v45, v75, v45
	s_waitcnt vmcnt(14)
	v_mul_f32_e32 v45, v76, v45
	v_add_f32_e32 v43, v43, v76
	s_waitcnt vmcnt(13)
	v_sub_f32_e32 v47, v77, v47
	v_fmac_f32_e32 v26, v45, v48
	ds_bpermute_b32 v48, v35, v41
	s_waitcnt vmcnt(12)
	v_mul_f32_e32 v45, v78, v47
	v_add_f32_e32 v43, v43, v78
	s_waitcnt vmcnt(11)
	v_sub_f32_e32 v47, v79, v49
	ds_bpermute_b32 v49, v37, v42
	v_fmac_f32_e32 v26, v45, v50
	ds_bpermute_b32 v50, v38, v42
	ds_bpermute_b32 v42, v39, v42
	s_waitcnt vmcnt(10)
	v_mul_f32_e32 v45, v80, v47
	ds_bpermute_b32 v47, v36, v41
	v_add_f32_e32 v43, v43, v80
	s_waitcnt lgkmcnt(5)
	v_fmac_f32_e32 v26, v45, v46
	ds_bpermute_b32 v45, v37, v41
	s_waitcnt vmcnt(9)
	v_add_f32_e32 v43, v43, v81
	s_waitcnt vmcnt(8)
	v_sub_f32_e32 v44, v82, v44
	v_mul_f32_e32 v44, v81, v44
	s_waitcnt vmcnt(7)
	v_add_f32_e32 v43, v43, v83
	s_waitcnt vmcnt(6)
	v_sub_f32_e32 v46, v84, v51
	ds_bpermute_b32 v51, v38, v41
	s_waitcnt lgkmcnt(6)
	v_fmac_f32_e32 v26, v44, v48
	ds_bpermute_b32 v41, v39, v41
	v_mul_f32_e32 v44, v83, v46
	s_waitcnt vmcnt(5) lgkmcnt(6)
	v_sub_f32_e32 v46, v85, v49
	s_waitcnt lgkmcnt(3)
	v_fmac_f32_e32 v26, v44, v47
	s_waitcnt vmcnt(4)
	v_mul_f32_e32 v44, v86, v46
	v_add_f32_e32 v43, v43, v86
	s_waitcnt vmcnt(3)
	v_sub_f32_e32 v46, v87, v50
	s_waitcnt lgkmcnt(2)
	v_fmac_f32_e32 v26, v44, v45
	s_waitcnt vmcnt(2)
	v_mul_f32_e32 v44, v56, v46
	s_waitcnt vmcnt(1)
	v_sub_f32_e32 v42, v57, v42
	v_add_f32_e32 v43, v43, v56
	s_waitcnt lgkmcnt(1)
	v_fmac_f32_e32 v26, v44, v51
	s_waitcnt vmcnt(0)
	v_mul_f32_e32 v42, v58, v42
	v_add_f32_e32 v43, v43, v58
	s_waitcnt lgkmcnt(0)
	v_fmac_f32_e32 v26, v42, v41
	s_cbranch_vccz .LBB50_8
.LBB50_6:                               ; =>This Inner Loop Header: Depth=1
	v_mov_b32_e32 v41, 0
	v_mov_b32_e32 v42, 0
	s_mov_b32 s0, exec_lo
	v_cmpx_gt_i64_e64 s[16:17], v[4:5]
	s_cbranch_execz .LBB50_5
; %bb.7:                                ;   in Loop: Header=BB50_6 Depth=1
	v_add_co_u32 v41, vcc_lo, s12, v6
	v_add_co_ci_u32_e64 v42, null, s13, v7, vcc_lo
	v_add_co_u32 v44, vcc_lo, s14, v6
	v_add_co_ci_u32_e64 v45, null, s15, v7, vcc_lo
	global_load_dword v42, v[41:42], off
	global_load_dword v41, v[44:45], off
	s_branch .LBB50_5
.LBB50_8:
	s_load_dword s0, s[24:25], 0xc
	v_mov_b32_e32 v2, 0
	s_waitcnt lgkmcnt(0)
	s_lshr_b32 s0, s0, 16
	v_mad_u64_u32 v[1:2], null, s0, s7, v[1:2]
	s_mov_b32 s7, 0
	s_lshl_b64 s[0:1], s[6:7], 6
	s_cmp_eq_u64 s[20:21], 0
	v_or_b32_e32 v5, s0, v0
	v_mov_b32_e32 v6, s1
	v_mul_lo_u32 v0, v2, s18
	v_mul_lo_u32 v4, v1, s19
	v_lshlrev_b64 v[2:3], 2, v[5:6]
	s_cbranch_scc1 .LBB50_10
; %bb.9:
	v_mad_u64_u32 v[5:6], null, v1, s18, 0
	v_add3_u32 v6, v6, v4, v0
	v_lshlrev_b64 v[5:6], 2, v[5:6]
	v_add_co_u32 v5, vcc_lo, s20, v5
	v_add_co_ci_u32_e64 v6, null, s21, v6, vcc_lo
	v_add_co_u32 v5, vcc_lo, v5, v2
	v_add_co_ci_u32_e64 v6, null, v6, v3, vcc_lo
	global_store_dword v[5:6], v26, off
.LBB50_10:
	s_cmp_eq_u64 s[22:23], 0
	s_cbranch_scc1 .LBB50_12
; %bb.11:
	v_mad_u64_u32 v[5:6], null, v1, s18, 0
	v_add3_u32 v6, v6, v4, v0
	v_lshlrev_b64 v[0:1], 2, v[5:6]
	v_add_co_u32 v0, vcc_lo, s22, v0
	v_add_co_ci_u32_e64 v1, null, s23, v1, vcc_lo
	v_add_co_u32 v0, vcc_lo, v0, v2
	v_add_co_ci_u32_e64 v1, null, v1, v3, vcc_lo
	global_store_dword v[0:1], v43, off
.LBB50_12:
	s_endpgm
	.section	.rodata,"a",@progbits
	.p2align	6, 0x0
	.amdhsa_kernel _ZN2at6native12_GLOBAL__N_135GammaBetaBackwardCUDAKernelTemplateIffLj64ELj1ELj32ELb1ELb1ELb0EEEvllPKT_S5_PKT0_S8_PS3_S9_
		.amdhsa_group_segment_fixed_size 0
		.amdhsa_private_segment_fixed_size 0
		.amdhsa_kernarg_size 320
		.amdhsa_user_sgpr_count 6
		.amdhsa_user_sgpr_private_segment_buffer 1
		.amdhsa_user_sgpr_dispatch_ptr 0
		.amdhsa_user_sgpr_queue_ptr 0
		.amdhsa_user_sgpr_kernarg_segment_ptr 1
		.amdhsa_user_sgpr_dispatch_id 0
		.amdhsa_user_sgpr_flat_scratch_init 0
		.amdhsa_user_sgpr_private_segment_size 0
		.amdhsa_wavefront_size32 1
		.amdhsa_uses_dynamic_stack 0
		.amdhsa_system_sgpr_private_segment_wavefront_offset 0
		.amdhsa_system_sgpr_workgroup_id_x 1
		.amdhsa_system_sgpr_workgroup_id_y 1
		.amdhsa_system_sgpr_workgroup_id_z 0
		.amdhsa_system_sgpr_workgroup_info 0
		.amdhsa_system_vgpr_workitem_id 1
		.amdhsa_next_free_vgpr 88
		.amdhsa_next_free_sgpr 32
		.amdhsa_reserve_vcc 1
		.amdhsa_reserve_flat_scratch 0
		.amdhsa_float_round_mode_32 0
		.amdhsa_float_round_mode_16_64 0
		.amdhsa_float_denorm_mode_32 3
		.amdhsa_float_denorm_mode_16_64 3
		.amdhsa_dx10_clamp 1
		.amdhsa_ieee_mode 1
		.amdhsa_fp16_overflow 0
		.amdhsa_workgroup_processor_mode 1
		.amdhsa_memory_ordered 1
		.amdhsa_forward_progress 1
		.amdhsa_shared_vgpr_count 0
		.amdhsa_exception_fp_ieee_invalid_op 0
		.amdhsa_exception_fp_denorm_src 0
		.amdhsa_exception_fp_ieee_div_zero 0
		.amdhsa_exception_fp_ieee_overflow 0
		.amdhsa_exception_fp_ieee_underflow 0
		.amdhsa_exception_fp_ieee_inexact 0
		.amdhsa_exception_int_div_zero 0
	.end_amdhsa_kernel
	.section	.text._ZN2at6native12_GLOBAL__N_135GammaBetaBackwardCUDAKernelTemplateIffLj64ELj1ELj32ELb1ELb1ELb0EEEvllPKT_S5_PKT0_S8_PS3_S9_,"axG",@progbits,_ZN2at6native12_GLOBAL__N_135GammaBetaBackwardCUDAKernelTemplateIffLj64ELj1ELj32ELb1ELb1ELb0EEEvllPKT_S5_PKT0_S8_PS3_S9_,comdat
.Lfunc_end50:
	.size	_ZN2at6native12_GLOBAL__N_135GammaBetaBackwardCUDAKernelTemplateIffLj64ELj1ELj32ELb1ELb1ELb0EEEvllPKT_S5_PKT0_S8_PS3_S9_, .Lfunc_end50-_ZN2at6native12_GLOBAL__N_135GammaBetaBackwardCUDAKernelTemplateIffLj64ELj1ELj32ELb1ELb1ELb0EEEvllPKT_S5_PKT0_S8_PS3_S9_
                                        ; -- End function
	.set _ZN2at6native12_GLOBAL__N_135GammaBetaBackwardCUDAKernelTemplateIffLj64ELj1ELj32ELb1ELb1ELb0EEEvllPKT_S5_PKT0_S8_PS3_S9_.num_vgpr, 88
	.set _ZN2at6native12_GLOBAL__N_135GammaBetaBackwardCUDAKernelTemplateIffLj64ELj1ELj32ELb1ELb1ELb0EEEvllPKT_S5_PKT0_S8_PS3_S9_.num_agpr, 0
	.set _ZN2at6native12_GLOBAL__N_135GammaBetaBackwardCUDAKernelTemplateIffLj64ELj1ELj32ELb1ELb1ELb0EEEvllPKT_S5_PKT0_S8_PS3_S9_.numbered_sgpr, 32
	.set _ZN2at6native12_GLOBAL__N_135GammaBetaBackwardCUDAKernelTemplateIffLj64ELj1ELj32ELb1ELb1ELb0EEEvllPKT_S5_PKT0_S8_PS3_S9_.num_named_barrier, 0
	.set _ZN2at6native12_GLOBAL__N_135GammaBetaBackwardCUDAKernelTemplateIffLj64ELj1ELj32ELb1ELb1ELb0EEEvllPKT_S5_PKT0_S8_PS3_S9_.private_seg_size, 0
	.set _ZN2at6native12_GLOBAL__N_135GammaBetaBackwardCUDAKernelTemplateIffLj64ELj1ELj32ELb1ELb1ELb0EEEvllPKT_S5_PKT0_S8_PS3_S9_.uses_vcc, 1
	.set _ZN2at6native12_GLOBAL__N_135GammaBetaBackwardCUDAKernelTemplateIffLj64ELj1ELj32ELb1ELb1ELb0EEEvllPKT_S5_PKT0_S8_PS3_S9_.uses_flat_scratch, 0
	.set _ZN2at6native12_GLOBAL__N_135GammaBetaBackwardCUDAKernelTemplateIffLj64ELj1ELj32ELb1ELb1ELb0EEEvllPKT_S5_PKT0_S8_PS3_S9_.has_dyn_sized_stack, 0
	.set _ZN2at6native12_GLOBAL__N_135GammaBetaBackwardCUDAKernelTemplateIffLj64ELj1ELj32ELb1ELb1ELb0EEEvllPKT_S5_PKT0_S8_PS3_S9_.has_recursion, 0
	.set _ZN2at6native12_GLOBAL__N_135GammaBetaBackwardCUDAKernelTemplateIffLj64ELj1ELj32ELb1ELb1ELb0EEEvllPKT_S5_PKT0_S8_PS3_S9_.has_indirect_call, 0
	.section	.AMDGPU.csdata,"",@progbits
; Kernel info:
; codeLenInByte = 3796
; TotalNumSgprs: 34
; NumVgprs: 88
; ScratchSize: 0
; MemoryBound: 0
; FloatMode: 240
; IeeeMode: 1
; LDSByteSize: 0 bytes/workgroup (compile time only)
; SGPRBlocks: 0
; VGPRBlocks: 10
; NumSGPRsForWavesPerEU: 34
; NumVGPRsForWavesPerEU: 88
; Occupancy: 10
; WaveLimiterHint : 0
; COMPUTE_PGM_RSRC2:SCRATCH_EN: 0
; COMPUTE_PGM_RSRC2:USER_SGPR: 6
; COMPUTE_PGM_RSRC2:TRAP_HANDLER: 0
; COMPUTE_PGM_RSRC2:TGID_X_EN: 1
; COMPUTE_PGM_RSRC2:TGID_Y_EN: 1
; COMPUTE_PGM_RSRC2:TGID_Z_EN: 0
; COMPUTE_PGM_RSRC2:TIDIG_COMP_CNT: 1
	.section	.text._ZN2at6native12_GLOBAL__N_135GammaBetaBackwardCUDAKernelTemplateIffLj64ELj1ELj32ELb1ELb0ELb0EEEvllPKT_S5_PKT0_S8_PS3_S9_,"axG",@progbits,_ZN2at6native12_GLOBAL__N_135GammaBetaBackwardCUDAKernelTemplateIffLj64ELj1ELj32ELb1ELb0ELb0EEEvllPKT_S5_PKT0_S8_PS3_S9_,comdat
	.globl	_ZN2at6native12_GLOBAL__N_135GammaBetaBackwardCUDAKernelTemplateIffLj64ELj1ELj32ELb1ELb0ELb0EEEvllPKT_S5_PKT0_S8_PS3_S9_ ; -- Begin function _ZN2at6native12_GLOBAL__N_135GammaBetaBackwardCUDAKernelTemplateIffLj64ELj1ELj32ELb1ELb0ELb0EEEvllPKT_S5_PKT0_S8_PS3_S9_
	.p2align	8
	.type	_ZN2at6native12_GLOBAL__N_135GammaBetaBackwardCUDAKernelTemplateIffLj64ELj1ELj32ELb1ELb0ELb0EEEvllPKT_S5_PKT0_S8_PS3_S9_,@function
_ZN2at6native12_GLOBAL__N_135GammaBetaBackwardCUDAKernelTemplateIffLj64ELj1ELj32ELb1ELb0ELb0EEEvllPKT_S5_PKT0_S8_PS3_S9_: ; @_ZN2at6native12_GLOBAL__N_135GammaBetaBackwardCUDAKernelTemplateIffLj64ELj1ELj32ELb1ELb0ELb0EEEvllPKT_S5_PKT0_S8_PS3_S9_
; %bb.0:
	s_mov_b64 s[38:39], s[2:3]
	s_mov_b64 s[36:37], s[0:1]
	s_mov_b32 s0, s7
	s_add_u32 s36, s36, s8
	s_clause 0x1
	s_load_dwordx8 s[8:15], s[4:5], 0x0
	s_load_dwordx4 s[16:19], s[4:5], 0x20
	s_addc_u32 s37, s37, 0
	s_lshl_b32 s7, s6, 6
	s_mov_b32 s21, 0
	s_or_b32 s20, s7, 63
	v_mov_b32_e32 v228, v0
	s_waitcnt lgkmcnt(0)
	v_cmp_le_i64_e64 s1, s[10:11], s[20:21]
	s_lshl_b32 s20, s0, 5
	v_cmp_gt_i64_e64 s28, s[8:9], s[20:21]
	s_and_b32 vcc_lo, exec_lo, s1
	v_cndmask_b32_e64 v0, 0, 1, s28
	v_cmp_ne_u32_e64 s1, 1, v0
	s_cbranch_vccz .LBB51_141
; %bb.1:
	v_mov_b32_e32 v230, 0
	v_mov_b32_e32 v168, 0
	s_and_b32 vcc_lo, exec_lo, s1
	s_cbranch_vccnz .LBB51_142
; %bb.2:
	v_lshlrev_b32_e32 v39, 5, v1
	v_mov_b32_e32 v2, 0
	v_add_nc_u32_e32 v9, s7, v228
	s_load_dword s2, s[4:5], 0x44
	s_add_u32 s22, s4, 64
	v_add_co_u32 v5, s1, v39, s20
	v_add_co_ci_u32_e64 v6, null, 0, 0, s1
	v_mov_b32_e32 v10, v2
	v_mul_lo_u32 v7, s11, v5
	v_mad_u64_u32 v[3:4], null, s10, v5, 0
	v_mul_lo_u32 v8, s10, v6
	v_cmp_gt_i64_e64 s1, s[10:11], v[9:10]
	v_lshlrev_b64 v[35:36], 2, v[9:10]
	s_addc_u32 s23, s5, 0
	v_mov_b32_e32 v40, v2
	v_mov_b32_e32 v193, 0
	;; [unrolled: 1-line block ×3, first 2 shown]
	s_mov_b64 s[26:27], s[20:21]
	v_add3_u32 v4, v4, v8, v7
	v_add_co_u32 v7, vcc_lo, v5, 31
	v_add_co_ci_u32_e64 v8, null, 0, v6, vcc_lo
	v_add_co_u32 v9, vcc_lo, v5, 30
	v_add_co_ci_u32_e64 v10, null, 0, v6, vcc_lo
	v_lshlrev_b64 v[15:16], 2, v[3:4]
	v_mul_lo_u32 v11, s11, v7
	v_mul_lo_u32 v12, s10, v8
	v_mad_u64_u32 v[7:8], null, s10, v7, 0
	v_mul_lo_u32 v13, s11, v9
	v_mul_lo_u32 v14, s10, v10
	v_mad_u64_u32 v[9:10], null, s10, v9, 0
	v_add_co_u32 v41, vcc_lo, s12, v15
	v_add_co_ci_u32_e64 v42, null, s13, v16, vcc_lo
	v_add_co_u32 v43, vcc_lo, s14, v15
	v_add3_u32 v8, v8, v12, v11
	v_add_co_ci_u32_e64 v44, null, s15, v16, vcc_lo
	v_add_co_u32 v11, vcc_lo, v5, 29
	v_add3_u32 v10, v10, v14, v13
	v_add_co_ci_u32_e64 v12, null, 0, v6, vcc_lo
	v_lshlrev_b64 v[15:16], 2, v[7:8]
	v_mul_lo_u32 v13, s11, v11
	v_lshlrev_b64 v[7:8], 2, v[9:10]
	v_mul_lo_u32 v12, s10, v12
	v_mad_u64_u32 v[9:10], null, s10, v11, 0
	v_add_co_u32 v45, vcc_lo, s12, v15
	v_add_co_ci_u32_e64 v46, null, s13, v16, vcc_lo
	v_add_co_u32 v47, vcc_lo, s14, v15
	v_add3_u32 v10, v10, v12, v13
	s_waitcnt lgkmcnt(0)
	s_lshl_b32 s29, s2, 5
	v_add_co_ci_u32_e64 v48, null, s15, v16, vcc_lo
	v_add_co_u32 v49, vcc_lo, s12, v7
	s_mul_i32 s2, s11, s29
	s_mul_hi_u32 s3, s10, s29
	v_add_co_ci_u32_e64 v50, null, s13, v8, vcc_lo
	v_add_co_u32 v11, vcc_lo, v5, 28
	s_add_i32 s25, s3, s2
	v_add_co_u32 v51, s2, s14, v7
	v_lshlrev_b64 v[15:16], 2, v[9:10]
	v_add_co_ci_u32_e64 v7, null, 0, v6, vcc_lo
	v_add_co_u32 v9, vcc_lo, v5, 27
	v_add_co_ci_u32_e64 v10, null, 0, v6, vcc_lo
	v_add_co_ci_u32_e64 v52, null, s15, v8, s2
	v_mul_lo_u32 v12, s11, v11
	v_mul_lo_u32 v13, s10, v7
	v_mad_u64_u32 v[7:8], null, s10, v11, 0
	v_mul_lo_u32 v11, s11, v9
	v_mul_lo_u32 v14, s10, v10
	v_mad_u64_u32 v[9:10], null, s10, v9, 0
	v_add_co_u32 v53, vcc_lo, s12, v15
	v_add_co_ci_u32_e64 v54, null, s13, v16, vcc_lo
	v_add_co_u32 v55, vcc_lo, s14, v15
	v_add_co_ci_u32_e64 v56, null, s15, v16, vcc_lo
	v_add3_u32 v10, v10, v14, v11
	v_add_co_u32 v11, vcc_lo, v5, 26
	v_add3_u32 v8, v8, v13, v12
	v_add_co_ci_u32_e64 v12, null, 0, v6, vcc_lo
	v_mul_lo_u32 v13, s11, v11
	s_mul_i32 s24, s10, s29
	v_lshlrev_b64 v[15:16], 2, v[7:8]
	v_lshlrev_b64 v[7:8], 2, v[9:10]
	v_mul_lo_u32 v12, s10, v12
	v_mad_u64_u32 v[9:10], null, s10, v11, 0
	v_add_co_u32 v57, vcc_lo, s12, v15
	v_add_co_ci_u32_e64 v58, null, s13, v16, vcc_lo
	v_add_co_u32 v59, vcc_lo, s14, v15
	v_add3_u32 v10, v10, v12, v13
	v_add_co_ci_u32_e64 v60, null, s15, v16, vcc_lo
	v_add_co_u32 v61, vcc_lo, s12, v7
	v_add_co_ci_u32_e64 v62, null, s13, v8, vcc_lo
	v_add_co_u32 v15, vcc_lo, v5, 25
	v_add_co_u32 v63, s2, s14, v7
	v_add_co_ci_u32_e64 v0, null, s15, v8, s2
	v_lshlrev_b64 v[7:8], 2, v[9:10]
	v_add_co_ci_u32_e64 v9, null, 0, v6, vcc_lo
	v_add_co_u32 v11, vcc_lo, v5, 24
	v_add_co_ci_u32_e64 v12, null, 0, v6, vcc_lo
	v_mul_lo_u32 v13, s11, v15
	v_mul_lo_u32 v14, s10, v9
	v_mad_u64_u32 v[9:10], null, s10, v15, 0
	v_mul_lo_u32 v15, s11, v11
	v_mul_lo_u32 v16, s10, v12
	v_mad_u64_u32 v[11:12], null, s10, v11, 0
	v_add_co_u32 v225, vcc_lo, s12, v7
	v_add_co_ci_u32_e64 v64, null, s13, v8, vcc_lo
	v_add_co_u32 v65, vcc_lo, s14, v7
	v_add3_u32 v10, v10, v14, v13
	v_add_co_ci_u32_e64 v66, null, s15, v8, vcc_lo
	v_add_co_u32 v13, vcc_lo, v5, 23
	v_add3_u32 v12, v12, v16, v15
	v_add_co_ci_u32_e64 v14, null, 0, v6, vcc_lo
	v_lshlrev_b64 v[7:8], 2, v[9:10]
	v_mul_lo_u32 v15, s11, v13
	v_lshlrev_b64 v[9:10], 2, v[11:12]
	v_mul_lo_u32 v14, s10, v14
	v_mad_u64_u32 v[11:12], null, s10, v13, 0
	v_add_co_u32 v67, vcc_lo, s12, v7
	v_add_co_ci_u32_e64 v68, null, s13, v8, vcc_lo
	v_add_co_u32 v69, vcc_lo, s14, v7
	v_add3_u32 v12, v12, v14, v15
	v_add_co_ci_u32_e64 v70, null, s15, v8, vcc_lo
	v_add_co_u32 v71, vcc_lo, s12, v9
	v_add_co_ci_u32_e64 v72, null, s13, v10, vcc_lo
	v_add_co_u32 v13, vcc_lo, v5, 22
	v_add_co_u32 v73, s2, s14, v9
	v_lshlrev_b64 v[7:8], 2, v[11:12]
	v_add_co_ci_u32_e64 v9, null, 0, v6, vcc_lo
	v_add_co_u32 v11, vcc_lo, v5, 21
	v_add_co_ci_u32_e64 v12, null, 0, v6, vcc_lo
	v_add_co_ci_u32_e64 v74, null, s15, v10, s2
	v_mul_lo_u32 v14, s11, v13
	v_mul_lo_u32 v15, s10, v9
	v_mad_u64_u32 v[9:10], null, s10, v13, 0
	v_mul_lo_u32 v13, s11, v11
	v_mul_lo_u32 v16, s10, v12
	v_mad_u64_u32 v[11:12], null, s10, v11, 0
	v_add_co_u32 v75, vcc_lo, s12, v7
	v_add_co_ci_u32_e64 v76, null, s13, v8, vcc_lo
	v_add_co_u32 v77, vcc_lo, s14, v7
	v_add_co_ci_u32_e64 v78, null, s15, v8, vcc_lo
	v_add3_u32 v12, v12, v16, v13
	v_add_co_u32 v13, vcc_lo, v5, 20
	v_add3_u32 v10, v10, v15, v14
	v_add_co_ci_u32_e64 v14, null, 0, v6, vcc_lo
	v_mul_lo_u32 v15, s11, v13
	v_lshlrev_b64 v[7:8], 2, v[9:10]
	v_lshlrev_b64 v[9:10], 2, v[11:12]
	v_mul_lo_u32 v14, s10, v14
	v_mad_u64_u32 v[11:12], null, s10, v13, 0
	v_add_co_u32 v79, vcc_lo, s12, v7
	v_add_co_ci_u32_e64 v80, null, s13, v8, vcc_lo
	v_add_co_u32 v81, vcc_lo, s14, v7
	v_add3_u32 v12, v12, v14, v15
	v_add_co_ci_u32_e64 v82, null, s15, v8, vcc_lo
	v_add_co_u32 v83, vcc_lo, s12, v9
	v_add_co_ci_u32_e64 v84, null, s13, v10, vcc_lo
	v_add_co_u32 v13, vcc_lo, v5, 19
	v_add_co_u32 v85, s2, s14, v9
	v_lshlrev_b64 v[7:8], 2, v[11:12]
	v_add_co_ci_u32_e64 v9, null, 0, v6, vcc_lo
	v_add_co_u32 v11, vcc_lo, v5, 18
	v_add_co_ci_u32_e64 v12, null, 0, v6, vcc_lo
	v_add_co_ci_u32_e64 v86, null, s15, v10, s2
	v_mul_lo_u32 v14, s11, v13
	v_mul_lo_u32 v15, s10, v9
	v_mad_u64_u32 v[9:10], null, s10, v13, 0
	v_mul_lo_u32 v13, s11, v11
	v_mul_lo_u32 v16, s10, v12
	v_mad_u64_u32 v[11:12], null, s10, v11, 0
	v_add_co_u32 v87, vcc_lo, s12, v7
	v_add_co_ci_u32_e64 v88, null, s13, v8, vcc_lo
	v_add_co_u32 v89, vcc_lo, s14, v7
	v_add_co_ci_u32_e64 v90, null, s15, v8, vcc_lo
	v_add3_u32 v12, v12, v16, v13
	v_add_co_u32 v13, vcc_lo, v5, 17
	v_add3_u32 v10, v10, v15, v14
	v_add_co_ci_u32_e64 v14, null, 0, v6, vcc_lo
	v_mul_lo_u32 v15, s11, v13
	v_lshlrev_b64 v[7:8], 2, v[9:10]
	;; [unrolled: 33-line block ×4, first 2 shown]
	v_lshlrev_b64 v[9:10], 2, v[11:12]
	v_mul_lo_u32 v14, s10, v14
	v_mad_u64_u32 v[11:12], null, s10, v13, 0
	v_add_co_u32 v115, vcc_lo, s12, v7
	v_add_co_ci_u32_e64 v116, null, s13, v8, vcc_lo
	v_add_co_u32 v117, vcc_lo, s14, v7
	v_add3_u32 v12, v12, v14, v15
	v_add_co_ci_u32_e64 v118, null, s15, v8, vcc_lo
	v_add_co_u32 v119, vcc_lo, s12, v9
	v_add_co_ci_u32_e64 v120, null, s13, v10, vcc_lo
	v_add_co_u32 v13, vcc_lo, v5, 10
	v_add_co_u32 v121, s2, s14, v9
	v_lshlrev_b64 v[7:8], 2, v[11:12]
	v_add_co_ci_u32_e64 v9, null, 0, v6, vcc_lo
	v_add_co_u32 v11, vcc_lo, v5, 9
	v_add_co_ci_u32_e64 v12, null, 0, v6, vcc_lo
	v_add_co_ci_u32_e64 v122, null, s15, v10, s2
	v_mul_lo_u32 v14, s11, v13
	v_mul_lo_u32 v15, s10, v9
	v_mad_u64_u32 v[9:10], null, s10, v13, 0
	v_mul_lo_u32 v13, s11, v11
	v_mul_lo_u32 v16, s10, v12
	v_mad_u64_u32 v[11:12], null, s10, v11, 0
	v_add_co_u32 v123, vcc_lo, s12, v7
	v_add_co_ci_u32_e64 v124, null, s13, v8, vcc_lo
	v_add_co_u32 v125, vcc_lo, s14, v7
	v_add3_u32 v10, v10, v15, v14
	v_add_co_ci_u32_e64 v126, null, s15, v8, vcc_lo
	v_add3_u32 v12, v12, v16, v13
	v_add_co_u32 v13, vcc_lo, v5, 8
	v_add_co_ci_u32_e64 v14, null, 0, v6, vcc_lo
	v_lshlrev_b64 v[7:8], 2, v[9:10]
	v_lshlrev_b64 v[9:10], 2, v[11:12]
	v_mul_lo_u32 v15, s11, v13
	v_mul_lo_u32 v14, s10, v14
	v_mad_u64_u32 v[11:12], null, s10, v13, 0
	v_add_co_u32 v127, vcc_lo, s12, v7
	v_add_co_ci_u32_e64 v128, null, s13, v8, vcc_lo
	v_add_co_u32 v129, vcc_lo, s14, v7
	v_add_co_ci_u32_e64 v130, null, s15, v8, vcc_lo
	v_add_co_u32 v131, vcc_lo, s12, v9
	v_add3_u32 v12, v12, v14, v15
	v_add_co_ci_u32_e64 v132, null, s13, v10, vcc_lo
	v_add_co_u32 v13, vcc_lo, v5, 7
	v_add_co_u32 v133, s2, s14, v9
	v_add_co_ci_u32_e64 v9, null, 0, v6, vcc_lo
	v_lshlrev_b64 v[7:8], 2, v[11:12]
	v_add_co_u32 v11, vcc_lo, v5, 6
	v_add_co_ci_u32_e64 v12, null, 0, v6, vcc_lo
	v_add_co_ci_u32_e64 v134, null, s15, v10, s2
	v_mul_lo_u32 v14, s11, v13
	v_mul_lo_u32 v15, s10, v9
	v_mad_u64_u32 v[9:10], null, s10, v13, 0
	v_mul_lo_u32 v13, s11, v11
	v_mul_lo_u32 v16, s10, v12
	v_mad_u64_u32 v[11:12], null, s10, v11, 0
	v_add_co_u32 v135, vcc_lo, s12, v7
	v_add3_u32 v10, v10, v15, v14
	v_add_co_ci_u32_e64 v136, null, s13, v8, vcc_lo
	v_add_co_u32 v137, vcc_lo, s14, v7
	v_add_co_ci_u32_e64 v138, null, s15, v8, vcc_lo
	v_add3_u32 v12, v12, v16, v13
	v_add_co_u32 v13, vcc_lo, v5, 5
	v_lshlrev_b64 v[7:8], 2, v[9:10]
	v_add_co_ci_u32_e64 v14, null, 0, v6, vcc_lo
	v_lshlrev_b64 v[9:10], 2, v[11:12]
	v_mul_lo_u32 v15, s11, v13
	v_mad_u64_u32 v[11:12], null, s10, v13, 0
	v_add_co_u32 v139, vcc_lo, s12, v7
	v_mul_lo_u32 v14, s10, v14
	v_add_co_ci_u32_e64 v140, null, s13, v8, vcc_lo
	v_add_co_u32 v141, vcc_lo, s14, v7
	v_add_co_ci_u32_e64 v142, null, s15, v8, vcc_lo
	v_add_co_u32 v143, vcc_lo, s12, v9
	;; [unrolled: 2-line block ×3, first 2 shown]
	v_add3_u32 v12, v12, v14, v15
	v_add_co_u32 v145, s2, s14, v9
	v_add_co_ci_u32_e64 v9, null, 0, v6, vcc_lo
	v_add_co_ci_u32_e64 v146, null, s15, v10, s2
	v_lshlrev_b64 v[7:8], 2, v[11:12]
	v_mul_lo_u32 v14, s11, v13
	v_add_co_u32 v11, vcc_lo, v5, 3
	v_mul_lo_u32 v15, s10, v9
	v_mad_u64_u32 v[9:10], null, s10, v13, 0
	v_add_co_ci_u32_e64 v12, null, 0, v6, vcc_lo
	v_mul_lo_u32 v13, s11, v11
	v_add_co_u32 v147, vcc_lo, s12, v7
	v_mul_lo_u32 v16, s10, v12
	v_mad_u64_u32 v[11:12], null, s10, v11, 0
	v_add3_u32 v10, v10, v15, v14
	v_add_co_ci_u32_e64 v148, null, s13, v8, vcc_lo
	v_add_co_u32 v149, vcc_lo, s14, v7
	v_add_co_ci_u32_e64 v150, null, s15, v8, vcc_lo
	v_lshlrev_b64 v[7:8], 2, v[9:10]
	v_add_co_u32 v9, vcc_lo, v5, 2
	v_add3_u32 v12, v12, v16, v13
	v_add_co_ci_u32_e64 v10, null, 0, v6, vcc_lo
	v_add_co_u32 v151, vcc_lo, s12, v7
	v_lshlrev_b64 v[5:6], 2, v[11:12]
	v_mul_lo_u32 v11, s11, v9
	v_mul_lo_u32 v12, s10, v10
	v_mad_u64_u32 v[9:10], null, s10, v9, 0
	v_add_co_ci_u32_e64 v152, null, s13, v8, vcc_lo
	v_add_co_u32 v153, vcc_lo, s14, v7
	v_add_co_ci_u32_e64 v154, null, s15, v8, vcc_lo
	v_add_co_u32 v155, vcc_lo, s12, v5
	v_add_co_ci_u32_e64 v156, null, s13, v6, vcc_lo
	v_add3_u32 v10, v10, v12, v11
	v_add_co_u32 v157, vcc_lo, s14, v5
	v_add_co_ci_u32_e64 v158, null, s15, v6, vcc_lo
	v_add_co_u32 v3, vcc_lo, v3, s10
	v_add_co_ci_u32_e64 v4, null, s11, v4, vcc_lo
	v_lshlrev_b64 v[5:6], 2, v[9:10]
	s_lshl_b64 s[2:3], s[24:25], 2
	s_mov_b64 s[24:25], 31
	v_lshlrev_b64 v[3:4], 2, v[3:4]
	v_add_co_u32 v159, vcc_lo, s12, v5
	v_add_co_ci_u32_e64 v160, null, s13, v6, vcc_lo
	v_add_co_u32 v161, vcc_lo, s14, v5
	v_add_co_ci_u32_e64 v162, null, s15, v6, vcc_lo
	;; [unrolled: 2-line block ×4, first 2 shown]
.LBB51_3:                               ; =>This Inner Loop Header: Depth=1
	s_add_u32 s30, s20, s24
	s_addc_u32 s31, 0, s25
	v_add_co_u32 v37, vcc_lo, s20, v39
	v_cmp_ge_i64_e64 s30, s[30:31], s[8:9]
	v_add_co_ci_u32_e64 v38, null, 0, v40, vcc_lo
                                        ; implicit-def: $vgpr3_vgpr4_vgpr5_vgpr6_vgpr7_vgpr8_vgpr9_vgpr10_vgpr11_vgpr12_vgpr13_vgpr14_vgpr15_vgpr16_vgpr17_vgpr18_vgpr19_vgpr20_vgpr21_vgpr22_vgpr23_vgpr24_vgpr25_vgpr26_vgpr27_vgpr28_vgpr29_vgpr30_vgpr31_vgpr32_vgpr33_vgpr34
                                        ; implicit-def: $vgpr165
                                        ; implicit-def: $vgpr184
                                        ; implicit-def: $vgpr3
                                        ; implicit-def: $vgpr4
                                        ; implicit-def: $vgpr168
	s_and_b32 vcc_lo, exec_lo, s30
	s_mov_b32 s30, -1
	s_cbranch_vccz .LBB51_71
; %bb.4:                                ;   in Loop: Header=BB51_3 Depth=1
	s_load_dword s30, s[22:23], 0xc
	v_mov_b32_e32 v165, 0
	v_mov_b32_e32 v170, 0
	v_mov_b32_e32 v169, 0
	s_waitcnt lgkmcnt(0)
	s_and_b32 s30, s30, 0xffff
	v_mad_u32_u24 v3, v1, s30, v228
	s_mov_b32 s30, exec_lo
	v_and_b32_e32 v3, 31, v3
	v_add_co_u32 v3, vcc_lo, v37, v3
	v_add_co_ci_u32_e64 v4, null, 0, v38, vcc_lo
	v_cmpx_gt_i64_e64 s[8:9], v[3:4]
	s_cbranch_execz .LBB51_6
; %bb.5:                                ;   in Loop: Header=BB51_3 Depth=1
	v_lshlrev_b64 v[3:4], 2, v[3:4]
	v_add_co_u32 v5, vcc_lo, s16, v3
	v_add_co_ci_u32_e64 v6, null, s17, v4, vcc_lo
	v_add_co_u32 v3, vcc_lo, s18, v3
	v_add_co_ci_u32_e64 v4, null, s19, v4, vcc_lo
	global_load_dword v169, v[5:6], off
	global_load_dword v170, v[3:4], off
.LBB51_6:                               ;   in Loop: Header=BB51_3 Depth=1
	s_or_b32 exec_lo, exec_lo, s30
	v_mov_b32_e32 v33, v2
	v_cmp_gt_i64_e32 vcc_lo, s[8:9], v[37:38]
	v_mov_b32_e32 v3, v2
	v_mov_b32_e32 v4, v2
	;; [unrolled: 1-line block ×62, first 2 shown]
	s_and_b32 s31, s1, vcc_lo
	s_and_saveexec_b32 s30, s31
	s_cbranch_execz .LBB51_8
; %bb.7:                                ;   in Loop: Header=BB51_3 Depth=1
	v_add_co_u32 v3, vcc_lo, v41, v35
	v_add_co_ci_u32_e64 v4, null, v42, v36, vcc_lo
	v_add_co_u32 v5, vcc_lo, v43, v35
	v_add_co_ci_u32_e64 v6, null, v44, v36, vcc_lo
	global_load_dword v3, v[3:4], off
	global_load_dword v165, v[5:6], off
	v_mov_b32_e32 v4, v2
	v_mov_b32_e32 v5, v2
	;; [unrolled: 1-line block ×31, first 2 shown]
.LBB51_8:                               ;   in Loop: Header=BB51_3 Depth=1
	s_or_b32 exec_lo, exec_lo, s30
	v_add_co_u32 v171, vcc_lo, v37, 1
	v_add_co_ci_u32_e64 v172, null, 0, v38, vcc_lo
	v_cmp_gt_i64_e32 vcc_lo, s[8:9], v[171:172]
	v_mov_b32_e32 v171, 0
	v_mov_b32_e32 v172, 0
	s_and_b32 s31, s1, vcc_lo
	s_and_saveexec_b32 s30, s31
	s_cbranch_execz .LBB51_10
; %bb.9:                                ;   in Loop: Header=BB51_3 Depth=1
	v_add_co_u32 v172, vcc_lo, v163, v35
	v_add_co_ci_u32_e64 v173, null, v164, v36, vcc_lo
	v_add_co_u32 v174, vcc_lo, v166, v35
	v_add_co_ci_u32_e64 v175, null, v167, v36, vcc_lo
	global_load_dword v4, v[172:173], off
	global_load_dword v172, v[174:175], off
.LBB51_10:                              ;   in Loop: Header=BB51_3 Depth=1
	s_or_b32 exec_lo, exec_lo, s30
	v_add_co_u32 v173, vcc_lo, v37, 2
	v_add_co_ci_u32_e64 v174, null, 0, v38, vcc_lo
	v_cmp_gt_i64_e32 vcc_lo, s[8:9], v[173:174]
	s_and_b32 s31, s1, vcc_lo
	s_and_saveexec_b32 s30, s31
	s_cbranch_execz .LBB51_12
; %bb.11:                               ;   in Loop: Header=BB51_3 Depth=1
	v_add_co_u32 v173, vcc_lo, v159, v35
	v_add_co_ci_u32_e64 v174, null, v160, v36, vcc_lo
	v_add_co_u32 v175, vcc_lo, v161, v35
	v_add_co_ci_u32_e64 v176, null, v162, v36, vcc_lo
	global_load_dword v5, v[173:174], off
	global_load_dword v171, v[175:176], off
.LBB51_12:                              ;   in Loop: Header=BB51_3 Depth=1
	s_or_b32 exec_lo, exec_lo, s30
	v_add_co_u32 v173, vcc_lo, v37, 3
	v_add_co_ci_u32_e64 v174, null, 0, v38, vcc_lo
	v_cmp_gt_i64_e32 vcc_lo, s[8:9], v[173:174]
	v_mov_b32_e32 v173, 0
	v_mov_b32_e32 v174, 0
	s_and_b32 s31, s1, vcc_lo
	s_and_saveexec_b32 s30, s31
	s_cbranch_execz .LBB51_14
; %bb.13:                               ;   in Loop: Header=BB51_3 Depth=1
	v_add_co_u32 v174, vcc_lo, v155, v35
	v_add_co_ci_u32_e64 v175, null, v156, v36, vcc_lo
	v_add_co_u32 v176, vcc_lo, v157, v35
	v_add_co_ci_u32_e64 v177, null, v158, v36, vcc_lo
	global_load_dword v6, v[174:175], off
	global_load_dword v174, v[176:177], off
.LBB51_14:                              ;   in Loop: Header=BB51_3 Depth=1
	s_or_b32 exec_lo, exec_lo, s30
	v_add_co_u32 v175, vcc_lo, v37, 4
	v_add_co_ci_u32_e64 v176, null, 0, v38, vcc_lo
	v_cmp_gt_i64_e32 vcc_lo, s[8:9], v[175:176]
	s_and_b32 s31, s1, vcc_lo
	s_and_saveexec_b32 s30, s31
	s_cbranch_execz .LBB51_16
; %bb.15:                               ;   in Loop: Header=BB51_3 Depth=1
	v_add_co_u32 v175, vcc_lo, v151, v35
	v_add_co_ci_u32_e64 v176, null, v152, v36, vcc_lo
	v_add_co_u32 v177, vcc_lo, v153, v35
	v_add_co_ci_u32_e64 v178, null, v154, v36, vcc_lo
	global_load_dword v7, v[175:176], off
	global_load_dword v173, v[177:178], off
.LBB51_16:                              ;   in Loop: Header=BB51_3 Depth=1
	s_or_b32 exec_lo, exec_lo, s30
	v_add_co_u32 v175, vcc_lo, v37, 5
	v_add_co_ci_u32_e64 v176, null, 0, v38, vcc_lo
	v_cmp_gt_i64_e32 vcc_lo, s[8:9], v[175:176]
	v_mov_b32_e32 v175, 0
	v_mov_b32_e32 v176, 0
	s_and_b32 s31, s1, vcc_lo
	s_and_saveexec_b32 s30, s31
	s_cbranch_execz .LBB51_18
; %bb.17:                               ;   in Loop: Header=BB51_3 Depth=1
	v_add_co_u32 v176, vcc_lo, v147, v35
	v_add_co_ci_u32_e64 v177, null, v148, v36, vcc_lo
	v_add_co_u32 v178, vcc_lo, v149, v35
	v_add_co_ci_u32_e64 v179, null, v150, v36, vcc_lo
	global_load_dword v8, v[176:177], off
	global_load_dword v176, v[178:179], off
.LBB51_18:                              ;   in Loop: Header=BB51_3 Depth=1
	;; [unrolled: 32-line block ×5, first 2 shown]
	s_or_b32 exec_lo, exec_lo, s30
	v_add_co_u32 v183, vcc_lo, v37, 12
	v_add_co_ci_u32_e64 v184, null, 0, v38, vcc_lo
	v_cmp_gt_i64_e32 vcc_lo, s[8:9], v[183:184]
	s_and_b32 s31, s1, vcc_lo
	s_and_saveexec_b32 s30, s31
	s_cbranch_execz .LBB51_32
; %bb.31:                               ;   in Loop: Header=BB51_3 Depth=1
	v_add_co_u32 v183, vcc_lo, v119, v35
	v_add_co_ci_u32_e64 v184, null, v120, v36, vcc_lo
	v_add_co_u32 v185, vcc_lo, v121, v35
	v_add_co_ci_u32_e64 v186, null, v122, v36, vcc_lo
	global_load_dword v15, v[183:184], off
	global_load_dword v181, v[185:186], off
.LBB51_32:                              ;   in Loop: Header=BB51_3 Depth=1
	s_or_b32 exec_lo, exec_lo, s30
	v_add_co_u32 v183, vcc_lo, v37, 13
	v_add_co_ci_u32_e64 v184, null, 0, v38, vcc_lo
	v_mov_b32_e32 v185, 0
	v_cmp_gt_i64_e32 vcc_lo, s[8:9], v[183:184]
	v_mov_b32_e32 v183, 0
	s_and_b32 s31, s1, vcc_lo
	s_and_saveexec_b32 s30, s31
	s_cbranch_execz .LBB51_34
; %bb.33:                               ;   in Loop: Header=BB51_3 Depth=1
	v_add_co_u32 v184, vcc_lo, v115, v35
	v_add_co_ci_u32_e64 v185, null, v116, v36, vcc_lo
	v_add_co_u32 v186, vcc_lo, v117, v35
	v_add_co_ci_u32_e64 v187, null, v118, v36, vcc_lo
	global_load_dword v16, v[184:185], off
	global_load_dword v185, v[186:187], off
.LBB51_34:                              ;   in Loop: Header=BB51_3 Depth=1
	s_or_b32 exec_lo, exec_lo, s30
	v_add_co_u32 v186, vcc_lo, v37, 14
	v_add_co_ci_u32_e64 v187, null, 0, v38, vcc_lo
	v_cmp_gt_i64_e32 vcc_lo, s[8:9], v[186:187]
	s_and_b32 s31, s1, vcc_lo
	s_and_saveexec_b32 s30, s31
	s_cbranch_execz .LBB51_36
; %bb.35:                               ;   in Loop: Header=BB51_3 Depth=1
	v_add_co_u32 v183, vcc_lo, v111, v35
	v_add_co_ci_u32_e64 v184, null, v112, v36, vcc_lo
	v_add_co_u32 v186, vcc_lo, v113, v35
	v_add_co_ci_u32_e64 v187, null, v114, v36, vcc_lo
	global_load_dword v17, v[183:184], off
	global_load_dword v183, v[186:187], off
.LBB51_36:                              ;   in Loop: Header=BB51_3 Depth=1
	s_or_b32 exec_lo, exec_lo, s30
	v_add_co_u32 v186, vcc_lo, v37, 15
	v_add_co_ci_u32_e64 v187, null, 0, v38, vcc_lo
	v_cmp_gt_i64_e32 vcc_lo, s[8:9], v[186:187]
	v_mov_b32_e32 v186, 0
	v_mov_b32_e32 v187, 0
	s_and_b32 s31, s1, vcc_lo
	s_and_saveexec_b32 s30, s31
	s_cbranch_execz .LBB51_38
; %bb.37:                               ;   in Loop: Header=BB51_3 Depth=1
	v_add_co_u32 v187, vcc_lo, v107, v35
	v_add_co_ci_u32_e64 v188, null, v108, v36, vcc_lo
	v_add_co_u32 v189, vcc_lo, v109, v35
	v_add_co_ci_u32_e64 v190, null, v110, v36, vcc_lo
	global_load_dword v18, v[187:188], off
	global_load_dword v187, v[189:190], off
.LBB51_38:                              ;   in Loop: Header=BB51_3 Depth=1
	s_or_b32 exec_lo, exec_lo, s30
	v_add_co_u32 v188, vcc_lo, v37, 16
	v_add_co_ci_u32_e64 v189, null, 0, v38, vcc_lo
	v_cmp_gt_i64_e32 vcc_lo, s[8:9], v[188:189]
	s_and_b32 s31, s1, vcc_lo
	s_and_saveexec_b32 s30, s31
	s_cbranch_execz .LBB51_40
; %bb.39:                               ;   in Loop: Header=BB51_3 Depth=1
	v_add_co_u32 v188, vcc_lo, v103, v35
	v_add_co_ci_u32_e64 v189, null, v104, v36, vcc_lo
	v_add_co_u32 v190, vcc_lo, v105, v35
	v_add_co_ci_u32_e64 v191, null, v106, v36, vcc_lo
	global_load_dword v19, v[188:189], off
	global_load_dword v186, v[190:191], off
.LBB51_40:                              ;   in Loop: Header=BB51_3 Depth=1
	s_or_b32 exec_lo, exec_lo, s30
	v_add_co_u32 v188, vcc_lo, v37, 17
	v_add_co_ci_u32_e64 v189, null, 0, v38, vcc_lo
	v_cmp_gt_i64_e32 vcc_lo, s[8:9], v[188:189]
	v_mov_b32_e32 v188, 0
	;; [unrolled: 32-line block ×3, first 2 shown]
	v_mov_b32_e32 v191, 0
	s_and_b32 s31, s1, vcc_lo
	s_and_saveexec_b32 s30, s31
	s_cbranch_execz .LBB51_46
; %bb.45:                               ;   in Loop: Header=BB51_3 Depth=1
	v_add_co_u32 v191, vcc_lo, v91, v35
	v_add_co_ci_u32_e64 v192, null, v92, v36, vcc_lo
	v_add_co_u32 v194, vcc_lo, v93, v35
	v_add_co_ci_u32_e64 v195, null, v94, v36, vcc_lo
	global_load_dword v22, v[191:192], off
	global_load_dword v191, v[194:195], off
.LBB51_46:                              ;   in Loop: Header=BB51_3 Depth=1
	s_or_b32 exec_lo, exec_lo, s30
	v_add_co_u32 v194, vcc_lo, v37, 20
	v_add_co_ci_u32_e64 v195, null, 0, v38, vcc_lo
	v_cmp_gt_i64_e32 vcc_lo, s[8:9], v[194:195]
	s_and_b32 s31, s1, vcc_lo
	s_and_saveexec_b32 s30, s31
	s_cbranch_execz .LBB51_48
; %bb.47:                               ;   in Loop: Header=BB51_3 Depth=1
	v_add_co_u32 v194, vcc_lo, v87, v35
	v_add_co_ci_u32_e64 v195, null, v88, v36, vcc_lo
	v_add_co_u32 v196, vcc_lo, v89, v35
	v_add_co_ci_u32_e64 v197, null, v90, v36, vcc_lo
	global_load_dword v23, v[194:195], off
	global_load_dword v190, v[196:197], off
.LBB51_48:                              ;   in Loop: Header=BB51_3 Depth=1
	s_or_b32 exec_lo, exec_lo, s30
	v_add_co_u32 v194, vcc_lo, v37, 21
	v_add_co_ci_u32_e64 v195, null, 0, v38, vcc_lo
	v_mov_b32_e32 v192, 0
	v_cmp_gt_i64_e32 vcc_lo, s[8:9], v[194:195]
	v_mov_b32_e32 v194, 0
	s_and_b32 s31, s1, vcc_lo
	s_and_saveexec_b32 s30, s31
	s_cbranch_execz .LBB51_50
; %bb.49:                               ;   in Loop: Header=BB51_3 Depth=1
	v_add_co_u32 v194, vcc_lo, v83, v35
	v_add_co_ci_u32_e64 v195, null, v84, v36, vcc_lo
	v_add_co_u32 v196, vcc_lo, v85, v35
	v_add_co_ci_u32_e64 v197, null, v86, v36, vcc_lo
	global_load_dword v24, v[194:195], off
	global_load_dword v194, v[196:197], off
.LBB51_50:                              ;   in Loop: Header=BB51_3 Depth=1
	s_or_b32 exec_lo, exec_lo, s30
	v_add_co_u32 v195, vcc_lo, v37, 22
	v_add_co_ci_u32_e64 v196, null, 0, v38, vcc_lo
	v_cmp_gt_i64_e32 vcc_lo, s[8:9], v[195:196]
	s_and_b32 s31, s1, vcc_lo
	s_and_saveexec_b32 s30, s31
	s_cbranch_execz .LBB51_52
; %bb.51:                               ;   in Loop: Header=BB51_3 Depth=1
	v_add_co_u32 v195, vcc_lo, v79, v35
	v_add_co_ci_u32_e64 v196, null, v80, v36, vcc_lo
	v_add_co_u32 v197, vcc_lo, v81, v35
	v_add_co_ci_u32_e64 v198, null, v82, v36, vcc_lo
	global_load_dword v25, v[195:196], off
	global_load_dword v192, v[197:198], off
.LBB51_52:                              ;   in Loop: Header=BB51_3 Depth=1
	s_or_b32 exec_lo, exec_lo, s30
	v_add_co_u32 v195, vcc_lo, v37, 23
	v_add_co_ci_u32_e64 v196, null, 0, v38, vcc_lo
	v_cmp_gt_i64_e32 vcc_lo, s[8:9], v[195:196]
	v_mov_b32_e32 v195, 0
	v_mov_b32_e32 v196, 0
	s_and_b32 s31, s1, vcc_lo
	s_and_saveexec_b32 s30, s31
	s_cbranch_execz .LBB51_54
; %bb.53:                               ;   in Loop: Header=BB51_3 Depth=1
	v_add_co_u32 v196, vcc_lo, v75, v35
	v_add_co_ci_u32_e64 v197, null, v76, v36, vcc_lo
	v_add_co_u32 v198, vcc_lo, v77, v35
	v_add_co_ci_u32_e64 v199, null, v78, v36, vcc_lo
	global_load_dword v26, v[196:197], off
	global_load_dword v196, v[198:199], off
.LBB51_54:                              ;   in Loop: Header=BB51_3 Depth=1
	s_or_b32 exec_lo, exec_lo, s30
	v_add_co_u32 v197, vcc_lo, v37, 24
	v_add_co_ci_u32_e64 v198, null, 0, v38, vcc_lo
	v_cmp_gt_i64_e32 vcc_lo, s[8:9], v[197:198]
	s_and_b32 s31, s1, vcc_lo
	s_and_saveexec_b32 s30, s31
	s_cbranch_execz .LBB51_56
; %bb.55:                               ;   in Loop: Header=BB51_3 Depth=1
	v_add_co_u32 v197, vcc_lo, v71, v35
	v_add_co_ci_u32_e64 v198, null, v72, v36, vcc_lo
	v_add_co_u32 v199, vcc_lo, v73, v35
	v_add_co_ci_u32_e64 v200, null, v74, v36, vcc_lo
	global_load_dword v27, v[197:198], off
	global_load_dword v195, v[199:200], off
.LBB51_56:                              ;   in Loop: Header=BB51_3 Depth=1
	s_or_b32 exec_lo, exec_lo, s30
	v_add_co_u32 v197, vcc_lo, v37, 25
	v_add_co_ci_u32_e64 v198, null, 0, v38, vcc_lo
	v_cmp_gt_i64_e32 vcc_lo, s[8:9], v[197:198]
	v_mov_b32_e32 v197, 0
	;; [unrolled: 32-line block ×4, first 2 shown]
	v_mov_b32_e32 v202, 0
	s_and_b32 s31, s1, vcc_lo
	s_and_saveexec_b32 s30, s31
	s_cbranch_execz .LBB51_66
; %bb.65:                               ;   in Loop: Header=BB51_3 Depth=1
	v_add_co_u32 v202, vcc_lo, v53, v35
	v_add_co_ci_u32_e64 v203, null, v54, v36, vcc_lo
	v_add_co_u32 v204, vcc_lo, v55, v35
	v_add_co_ci_u32_e64 v205, null, v56, v36, vcc_lo
	global_load_dword v32, v[202:203], off
	global_load_dword v202, v[204:205], off
.LBB51_66:                              ;   in Loop: Header=BB51_3 Depth=1
	s_or_b32 exec_lo, exec_lo, s30
	v_add_co_u32 v203, vcc_lo, v37, 30
	v_add_co_ci_u32_e64 v204, null, 0, v38, vcc_lo
	v_cmp_gt_i64_e32 vcc_lo, s[8:9], v[203:204]
	s_and_b32 s31, s1, vcc_lo
	s_and_saveexec_b32 s30, s31
	s_cbranch_execz .LBB51_68
; %bb.67:                               ;   in Loop: Header=BB51_3 Depth=1
	v_add_co_u32 v203, vcc_lo, v49, v35
	v_add_co_ci_u32_e64 v204, null, v50, v36, vcc_lo
	v_add_co_u32 v205, vcc_lo, v51, v35
	v_add_co_ci_u32_e64 v206, null, v52, v36, vcc_lo
	global_load_dword v33, v[203:204], off
	global_load_dword v201, v[205:206], off
.LBB51_68:                              ;   in Loop: Header=BB51_3 Depth=1
	s_or_b32 exec_lo, exec_lo, s30
	v_add_co_u32 v203, vcc_lo, v37, 31
	v_add_co_ci_u32_e64 v204, null, 0, v38, vcc_lo
	v_mov_b32_e32 v184, 0
	v_cmp_gt_i64_e32 vcc_lo, s[8:9], v[203:204]
	s_and_b32 s31, s1, vcc_lo
	s_and_saveexec_b32 s30, s31
	s_cbranch_execz .LBB51_70
; %bb.69:                               ;   in Loop: Header=BB51_3 Depth=1
	v_add_co_u32 v203, vcc_lo, v45, v35
	v_add_co_ci_u32_e64 v204, null, v46, v36, vcc_lo
	v_add_co_u32 v205, vcc_lo, v47, v35
	v_add_co_ci_u32_e64 v206, null, v48, v36, vcc_lo
	global_load_dword v34, v[203:204], off
	global_load_dword v184, v[205:206], off
.LBB51_70:                              ;   in Loop: Header=BB51_3 Depth=1
	s_or_b32 exec_lo, exec_lo, s30
	s_waitcnt vmcnt(1)
	ds_bpermute_b32 v168, v2, v169
	ds_bpermute_b32 v206, v2, v169 offset:4
	s_waitcnt vmcnt(0)
	ds_bpermute_b32 v203, v2, v170
	ds_bpermute_b32 v208, v2, v169 offset:8
	ds_bpermute_b32 v205, v2, v170 offset:4
	;; [unrolled: 1-line block ×5, first 2 shown]
	v_add_f32_e32 v204, v230, v3
	ds_bpermute_b32 v209, v2, v170 offset:12
	ds_bpermute_b32 v214, v2, v169 offset:20
	;; [unrolled: 1-line block ×11, first 2 shown]
	s_waitcnt lgkmcnt(18)
	v_sub_f32_e32 v165, v165, v168
	s_waitcnt lgkmcnt(17)
	v_sub_f32_e32 v168, v172, v206
	ds_bpermute_b32 v224, v2, v169 offset:40
	s_waitcnt lgkmcnt(16)
	v_sub_f32_e32 v171, v171, v208
	ds_bpermute_b32 v221, v2, v170 offset:36
	v_mul_f32_e32 v3, v3, v165
	v_mul_f32_e32 v206, v4, v168
	v_add_f32_e32 v4, v4, v204
	s_waitcnt lgkmcnt(15)
	v_sub_f32_e32 v174, v174, v210
	v_mul_f32_e32 v171, v5, v171
	v_fma_f32 v168, v3, v203, v193
	ds_bpermute_b32 v172, v2, v169 offset:44
	v_add_f32_e32 v4, v5, v4
	s_waitcnt lgkmcnt(14)
	v_sub_f32_e32 v5, v173, v212
	v_mul_f32_e32 v173, v6, v174
	v_fmac_f32_e32 v168, v206, v205
	s_waitcnt lgkmcnt(8)
	v_sub_f32_e32 v174, v178, v218
	v_add_f32_e32 v4, v6, v4
	v_sub_f32_e32 v6, v176, v214
	v_mul_f32_e32 v5, v7, v5
	v_fmac_f32_e32 v168, v171, v207
	ds_bpermute_b32 v223, v2, v170 offset:40
	v_add_f32_e32 v4, v7, v4
	v_sub_f32_e32 v7, v175, v216
	v_mul_f32_e32 v6, v8, v6
	v_fmac_f32_e32 v168, v173, v209
	ds_bpermute_b32 v203, v2, v169 offset:48
	v_add_f32_e32 v4, v8, v4
	v_mul_f32_e32 v7, v9, v7
	s_waitcnt lgkmcnt(8)
	v_sub_f32_e32 v8, v177, v220
	v_fmac_f32_e32 v168, v5, v211
	v_mul_f32_e32 v174, v10, v174
	ds_bpermute_b32 v165, v2, v170 offset:44
	ds_bpermute_b32 v173, v2, v169 offset:52
	v_add_f32_e32 v4, v9, v4
	v_fmac_f32_e32 v168, v6, v213
	s_waitcnt lgkmcnt(8)
	v_sub_f32_e32 v9, v180, v222
	v_mul_f32_e32 v8, v11, v8
	ds_bpermute_b32 v3, v2, v170 offset:48
	ds_bpermute_b32 v6, v2, v169 offset:56
	v_fmac_f32_e32 v168, v7, v215
	v_add_f32_e32 v4, v10, v4
	v_mul_f32_e32 v9, v12, v9
	ds_bpermute_b32 v171, v2, v170 offset:52
	ds_bpermute_b32 v10, v2, v169 offset:60
	v_fmac_f32_e32 v168, v174, v217
	s_waitcnt lgkmcnt(10)
	v_sub_f32_e32 v174, v179, v224
	v_add_f32_e32 v4, v11, v4
	s_waitcnt lgkmcnt(8)
	v_sub_f32_e32 v11, v182, v172
	ds_bpermute_b32 v5, v2, v170 offset:56
	v_fmac_f32_e32 v168, v8, v219
	v_mul_f32_e32 v172, v13, v174
	v_add_f32_e32 v4, v12, v4
	s_waitcnt lgkmcnt(7)
	v_sub_f32_e32 v12, v181, v203
	v_mul_f32_e32 v11, v14, v11
	v_fmac_f32_e32 v168, v9, v221
	ds_bpermute_b32 v9, v2, v169 offset:64
	ds_bpermute_b32 v7, v2, v170 offset:60
	v_add_f32_e32 v4, v13, v4
	ds_bpermute_b32 v13, v2, v169 offset:68
	v_fmac_f32_e32 v168, v172, v223
	s_waitcnt lgkmcnt(8)
	v_sub_f32_e32 v172, v185, v173
	v_mul_f32_e32 v12, v15, v12
	ds_bpermute_b32 v8, v2, v170 offset:64
	v_add_f32_e32 v4, v14, v4
	v_fmac_f32_e32 v168, v11, v165
	ds_bpermute_b32 v11, v2, v169 offset:72
	s_waitcnt lgkmcnt(8)
	v_sub_f32_e32 v6, v183, v6
	v_mul_f32_e32 v14, v16, v172
	s_waitcnt lgkmcnt(6)
	v_sub_f32_e32 v10, v187, v10
	v_fmac_f32_e32 v168, v12, v3
	ds_bpermute_b32 v3, v2, v170 offset:68
	v_mul_f32_e32 v6, v17, v6
	ds_bpermute_b32 v12, v2, v170 offset:72
	v_mul_f32_e32 v10, v18, v10
	v_fmac_f32_e32 v168, v14, v171
	ds_bpermute_b32 v14, v2, v169 offset:76
	v_add_f32_e32 v4, v15, v4
	ds_bpermute_b32 v165, v2, v170 offset:124
	s_mov_b32 s30, 0
	s_waitcnt lgkmcnt(9)
	v_fmac_f32_e32 v168, v6, v5
	s_waitcnt lgkmcnt(8)
	v_sub_f32_e32 v5, v186, v9
	ds_bpermute_b32 v6, v2, v169 offset:80
	s_waitcnt lgkmcnt(7)
	v_sub_f32_e32 v9, v189, v13
	v_add_f32_e32 v4, v16, v4
	v_fmac_f32_e32 v168, v10, v7
	v_mul_f32_e32 v5, v19, v5
	ds_bpermute_b32 v7, v2, v170 offset:76
	v_mul_f32_e32 v9, v20, v9
	s_waitcnt lgkmcnt(6)
	v_sub_f32_e32 v10, v188, v11
	ds_bpermute_b32 v11, v2, v169 offset:84
	v_fmac_f32_e32 v168, v5, v8
	v_add_f32_e32 v4, v17, v4
	ds_bpermute_b32 v5, v2, v170 offset:80
	v_mul_f32_e32 v8, v21, v10
	ds_bpermute_b32 v10, v2, v170 offset:84
	s_waitcnt lgkmcnt(8)
	v_fmac_f32_e32 v168, v9, v3
	s_waitcnt lgkmcnt(6)
	v_sub_f32_e32 v3, v191, v14
	ds_bpermute_b32 v9, v2, v169 offset:88
	v_add_f32_e32 v4, v18, v4
	v_fmac_f32_e32 v168, v8, v12
	v_mul_f32_e32 v3, v22, v3
	ds_bpermute_b32 v8, v2, v169 offset:92
	v_add_f32_e32 v4, v19, v4
	s_waitcnt lgkmcnt(6)
	v_sub_f32_e32 v6, v190, v6
	ds_bpermute_b32 v12, v2, v170 offset:116
	s_waitcnt lgkmcnt(6)
	v_fmac_f32_e32 v168, v3, v7
	ds_bpermute_b32 v3, v2, v170 offset:88
	v_add_f32_e32 v4, v20, v4
	v_mul_f32_e32 v6, v23, v6
	s_waitcnt lgkmcnt(6)
	v_sub_f32_e32 v7, v194, v11
	ds_bpermute_b32 v11, v2, v169 offset:96
	v_add_f32_e32 v4, v21, v4
	s_waitcnt lgkmcnt(6)
	v_fmac_f32_e32 v168, v6, v5
	ds_bpermute_b32 v5, v2, v170 offset:92
	v_mul_f32_e32 v6, v24, v7
	s_waitcnt lgkmcnt(5)
	v_sub_f32_e32 v7, v192, v9
	ds_bpermute_b32 v9, v2, v169 offset:100
	v_add_f32_e32 v4, v22, v4
	v_fmac_f32_e32 v168, v6, v10
	ds_bpermute_b32 v6, v2, v170 offset:96
	v_mul_f32_e32 v7, v25, v7
	ds_bpermute_b32 v10, v2, v169 offset:104
	v_add_f32_e32 v4, v23, v4
	s_waitcnt lgkmcnt(7)
	v_sub_f32_e32 v8, v196, v8
	s_waitcnt lgkmcnt(5)
	v_fmac_f32_e32 v168, v7, v3
	ds_bpermute_b32 v3, v2, v170 offset:100
	v_add_f32_e32 v4, v24, v4
	v_mul_f32_e32 v7, v26, v8
	s_waitcnt lgkmcnt(5)
	v_sub_f32_e32 v8, v195, v11
	ds_bpermute_b32 v11, v2, v169 offset:108
	v_add_f32_e32 v4, v25, v4
	s_waitcnt lgkmcnt(5)
	v_fmac_f32_e32 v168, v7, v5
	v_mul_f32_e32 v5, v27, v8
	ds_bpermute_b32 v7, v2, v170 offset:104
	s_waitcnt lgkmcnt(5)
	v_sub_f32_e32 v8, v198, v9
	ds_bpermute_b32 v9, v2, v169 offset:112
	v_add_f32_e32 v4, v26, v4
	s_waitcnt lgkmcnt(5)
	v_fmac_f32_e32 v168, v5, v6
	ds_bpermute_b32 v5, v2, v170 offset:108
	v_mul_f32_e32 v6, v28, v8
	s_waitcnt lgkmcnt(5)
	v_sub_f32_e32 v8, v197, v10
	ds_bpermute_b32 v10, v2, v169 offset:116
	v_add_f32_e32 v4, v27, v4
	s_waitcnt lgkmcnt(5)
	v_fmac_f32_e32 v168, v6, v3
	ds_bpermute_b32 v6, v2, v170 offset:112
	v_mul_f32_e32 v3, v29, v8
	ds_bpermute_b32 v8, v2, v169 offset:120
	s_waitcnt lgkmcnt(6)
	v_sub_f32_e32 v11, v200, v11
	v_add_f32_e32 v4, v28, v4
	s_waitcnt lgkmcnt(5)
	v_fmac_f32_e32 v168, v3, v7
	v_mul_f32_e32 v3, v30, v11
	v_add_f32_e32 v4, v29, v4
	s_waitcnt lgkmcnt(4)
	v_sub_f32_e32 v7, v199, v9
	ds_bpermute_b32 v9, v2, v170 offset:120
	s_waitcnt lgkmcnt(4)
	v_fmac_f32_e32 v168, v3, v5
	v_add_f32_e32 v4, v30, v4
	v_mul_f32_e32 v5, v31, v7
	s_waitcnt lgkmcnt(3)
	v_sub_f32_e32 v7, v202, v10
	ds_bpermute_b32 v3, v2, v169 offset:124
	v_add_f32_e32 v4, v31, v4
	s_waitcnt lgkmcnt(3)
	v_fmac_f32_e32 v168, v5, v6
	v_mul_f32_e32 v5, v32, v7
	s_waitcnt lgkmcnt(2)
	v_sub_f32_e32 v6, v201, v8
	v_add_f32_e32 v4, v32, v4
	v_fmac_f32_e32 v168, v5, v12
	v_mul_f32_e32 v5, v33, v6
	v_add_f32_e32 v4, v33, v4
	s_waitcnt lgkmcnt(1)
	v_fmac_f32_e32 v168, v5, v9
.LBB51_71:                              ;   in Loop: Header=BB51_3 Depth=1
	s_and_b32 vcc_lo, exec_lo, s30
	s_cbranch_vccz .LBB51_137
; %bb.72:                               ;   in Loop: Header=BB51_3 Depth=1
	s_load_dword s30, s[22:23], 0x0
	v_mov_b32_e32 v165, 0
	s_waitcnt lgkmcnt(0)
	s_cmp_lt_u32 s6, s30
	s_cselect_b32 s30, 12, 18
	s_add_u32 s30, s22, s30
	s_addc_u32 s31, s23, 0
	global_load_ushort v3, v2, s[30:31]
	s_mov_b32 s30, exec_lo
	s_waitcnt vmcnt(0)
	v_mad_u32_u24 v3, v1, v3, v228
	v_and_b32_e32 v3, 31, v3
	v_add_co_u32 v3, vcc_lo, v37, v3
	v_add_co_ci_u32_e64 v4, null, 0, v38, vcc_lo
	v_mov_b32_e32 v38, 0
	v_mov_b32_e32 v37, 0
	v_cmpx_gt_i64_e64 s[8:9], v[3:4]
	s_cbranch_execz .LBB51_74
; %bb.73:                               ;   in Loop: Header=BB51_3 Depth=1
	v_lshlrev_b64 v[3:4], 2, v[3:4]
	v_add_co_u32 v5, vcc_lo, s16, v3
	v_add_co_ci_u32_e64 v6, null, s17, v4, vcc_lo
	v_add_co_u32 v3, vcc_lo, s18, v3
	v_add_co_ci_u32_e64 v4, null, s19, v4, vcc_lo
	global_load_dword v37, v[5:6], off
	global_load_dword v38, v[3:4], off
.LBB51_74:                              ;   in Loop: Header=BB51_3 Depth=1
	s_or_b32 exec_lo, exec_lo, s30
	v_mov_b32_e32 v33, v2
	v_mov_b32_e32 v3, v2
	;; [unrolled: 1-line block ×63, first 2 shown]
	s_and_saveexec_b32 s30, s1
	s_cbranch_execz .LBB51_76
; %bb.75:                               ;   in Loop: Header=BB51_3 Depth=1
	v_add_co_u32 v3, vcc_lo, v41, v35
	v_add_co_ci_u32_e64 v4, null, v42, v36, vcc_lo
	v_add_co_u32 v5, vcc_lo, v43, v35
	v_add_co_ci_u32_e64 v6, null, v44, v36, vcc_lo
	global_load_dword v3, v[3:4], off
	global_load_dword v165, v[5:6], off
	v_mov_b32_e32 v4, v2
	v_mov_b32_e32 v5, v2
	;; [unrolled: 1-line block ×31, first 2 shown]
.LBB51_76:                              ;   in Loop: Header=BB51_3 Depth=1
	s_or_b32 exec_lo, exec_lo, s30
	v_mov_b32_e32 v169, 0
	v_mov_b32_e32 v170, 0
	s_and_saveexec_b32 s30, s1
	s_cbranch_execz .LBB51_78
; %bb.77:                               ;   in Loop: Header=BB51_3 Depth=1
	v_add_co_u32 v170, vcc_lo, v163, v35
	v_add_co_ci_u32_e64 v171, null, v164, v36, vcc_lo
	v_add_co_u32 v172, vcc_lo, v166, v35
	v_add_co_ci_u32_e64 v173, null, v167, v36, vcc_lo
	global_load_dword v4, v[170:171], off
	global_load_dword v170, v[172:173], off
.LBB51_78:                              ;   in Loop: Header=BB51_3 Depth=1
	s_or_b32 exec_lo, exec_lo, s30
	s_and_saveexec_b32 s30, s1
	s_cbranch_execz .LBB51_80
; %bb.79:                               ;   in Loop: Header=BB51_3 Depth=1
	v_add_co_u32 v168, vcc_lo, v159, v35
	v_add_co_ci_u32_e64 v169, null, v160, v36, vcc_lo
	v_add_co_u32 v171, vcc_lo, v161, v35
	v_add_co_ci_u32_e64 v172, null, v162, v36, vcc_lo
	global_load_dword v5, v[168:169], off
	global_load_dword v169, v[171:172], off
.LBB51_80:                              ;   in Loop: Header=BB51_3 Depth=1
	s_or_b32 exec_lo, exec_lo, s30
	v_mov_b32_e32 v171, 0
	v_mov_b32_e32 v172, 0
	s_and_saveexec_b32 s30, s1
	s_cbranch_execz .LBB51_82
; %bb.81:                               ;   in Loop: Header=BB51_3 Depth=1
	v_add_co_u32 v172, vcc_lo, v155, v35
	v_add_co_ci_u32_e64 v173, null, v156, v36, vcc_lo
	v_add_co_u32 v174, vcc_lo, v157, v35
	v_add_co_ci_u32_e64 v175, null, v158, v36, vcc_lo
	global_load_dword v6, v[172:173], off
	global_load_dword v172, v[174:175], off
.LBB51_82:                              ;   in Loop: Header=BB51_3 Depth=1
	s_or_b32 exec_lo, exec_lo, s30
	s_and_saveexec_b32 s30, s1
	s_cbranch_execz .LBB51_84
; %bb.83:                               ;   in Loop: Header=BB51_3 Depth=1
	v_add_co_u32 v173, vcc_lo, v151, v35
	v_add_co_ci_u32_e64 v174, null, v152, v36, vcc_lo
	v_add_co_u32 v175, vcc_lo, v153, v35
	v_add_co_ci_u32_e64 v176, null, v154, v36, vcc_lo
	global_load_dword v7, v[173:174], off
	global_load_dword v171, v[175:176], off
.LBB51_84:                              ;   in Loop: Header=BB51_3 Depth=1
	;; [unrolled: 24-line block ×5, first 2 shown]
	s_or_b32 exec_lo, exec_lo, s30
	v_mov_b32_e32 v179, 0
	v_mov_b32_e32 v180, 0
	s_and_saveexec_b32 s30, s1
	s_cbranch_execz .LBB51_98
; %bb.97:                               ;   in Loop: Header=BB51_3 Depth=1
	v_add_co_u32 v180, vcc_lo, v123, v35
	v_add_co_ci_u32_e64 v181, null, v124, v36, vcc_lo
	v_add_co_u32 v182, vcc_lo, v125, v35
	v_add_co_ci_u32_e64 v183, null, v126, v36, vcc_lo
	global_load_dword v14, v[180:181], off
	global_load_dword v180, v[182:183], off
.LBB51_98:                              ;   in Loop: Header=BB51_3 Depth=1
	s_or_b32 exec_lo, exec_lo, s30
	s_and_saveexec_b32 s30, s1
	s_cbranch_execz .LBB51_100
; %bb.99:                               ;   in Loop: Header=BB51_3 Depth=1
	v_add_co_u32 v181, vcc_lo, v119, v35
	v_add_co_ci_u32_e64 v182, null, v120, v36, vcc_lo
	v_add_co_u32 v183, vcc_lo, v121, v35
	v_add_co_ci_u32_e64 v184, null, v122, v36, vcc_lo
	global_load_dword v15, v[181:182], off
	global_load_dword v179, v[183:184], off
.LBB51_100:                             ;   in Loop: Header=BB51_3 Depth=1
	s_or_b32 exec_lo, exec_lo, s30
	v_mov_b32_e32 v181, 0
	v_mov_b32_e32 v182, 0
	s_and_saveexec_b32 s30, s1
	s_cbranch_execz .LBB51_102
; %bb.101:                              ;   in Loop: Header=BB51_3 Depth=1
	v_add_co_u32 v182, vcc_lo, v115, v35
	v_add_co_ci_u32_e64 v183, null, v116, v36, vcc_lo
	v_add_co_u32 v184, vcc_lo, v117, v35
	v_add_co_ci_u32_e64 v185, null, v118, v36, vcc_lo
	global_load_dword v16, v[182:183], off
	global_load_dword v182, v[184:185], off
.LBB51_102:                             ;   in Loop: Header=BB51_3 Depth=1
	s_or_b32 exec_lo, exec_lo, s30
	s_and_saveexec_b32 s30, s1
	s_cbranch_execz .LBB51_104
; %bb.103:                              ;   in Loop: Header=BB51_3 Depth=1
	v_add_co_u32 v183, vcc_lo, v111, v35
	v_add_co_ci_u32_e64 v184, null, v112, v36, vcc_lo
	v_add_co_u32 v185, vcc_lo, v113, v35
	v_add_co_ci_u32_e64 v186, null, v114, v36, vcc_lo
	global_load_dword v17, v[183:184], off
	global_load_dword v181, v[185:186], off
.LBB51_104:                             ;   in Loop: Header=BB51_3 Depth=1
	s_or_b32 exec_lo, exec_lo, s30
	v_mov_b32_e32 v183, 0
	v_mov_b32_e32 v185, 0
	s_and_saveexec_b32 s30, s1
	s_cbranch_execz .LBB51_106
; %bb.105:                              ;   in Loop: Header=BB51_3 Depth=1
	v_add_co_u32 v184, vcc_lo, v107, v35
	v_add_co_ci_u32_e64 v185, null, v108, v36, vcc_lo
	v_add_co_u32 v186, vcc_lo, v109, v35
	v_add_co_ci_u32_e64 v187, null, v110, v36, vcc_lo
	global_load_dword v18, v[184:185], off
	global_load_dword v185, v[186:187], off
.LBB51_106:                             ;   in Loop: Header=BB51_3 Depth=1
	s_or_b32 exec_lo, exec_lo, s30
	s_and_saveexec_b32 s30, s1
	s_cbranch_execz .LBB51_108
; %bb.107:                              ;   in Loop: Header=BB51_3 Depth=1
	v_add_co_u32 v183, vcc_lo, v103, v35
	v_add_co_ci_u32_e64 v184, null, v104, v36, vcc_lo
	v_add_co_u32 v186, vcc_lo, v105, v35
	v_add_co_ci_u32_e64 v187, null, v106, v36, vcc_lo
	global_load_dword v19, v[183:184], off
	global_load_dword v183, v[186:187], off
.LBB51_108:                             ;   in Loop: Header=BB51_3 Depth=1
	;; [unrolled: 24-line block ×8, first 2 shown]
	s_or_b32 exec_lo, exec_lo, s30
	v_mov_b32_e32 v198, 0
	v_mov_b32_e32 v199, 0
	s_and_saveexec_b32 s30, s1
	s_cbranch_execnz .LBB51_139
; %bb.133:                              ;   in Loop: Header=BB51_3 Depth=1
	s_or_b32 exec_lo, exec_lo, s30
	s_and_saveexec_b32 s30, s1
	s_cbranch_execnz .LBB51_140
.LBB51_134:                             ;   in Loop: Header=BB51_3 Depth=1
	s_or_b32 exec_lo, exec_lo, s30
	v_mov_b32_e32 v184, 0
	s_and_saveexec_b32 s30, s1
	s_cbranch_execz .LBB51_136
.LBB51_135:                             ;   in Loop: Header=BB51_3 Depth=1
	v_add_co_u32 v200, vcc_lo, v45, v35
	v_add_co_ci_u32_e64 v201, null, v46, v36, vcc_lo
	v_add_co_u32 v202, vcc_lo, v47, v35
	v_add_co_ci_u32_e64 v203, null, v48, v36, vcc_lo
	global_load_dword v34, v[200:201], off
	global_load_dword v184, v[202:203], off
.LBB51_136:                             ;   in Loop: Header=BB51_3 Depth=1
	s_or_b32 exec_lo, exec_lo, s30
	s_waitcnt vmcnt(1)
	ds_bpermute_b32 v200, v2, v37
	ds_bpermute_b32 v204, v2, v37 offset:4
	s_waitcnt vmcnt(0)
	ds_bpermute_b32 v201, v2, v38
	ds_bpermute_b32 v206, v2, v37 offset:8
	ds_bpermute_b32 v203, v2, v38 offset:4
	;; [unrolled: 1-line block ×5, first 2 shown]
	v_add_f32_e32 v202, v230, v3
	ds_bpermute_b32 v207, v2, v38 offset:12
	ds_bpermute_b32 v212, v2, v37 offset:20
	;; [unrolled: 1-line block ×11, first 2 shown]
	s_waitcnt lgkmcnt(18)
	v_sub_f32_e32 v165, v165, v200
	s_waitcnt lgkmcnt(17)
	v_sub_f32_e32 v170, v170, v204
	ds_bpermute_b32 v200, v2, v37 offset:36
	s_waitcnt lgkmcnt(16)
	v_sub_f32_e32 v169, v169, v206
	ds_bpermute_b32 v219, v2, v38 offset:36
	v_mul_f32_e32 v3, v3, v165
	v_mul_f32_e32 v170, v4, v170
	v_add_f32_e32 v4, v4, v202
	s_waitcnt lgkmcnt(15)
	v_sub_f32_e32 v172, v172, v208
	v_mul_f32_e32 v169, v5, v169
	v_fmac_f32_e32 v193, v3, v201
	ds_bpermute_b32 v204, v2, v37 offset:44
	v_add_f32_e32 v4, v5, v4
	s_waitcnt lgkmcnt(14)
	v_sub_f32_e32 v5, v171, v210
	v_mul_f32_e32 v171, v6, v172
	v_fmac_f32_e32 v193, v170, v203
	s_waitcnt lgkmcnt(8)
	v_sub_f32_e32 v172, v176, v216
	v_add_f32_e32 v4, v6, v4
	v_sub_f32_e32 v6, v174, v212
	v_mul_f32_e32 v5, v7, v5
	v_fmac_f32_e32 v193, v169, v205
	ds_bpermute_b32 v220, v2, v38 offset:40
	v_add_f32_e32 v4, v7, v4
	v_sub_f32_e32 v7, v173, v214
	v_mul_f32_e32 v6, v8, v6
	v_fmac_f32_e32 v193, v171, v207
	ds_bpermute_b32 v170, v2, v37 offset:48
	v_add_f32_e32 v4, v8, v4
	v_mul_f32_e32 v7, v9, v7
	s_waitcnt lgkmcnt(8)
	v_sub_f32_e32 v8, v175, v218
	v_fmac_f32_e32 v193, v5, v209
	v_mul_f32_e32 v172, v10, v172
	ds_bpermute_b32 v165, v2, v38 offset:44
	ds_bpermute_b32 v171, v2, v37 offset:52
	v_add_f32_e32 v4, v9, v4
	v_fmac_f32_e32 v193, v6, v211
	s_waitcnt lgkmcnt(6)
	v_sub_f32_e32 v9, v178, v200
	v_mul_f32_e32 v8, v11, v8
	ds_bpermute_b32 v3, v2, v38 offset:48
	ds_bpermute_b32 v6, v2, v37 offset:56
	v_fmac_f32_e32 v193, v7, v213
	v_add_f32_e32 v4, v10, v4
	v_mul_f32_e32 v9, v12, v9
	ds_bpermute_b32 v169, v2, v38 offset:52
	ds_bpermute_b32 v10, v2, v37 offset:60
	v_fmac_f32_e32 v193, v172, v215
	v_sub_f32_e32 v172, v177, v221
	v_add_f32_e32 v4, v11, v4
	s_waitcnt lgkmcnt(8)
	v_sub_f32_e32 v11, v180, v204
	ds_bpermute_b32 v5, v2, v38 offset:56
	v_fmac_f32_e32 v193, v8, v217
	v_mul_f32_e32 v172, v13, v172
	v_add_f32_e32 v4, v12, v4
	s_waitcnt lgkmcnt(7)
	v_sub_f32_e32 v12, v179, v170
	v_mul_f32_e32 v11, v14, v11
	v_fmac_f32_e32 v193, v9, v219
	ds_bpermute_b32 v9, v2, v37 offset:64
	ds_bpermute_b32 v7, v2, v38 offset:60
	v_add_f32_e32 v4, v13, v4
	ds_bpermute_b32 v13, v2, v37 offset:68
	v_fmac_f32_e32 v193, v172, v220
	s_waitcnt lgkmcnt(8)
	v_sub_f32_e32 v170, v182, v171
	v_mul_f32_e32 v12, v15, v12
	ds_bpermute_b32 v8, v2, v38 offset:64
	v_add_f32_e32 v4, v14, v4
	v_fmac_f32_e32 v193, v11, v165
	ds_bpermute_b32 v11, v2, v37 offset:72
	s_waitcnt lgkmcnt(8)
	v_sub_f32_e32 v6, v181, v6
	v_mul_f32_e32 v14, v16, v170
	s_waitcnt lgkmcnt(6)
	v_sub_f32_e32 v10, v185, v10
	v_fmac_f32_e32 v193, v12, v3
	ds_bpermute_b32 v3, v2, v38 offset:68
	v_mul_f32_e32 v6, v17, v6
	ds_bpermute_b32 v12, v2, v38 offset:72
	v_mul_f32_e32 v10, v18, v10
	v_fmac_f32_e32 v193, v14, v169
	ds_bpermute_b32 v14, v2, v37 offset:76
	v_add_f32_e32 v4, v15, v4
	ds_bpermute_b32 v165, v2, v38 offset:124
	s_waitcnt lgkmcnt(9)
	v_fmac_f32_e32 v193, v6, v5
	s_waitcnt lgkmcnt(8)
	v_sub_f32_e32 v5, v183, v9
	ds_bpermute_b32 v9, v2, v37 offset:80
	s_waitcnt lgkmcnt(7)
	v_sub_f32_e32 v6, v168, v13
	v_add_f32_e32 v4, v16, v4
	v_fmac_f32_e32 v193, v10, v7
	v_mul_f32_e32 v5, v19, v5
	ds_bpermute_b32 v7, v2, v38 offset:76
	s_waitcnt lgkmcnt(6)
	v_sub_f32_e32 v10, v186, v11
	ds_bpermute_b32 v11, v2, v37 offset:84
	v_mul_f32_e32 v6, v20, v6
	v_fmac_f32_e32 v193, v5, v8
	ds_bpermute_b32 v5, v2, v38 offset:80
	v_mul_f32_e32 v8, v21, v10
	ds_bpermute_b32 v10, v2, v38 offset:84
	v_add_f32_e32 v4, v17, v4
	s_waitcnt lgkmcnt(8)
	v_fmac_f32_e32 v193, v6, v3
	ds_bpermute_b32 v3, v2, v37 offset:88
	s_waitcnt lgkmcnt(7)
	v_sub_f32_e32 v6, v188, v14
	v_add_f32_e32 v4, v18, v4
	v_fmac_f32_e32 v193, v8, v12
	ds_bpermute_b32 v8, v2, v37 offset:92
	v_mul_f32_e32 v6, v22, v6
	s_waitcnt lgkmcnt(6)
	v_sub_f32_e32 v9, v187, v9
	v_add_f32_e32 v4, v19, v4
	s_waitcnt lgkmcnt(5)
	v_fmac_f32_e32 v193, v6, v7
	ds_bpermute_b32 v6, v2, v38 offset:88
	v_mul_f32_e32 v7, v23, v9
	s_waitcnt lgkmcnt(5)
	v_sub_f32_e32 v9, v190, v11
	ds_bpermute_b32 v11, v2, v37 offset:96
	v_add_f32_e32 v4, v20, v4
	s_waitcnt lgkmcnt(5)
	v_fmac_f32_e32 v193, v7, v5
	ds_bpermute_b32 v5, v2, v38 offset:92
	v_mul_f32_e32 v7, v24, v9
	s_waitcnt lgkmcnt(4)
	v_sub_f32_e32 v3, v189, v3
	ds_bpermute_b32 v9, v2, v37 offset:100
	v_add_f32_e32 v4, v21, v4
	v_fmac_f32_e32 v193, v7, v10
	ds_bpermute_b32 v7, v2, v38 offset:96
	v_mul_f32_e32 v3, v25, v3
	s_waitcnt lgkmcnt(5)
	v_sub_f32_e32 v8, v192, v8
	ds_bpermute_b32 v10, v2, v37 offset:104
	v_add_f32_e32 v4, v22, v4
	s_waitcnt lgkmcnt(5)
	v_fmac_f32_e32 v193, v3, v6
	ds_bpermute_b32 v3, v2, v38 offset:100
	v_mul_f32_e32 v6, v26, v8
	s_waitcnt lgkmcnt(5)
	v_sub_f32_e32 v8, v191, v11
	ds_bpermute_b32 v11, v2, v37 offset:108
	v_add_f32_e32 v4, v23, v4
	s_waitcnt lgkmcnt(5)
	v_fmac_f32_e32 v193, v6, v5
	v_mul_f32_e32 v5, v27, v8
	ds_bpermute_b32 v6, v2, v38 offset:104
	v_add_f32_e32 v4, v24, v4
	s_waitcnt lgkmcnt(5)
	v_sub_f32_e32 v8, v195, v9
	ds_bpermute_b32 v9, v2, v37 offset:112
	s_waitcnt lgkmcnt(5)
	v_fmac_f32_e32 v193, v5, v7
	ds_bpermute_b32 v7, v2, v38 offset:108
	v_add_f32_e32 v4, v25, v4
	v_mul_f32_e32 v5, v28, v8
	s_waitcnt lgkmcnt(5)
	v_sub_f32_e32 v8, v194, v10
	ds_bpermute_b32 v10, v2, v37 offset:116
	v_add_f32_e32 v4, v26, v4
	s_waitcnt lgkmcnt(5)
	v_fmac_f32_e32 v193, v5, v3
	v_mul_f32_e32 v3, v29, v8
	ds_bpermute_b32 v5, v2, v38 offset:112
	s_waitcnt lgkmcnt(5)
	v_sub_f32_e32 v8, v197, v11
	ds_bpermute_b32 v11, v2, v37 offset:120
	v_add_f32_e32 v4, v27, v4
	s_waitcnt lgkmcnt(5)
	v_fmac_f32_e32 v193, v3, v6
	v_mul_f32_e32 v3, v30, v8
	ds_bpermute_b32 v6, v2, v38 offset:116
	v_add_f32_e32 v4, v28, v4
	s_waitcnt lgkmcnt(5)
	v_sub_f32_e32 v8, v196, v9
	s_waitcnt lgkmcnt(4)
	v_fmac_f32_e32 v193, v3, v7
	ds_bpermute_b32 v7, v2, v38 offset:120
	v_add_f32_e32 v4, v29, v4
	v_mul_f32_e32 v3, v31, v8
	s_waitcnt lgkmcnt(4)
	v_sub_f32_e32 v8, v199, v10
	v_add_f32_e32 v4, v30, v4
	s_waitcnt lgkmcnt(3)
	v_fmac_f32_e32 v193, v3, v5
	v_mul_f32_e32 v5, v32, v8
	s_waitcnt lgkmcnt(2)
	v_sub_f32_e32 v8, v198, v11
	ds_bpermute_b32 v3, v2, v37 offset:124
	v_add_f32_e32 v4, v31, v4
	s_waitcnt lgkmcnt(2)
	v_fmac_f32_e32 v193, v5, v6
	v_mul_f32_e32 v5, v33, v8
	v_add_f32_e32 v4, v32, v4
	s_waitcnt lgkmcnt(1)
	v_fmac_f32_e32 v193, v5, v7
	v_add_f32_e32 v4, v33, v4
	v_mov_b32_e32 v168, v193
.LBB51_137:                             ;   in Loop: Header=BB51_3 Depth=1
	v_add_co_u32 v41, vcc_lo, v41, s2
	v_add_co_ci_u32_e64 v42, null, s3, v42, vcc_lo
	v_add_co_u32 v43, vcc_lo, v43, s2
	v_add_co_ci_u32_e64 v44, null, s3, v44, vcc_lo
	;; [unrolled: 2-line block ×59, first 2 shown]
	v_add_co_u32 v157, vcc_lo, v157, s2
	s_waitcnt lgkmcnt(0)
	v_sub_f32_e32 v3, v184, v3
	v_add_co_ci_u32_e64 v158, null, s3, v158, vcc_lo
	v_add_co_u32 v159, vcc_lo, v159, s2
	v_add_co_ci_u32_e64 v160, null, s3, v160, vcc_lo
	v_add_co_u32 v161, vcc_lo, v161, s2
	s_add_u32 s26, s26, s29
	v_add_co_ci_u32_e64 v162, null, s3, v162, vcc_lo
	v_add_co_u32 v163, vcc_lo, v163, s2
	v_mul_f32_e32 v3, v34, v3
	s_addc_u32 s27, s27, 0
	v_add_co_ci_u32_e64 v164, null, s3, v164, vcc_lo
	v_add_co_u32 v166, vcc_lo, v166, s2
	v_cmp_lt_i64_e64 s30, s[26:27], s[8:9]
	v_add_co_ci_u32_e64 v167, null, s3, v167, vcc_lo
	v_add_co_u32 v39, vcc_lo, v39, s29
	v_add_f32_e32 v230, v4, v34
	v_fmac_f32_e32 v168, v3, v165
	v_add_co_ci_u32_e64 v40, null, 0, v40, vcc_lo
	s_add_u32 s24, s24, s29
	s_addc_u32 s25, 0, s25
	s_and_b32 vcc_lo, exec_lo, s30
	s_cbranch_vccz .LBB51_142
; %bb.138:                              ;   in Loop: Header=BB51_3 Depth=1
	v_mov_b32_e32 v193, v168
	s_branch .LBB51_3
.LBB51_139:                             ;   in Loop: Header=BB51_3 Depth=1
	v_add_co_u32 v199, vcc_lo, v53, v35
	v_add_co_ci_u32_e64 v200, null, v54, v36, vcc_lo
	v_add_co_u32 v201, vcc_lo, v55, v35
	v_add_co_ci_u32_e64 v202, null, v56, v36, vcc_lo
	global_load_dword v32, v[199:200], off
	global_load_dword v199, v[201:202], off
	s_or_b32 exec_lo, exec_lo, s30
	s_and_saveexec_b32 s30, s1
	s_cbranch_execz .LBB51_134
.LBB51_140:                             ;   in Loop: Header=BB51_3 Depth=1
	v_add_co_u32 v200, vcc_lo, v49, v35
	v_add_co_ci_u32_e64 v201, null, v50, v36, vcc_lo
	v_add_co_u32 v202, vcc_lo, v51, v35
	v_add_co_ci_u32_e64 v203, null, v52, v36, vcc_lo
	global_load_dword v33, v[200:201], off
	global_load_dword v198, v[202:203], off
	s_or_b32 exec_lo, exec_lo, s30
	v_mov_b32_e32 v184, 0
	s_and_saveexec_b32 s30, s1
	s_cbranch_execnz .LBB51_135
	s_branch .LBB51_136
.LBB51_141:
                                        ; implicit-def: $vgpr230
                                        ; implicit-def: $vgpr168
	s_branch .LBB51_143
.LBB51_142:
	s_cbranch_execnz .LBB51_219
.LBB51_143:
	v_mov_b32_e32 v230, 0
	v_mov_b32_e32 v168, 0
	s_andn2_b32 vcc_lo, exec_lo, s28
	s_cbranch_vccnz .LBB51_219
; %bb.144:
	v_mov_b32_e32 v0, v1
	v_lshlrev_b32_e32 v168, 5, v1
	s_add_u32 s2, s4, 64
	s_addc_u32 s3, s5, 0
	s_lshl_b64 s[22:23], s[20:21], 2
	buffer_store_dword v0, off, s[36:39], 0 offset:300 ; 4-byte Folded Spill
	buffer_store_dword v1, off, s[36:39], 0 offset:304 ; 4-byte Folded Spill
	v_add_co_u32 v0, s1, v168, s20
	v_mov_b32_e32 v230, 0
	buffer_store_dword v228, off, s[36:39], 0 offset:308 ; 4-byte Folded Spill
	v_mul_lo_u32 v6, s11, v0
	v_lshlrev_b32_e32 v2, 7, v1
	v_add_co_ci_u32_e64 v1, null, 0, 0, s1
	v_add_co_u32 v4, s1, v2, s22
	v_add_co_ci_u32_e64 v5, null, 0, s23, s1
	v_mul_lo_u32 v7, s10, v1
	v_add_co_u32 v8, vcc_lo, v4, 4
	v_add_co_ci_u32_e64 v9, null, 0, v5, vcc_lo
	v_mad_u64_u32 v[2:3], null, s10, v0, 0
	v_add_co_u32 v10, vcc_lo, v4, 8
	v_add_co_ci_u32_e64 v12, null, 0, v5, vcc_lo
	v_add_co_u32 v13, vcc_lo, v4, 12
	v_add_co_ci_u32_e64 v14, null, 0, v5, vcc_lo
	;; [unrolled: 2-line block ×4, first 2 shown]
	v_add3_u32 v3, v3, v7, v6
	v_add_co_u32 v6, vcc_lo, v4, 24
	v_mad_u64_u32 v[35:36], null, s10, v8, s[12:13]
	v_mul_lo_u32 v9, s10, v9
	v_mul_lo_u32 v11, s11, v8
	v_mad_u64_u32 v[49:50], null, s10, v8, s[14:15]
	v_add_co_ci_u32_e64 v7, null, 0, v5, vcc_lo
	v_add_co_u32 v23, vcc_lo, v4, 28
	v_mad_u64_u32 v[37:38], null, s10, v10, s[12:13]
	v_mul_lo_u32 v12, s10, v12
	v_mul_lo_u32 v15, s11, v10
	v_mad_u64_u32 v[53:54], null, s10, v10, s[14:15]
	v_add_co_ci_u32_e64 v24, null, 0, v5, vcc_lo
	v_add_co_u32 v26, vcc_lo, v4, 32
	v_add_co_ci_u32_e64 v27, null, 0, v5, vcc_lo
	v_mad_u64_u32 v[45:46], null, s10, v6, s[12:13]
	v_mul_lo_u32 v7, s10, v7
	v_mul_lo_u32 v25, s11, v6
	v_mad_u64_u32 v[63:64], null, s10, v6, s[14:15]
	v_add3_u32 v36, v11, v36, v9
	v_mad_u64_u32 v[47:48], null, s10, v23, s[12:13]
	v_mul_lo_u32 v24, s10, v24
	v_mul_lo_u32 v8, s11, v23
	v_add3_u32 v50, v11, v50, v9
	v_add_co_u32 v9, vcc_lo, v4, 36
	v_mad_u64_u32 v[65:66], null, s10, v23, s[14:15]
	v_add3_u32 v38, v15, v38, v12
	v_mad_u64_u32 v[51:52], null, s10, v26, s[12:13]
	v_add_co_ci_u32_e64 v10, null, 0, v5, vcc_lo
	v_mul_lo_u32 v11, s10, v27
	v_add3_u32 v54, v15, v54, v12
	v_mul_lo_u32 v12, s11, v26
	v_mad_u64_u32 v[67:68], null, s10, v26, s[14:15]
	v_add3_u32 v46, v25, v46, v7
	v_add3_u32 v64, v25, v64, v7
	v_add_co_u32 v7, vcc_lo, v4, 40
	v_mad_u64_u32 v[59:60], null, s10, v9, s[12:13]
	v_mul_lo_u32 v10, s10, v10
	v_mul_lo_u32 v6, s11, v9
	v_mad_u64_u32 v[69:70], null, s10, v9, s[14:15]
	v_add3_u32 v48, v8, v48, v24
	v_add3_u32 v66, v8, v66, v24
	v_add_co_ci_u32_e64 v8, null, 0, v5, vcc_lo
	v_add_co_u32 v9, vcc_lo, v4, 44
	v_add3_u32 v52, v12, v52, v11
	v_add3_u32 v68, v12, v68, v11
	v_add_co_ci_u32_e64 v11, null, 0, v5, vcc_lo
	v_mad_u64_u32 v[71:72], null, s10, v7, s[12:13]
	v_mul_lo_u32 v8, s10, v8
	v_mul_lo_u32 v12, s11, v7
	v_mad_u64_u32 v[73:74], null, s10, v7, s[14:15]
	v_add3_u32 v60, v6, v60, v10
	v_add3_u32 v70, v6, v70, v10
	v_mul_lo_u32 v6, s10, v11
	v_mul_lo_u32 v7, s11, v9
	v_mad_u64_u32 v[75:76], null, s10, v9, s[12:13]
	v_mad_u64_u32 v[77:78], null, s10, v9, s[14:15]
	v_add_co_u32 v9, vcc_lo, v4, 48
	v_add_co_ci_u32_e64 v10, null, 0, v5, vcc_lo
	v_add3_u32 v72, v12, v72, v8
	v_add3_u32 v74, v12, v74, v8
	v_add_co_u32 v8, vcc_lo, v4, 52
	v_add3_u32 v76, v7, v76, v6
	v_add3_u32 v78, v7, v78, v6
	v_mul_lo_u32 v6, s10, v10
	v_add_co_ci_u32_e64 v10, null, 0, v5, vcc_lo
	v_mul_lo_u32 v7, s11, v9
	v_mad_u64_u32 v[79:80], null, s10, v9, s[12:13]
	v_mad_u64_u32 v[81:82], null, s10, v9, s[14:15]
	v_mul_lo_u32 v9, s10, v10
	v_mul_lo_u32 v10, s11, v8
	v_mad_u64_u32 v[83:84], null, s10, v8, s[12:13]
	v_mad_u64_u32 v[85:86], null, s10, v8, s[14:15]
	v_add_co_u32 v8, vcc_lo, v4, 56
	v_add_co_ci_u32_e64 v11, null, 0, v5, vcc_lo
	v_add3_u32 v84, v10, v84, v9
	v_add3_u32 v80, v7, v80, v6
	v_add3_u32 v86, v10, v86, v9
	v_add_co_u32 v9, vcc_lo, v4, 60
	v_add_co_ci_u32_e64 v10, null, 0, v5, vcc_lo
	v_add3_u32 v82, v7, v82, v6
	v_mul_lo_u32 v6, s10, v11
	v_mul_lo_u32 v7, s11, v8
	v_mad_u64_u32 v[87:88], null, s10, v8, s[12:13]
	v_mad_u64_u32 v[89:90], null, s10, v8, s[14:15]
	v_mul_lo_u32 v8, s10, v10
	v_mul_lo_u32 v10, s11, v9
	v_mad_u64_u32 v[91:92], null, s10, v9, s[12:13]
	v_mad_u64_u32 v[93:94], null, s10, v9, s[14:15]
	v_add_co_u32 v9, vcc_lo, v4, 64
	v_add_co_ci_u32_e64 v11, null, 0, v5, vcc_lo
	v_add3_u32 v88, v7, v88, v6
	v_add3_u32 v90, v7, v90, v6
	v_mul_lo_u32 v7, s11, v9
	v_mul_lo_u32 v6, s10, v11
	v_mad_u64_u32 v[95:96], null, s10, v9, s[12:13]
	v_mad_u64_u32 v[97:98], null, s10, v9, s[14:15]
	v_add3_u32 v92, v10, v92, v8
	v_add3_u32 v94, v10, v94, v8
	v_mad_u64_u32 v[39:40], null, s10, v13, s[12:13]
	v_add3_u32 v96, v7, v96, v6
	v_mul_lo_u32 v17, s11, v13
	v_add3_u32 v98, v7, v98, v6
	v_add_co_u32 v6, vcc_lo, 0x44, v4
	v_add_co_ci_u32_e64 v7, null, 0, v5, vcc_lo
	v_mad_u64_u32 v[55:56], null, s10, v13, s[14:15]
	v_mul_lo_u32 v8, s11, v6
	v_mul_lo_u32 v7, s10, v7
	v_mad_u64_u32 v[99:100], null, s10, v6, s[12:13]
	v_mad_u64_u32 v[101:102], null, s10, v6, s[14:15]
	v_add_co_u32 v6, vcc_lo, 0x48, v4
	v_mul_lo_u32 v14, s10, v14
	v_mad_u64_u32 v[41:42], null, s10, v16, s[12:13]
	v_add3_u32 v100, v8, v100, v7
	v_add3_u32 v102, v8, v102, v7
	v_add_co_ci_u32_e64 v7, null, 0, v5, vcc_lo
	v_mul_lo_u32 v8, s11, v6
	v_mad_u64_u32 v[103:104], null, s10, v6, s[12:13]
	v_mul_lo_u32 v7, s10, v7
	v_mad_u64_u32 v[105:106], null, s10, v6, s[14:15]
	v_add_co_u32 v6, vcc_lo, 0x4c, v4
	v_add3_u32 v40, v17, v40, v14
	v_add3_u32 v56, v17, v56, v14
	v_mul_lo_u32 v21, s11, v16
	v_add3_u32 v104, v8, v104, v7
	v_add3_u32 v106, v8, v106, v7
	v_add_co_ci_u32_e64 v7, null, 0, v5, vcc_lo
	v_mul_lo_u32 v8, s11, v6
	v_mad_u64_u32 v[107:108], null, s10, v6, s[12:13]
	v_mul_lo_u32 v7, s10, v7
	v_mad_u64_u32 v[109:110], null, s10, v6, s[14:15]
	v_add_co_u32 v6, vcc_lo, 0x50, v4
	v_mad_u64_u32 v[57:58], null, s10, v16, s[14:15]
	v_mul_lo_u32 v18, s10, v18
	v_add3_u32 v108, v8, v108, v7
	v_add3_u32 v110, v8, v110, v7
	v_add_co_ci_u32_e64 v7, null, 0, v5, vcc_lo
	v_mul_lo_u32 v8, s11, v6
	v_mad_u64_u32 v[111:112], null, s10, v6, s[12:13]
	v_mul_lo_u32 v7, s10, v7
	v_mad_u64_u32 v[113:114], null, s10, v6, s[14:15]
	v_add_co_u32 v6, vcc_lo, 0x54, v4
	v_mad_u64_u32 v[43:44], null, s10, v19, s[12:13]
	v_mul_lo_u32 v22, s11, v19
	v_add3_u32 v112, v8, v112, v7
	v_add3_u32 v114, v8, v114, v7
	v_add_co_ci_u32_e64 v7, null, 0, v5, vcc_lo
	v_mul_lo_u32 v8, s11, v6
	v_mad_u64_u32 v[115:116], null, s10, v6, s[12:13]
	v_mul_lo_u32 v7, s10, v7
	v_mad_u64_u32 v[117:118], null, s10, v6, s[14:15]
	v_add_co_u32 v6, vcc_lo, 0x58, v4
	v_add3_u32 v42, v21, v42, v18
	v_mad_u64_u32 v[61:62], null, s10, v19, s[14:15]
	v_add3_u32 v116, v8, v116, v7
	v_add3_u32 v118, v8, v118, v7
	v_add_co_ci_u32_e64 v7, null, 0, v5, vcc_lo
	v_mul_lo_u32 v8, s11, v6
	v_mad_u64_u32 v[119:120], null, s10, v6, s[12:13]
	v_mul_lo_u32 v7, s10, v7
	v_mad_u64_u32 v[121:122], null, s10, v6, s[14:15]
	v_add_co_u32 v6, vcc_lo, 0x5c, v4
	v_add3_u32 v58, v21, v58, v18
	v_mul_lo_u32 v20, s10, v20
	s_load_dword s1, s[4:5], 0x44
	v_add3_u32 v120, v8, v120, v7
	v_add3_u32 v122, v8, v122, v7
	v_add_co_ci_u32_e64 v7, null, 0, v5, vcc_lo
	v_mul_lo_u32 v8, s11, v6
	v_mad_u64_u32 v[123:124], null, s10, v6, s[12:13]
	v_mul_lo_u32 v7, s10, v7
	v_mad_u64_u32 v[125:126], null, s10, v6, s[14:15]
	v_add_co_u32 v6, vcc_lo, 0x60, v4
	v_add3_u32 v44, v22, v44, v20
	v_add3_u32 v62, v22, v62, v20
	s_mov_b64 s[22:23], s[20:21]
	v_add3_u32 v124, v8, v124, v7
	v_add3_u32 v126, v8, v126, v7
	v_add_co_ci_u32_e64 v7, null, 0, v5, vcc_lo
	v_mul_lo_u32 v8, s11, v6
	v_mad_u64_u32 v[127:128], null, s10, v6, s[12:13]
	v_mul_lo_u32 v7, s10, v7
	v_mad_u64_u32 v[129:130], null, s10, v6, s[14:15]
	v_add_co_u32 v6, vcc_lo, 0x64, v4
	s_waitcnt lgkmcnt(0)
	s_lshl_b32 s1, s1, 5
	v_add3_u32 v128, v8, v128, v7
	v_add3_u32 v130, v8, v130, v7
	v_add_co_ci_u32_e64 v7, null, 0, v5, vcc_lo
	v_mul_lo_u32 v8, s11, v6
	v_mad_u64_u32 v[131:132], null, s10, v6, s[12:13]
	v_mul_lo_u32 v7, s10, v7
	v_mad_u64_u32 v[133:134], null, s10, v6, s[14:15]
	v_add_co_u32 v6, vcc_lo, 0x68, v4
	v_add3_u32 v132, v8, v132, v7
	v_add3_u32 v134, v8, v134, v7
	v_add_co_ci_u32_e64 v7, null, 0, v5, vcc_lo
	v_mul_lo_u32 v8, s11, v6
	v_mad_u64_u32 v[135:136], null, s10, v6, s[12:13]
	v_mul_lo_u32 v7, s10, v7
	v_mad_u64_u32 v[137:138], null, s10, v6, s[14:15]
	v_add_co_u32 v6, vcc_lo, 0x6c, v4
	;; [unrolled: 8-line block ×5, first 2 shown]
	v_add3_u32 v148, v8, v148, v7
	v_add3_u32 v150, v8, v150, v7
	v_add_co_ci_u32_e64 v7, null, 0, v5, vcc_lo
	v_add_co_u32 v4, vcc_lo, 0x7c, v4
	v_add_co_ci_u32_e64 v5, null, 0, v5, vcc_lo
	v_mul_lo_u32 v8, s11, v6
	v_mad_u64_u32 v[151:152], null, s10, v6, s[12:13]
	v_mad_u64_u32 v[153:154], null, s10, v6, s[14:15]
	v_mul_lo_u32 v5, s10, v5
	v_mul_lo_u32 v6, s11, v4
	v_mad_u64_u32 v[155:156], null, s10, v4, s[12:13]
	v_mad_u64_u32 v[157:158], null, s10, v4, s[14:15]
	v_mul_lo_u32 v7, s10, v7
	v_add_co_u32 v4, vcc_lo, v0, 31
	v_add3_u32 v156, v6, v156, v5
	v_add3_u32 v158, v6, v158, v5
	v_add_co_ci_u32_e64 v5, null, 0, v1, vcc_lo
	v_add3_u32 v152, v8, v152, v7
	v_add3_u32 v154, v8, v154, v7
	v_mul_lo_u32 v7, s11, v4
	v_mul_lo_u32 v6, s10, v5
	v_mad_u64_u32 v[4:5], null, s10, v4, 0
	v_add3_u32 v5, v5, v6, v7
	v_add_co_u32 v6, vcc_lo, v0, 30
	v_add_co_ci_u32_e64 v7, null, 0, v1, vcc_lo
	v_mul_lo_u32 v9, s11, v6
	v_mul_lo_u32 v8, s10, v7
	v_mad_u64_u32 v[6:7], null, s10, v6, 0
	v_add3_u32 v7, v7, v8, v9
	v_add_co_u32 v8, vcc_lo, v0, 29
	v_add_co_ci_u32_e64 v9, null, 0, v1, vcc_lo
	;; [unrolled: 6-line block ×15, first 2 shown]
	v_mul_lo_u32 v162, s11, v34
	v_mul_lo_u32 v161, s10, v159
	v_mad_u64_u32 v[159:160], null, s10, v34, 0
	v_add_co_u32 v34, vcc_lo, v0, 15
	v_mul_lo_u32 v164, s11, v34
	v_add3_u32 v160, v160, v161, v162
	v_add_co_ci_u32_e64 v161, null, 0, v1, vcc_lo
	v_mul_lo_u32 v163, s10, v161
	v_mad_u64_u32 v[161:162], null, s10, v34, 0
	v_add_co_u32 v34, vcc_lo, v0, 14
	v_mul_lo_u32 v166, s11, v34
	v_add3_u32 v162, v162, v163, v164
	v_add_co_ci_u32_e64 v163, null, 0, v1, vcc_lo
	v_mul_lo_u32 v165, s10, v163
	v_mad_u64_u32 v[163:164], null, s10, v34, 0
	v_add_co_u32 v34, vcc_lo, v0, 13
	v_mad_u64_u32 v[170:171], null, s10, v34, 0
	v_add3_u32 v164, v164, v165, v166
	v_add_co_ci_u32_e64 v165, null, 0, v1, vcc_lo
	v_mul_lo_u32 v166, s11, v34
	v_add_co_u32 v34, vcc_lo, v0, 12
	v_mul_lo_u32 v165, s10, v165
	v_mad_u64_u32 v[172:173], null, s10, v34, 0
	v_add3_u32 v171, v171, v165, v166
	v_add_co_ci_u32_e64 v165, null, 0, v1, vcc_lo
	v_mul_lo_u32 v166, s11, v34
	v_add_co_u32 v34, vcc_lo, v0, 11
	v_mul_lo_u32 v165, s10, v165
	;; [unrolled: 6-line block ×10, first 2 shown]
	v_mad_u64_u32 v[192:193], null, s10, v34, 0
	v_add3_u32 v189, v189, v165, v166
	v_add_co_ci_u32_e64 v165, null, 0, v1, vcc_lo
	v_add_co_u32 v0, vcc_lo, v0, 2
	v_add_co_ci_u32_e64 v1, null, 0, v1, vcc_lo
	v_mul_lo_u32 v166, s11, v34
	v_mul_lo_u32 v34, s11, v0
	v_mad_u64_u32 v[196:197], null, s10, v0, 0
	v_mul_lo_u32 v1, s10, v1
	v_mul_lo_u32 v165, s10, v165
	v_add_co_u32 v200, vcc_lo, v2, s10
	v_add_co_ci_u32_e64 v201, null, s11, v3, vcc_lo
	v_add3_u32 v197, v197, v1, v34
	v_lshlrev_b64 v[0:1], 2, v[2:3]
	v_add3_u32 v193, v193, v165, v166
	v_add_co_u32 v166, vcc_lo, s12, v0
	v_add_co_ci_u32_e64 v167, null, s13, v1, vcc_lo
	v_add_co_u32 v225, vcc_lo, s14, v0
	v_add_co_ci_u32_e64 v169, null, s15, v1, vcc_lo
	v_lshlrev_b64 v[0:1], 2, v[4:5]
	v_add_co_u32 v2, vcc_lo, s12, v0
	buffer_store_dword v2, off, s[36:39], 0 ; 4-byte Folded Spill
	v_add_co_ci_u32_e64 v2, null, s13, v1, vcc_lo
	v_add_co_u32 v0, vcc_lo, s14, v0
	buffer_store_dword v2, off, s[36:39], 0 offset:4 ; 4-byte Folded Spill
	buffer_store_dword v0, off, s[36:39], 0 offset:8 ; 4-byte Folded Spill
	v_add_co_ci_u32_e64 v0, null, s15, v1, vcc_lo
	buffer_store_dword v0, off, s[36:39], 0 offset:12 ; 4-byte Folded Spill
	v_lshlrev_b64 v[0:1], 2, v[6:7]
	v_add_co_u32 v2, vcc_lo, s12, v0
	buffer_store_dword v2, off, s[36:39], 0 offset:16 ; 4-byte Folded Spill
	v_add_co_ci_u32_e64 v2, null, s13, v1, vcc_lo
	v_add_co_u32 v0, vcc_lo, s14, v0
	buffer_store_dword v2, off, s[36:39], 0 offset:20 ; 4-byte Folded Spill
	buffer_store_dword v0, off, s[36:39], 0 offset:24 ; 4-byte Folded Spill
	v_add_co_ci_u32_e64 v0, null, s15, v1, vcc_lo
	buffer_store_dword v0, off, s[36:39], 0 offset:28 ; 4-byte Folded Spill
	v_lshlrev_b64 v[0:1], 2, v[8:9]
	v_add_co_u32 v2, vcc_lo, s12, v0
	buffer_store_dword v2, off, s[36:39], 0 offset:32 ; 4-byte Folded Spill
	v_add_co_ci_u32_e64 v2, null, s13, v1, vcc_lo
	v_add_co_u32 v0, vcc_lo, s14, v0
	buffer_store_dword v2, off, s[36:39], 0 offset:36 ; 4-byte Folded Spill
	buffer_store_dword v0, off, s[36:39], 0 offset:40 ; 4-byte Folded Spill
	v_add_co_ci_u32_e64 v0, null, s15, v1, vcc_lo
	buffer_store_dword v0, off, s[36:39], 0 offset:44 ; 4-byte Folded Spill
	v_lshlrev_b64 v[0:1], 2, v[10:11]
	v_add_co_u32 v2, vcc_lo, s12, v0
	buffer_store_dword v2, off, s[36:39], 0 offset:48 ; 4-byte Folded Spill
	v_add_co_ci_u32_e64 v2, null, s13, v1, vcc_lo
	v_add_co_u32 v0, vcc_lo, s14, v0
	buffer_store_dword v2, off, s[36:39], 0 offset:52 ; 4-byte Folded Spill
	buffer_store_dword v0, off, s[36:39], 0 offset:56 ; 4-byte Folded Spill
	v_add_co_ci_u32_e64 v0, null, s15, v1, vcc_lo
	buffer_store_dword v0, off, s[36:39], 0 offset:60 ; 4-byte Folded Spill
	v_lshlrev_b64 v[0:1], 2, v[12:13]
	v_add_co_u32 v2, vcc_lo, s12, v0
	buffer_store_dword v2, off, s[36:39], 0 offset:64 ; 4-byte Folded Spill
	v_add_co_ci_u32_e64 v2, null, s13, v1, vcc_lo
	v_add_co_u32 v0, vcc_lo, s14, v0
	buffer_store_dword v2, off, s[36:39], 0 offset:68 ; 4-byte Folded Spill
	buffer_store_dword v0, off, s[36:39], 0 offset:72 ; 4-byte Folded Spill
	v_add_co_ci_u32_e64 v0, null, s15, v1, vcc_lo
	buffer_store_dword v0, off, s[36:39], 0 offset:76 ; 4-byte Folded Spill
	v_lshlrev_b64 v[0:1], 2, v[14:15]
	v_add_co_u32 v2, vcc_lo, s12, v0
	buffer_store_dword v2, off, s[36:39], 0 offset:80 ; 4-byte Folded Spill
	v_add_co_ci_u32_e64 v2, null, s13, v1, vcc_lo
	v_add_co_u32 v0, vcc_lo, s14, v0
	buffer_store_dword v2, off, s[36:39], 0 offset:84 ; 4-byte Folded Spill
	buffer_store_dword v0, off, s[36:39], 0 offset:88 ; 4-byte Folded Spill
	v_add_co_ci_u32_e64 v0, null, s15, v1, vcc_lo
	buffer_store_dword v0, off, s[36:39], 0 offset:92 ; 4-byte Folded Spill
	v_lshlrev_b64 v[0:1], 2, v[16:17]
	v_add_co_u32 v2, vcc_lo, s12, v0
	buffer_store_dword v2, off, s[36:39], 0 offset:96 ; 4-byte Folded Spill
	v_add_co_ci_u32_e64 v2, null, s13, v1, vcc_lo
	v_add_co_u32 v0, vcc_lo, s14, v0
	buffer_store_dword v2, off, s[36:39], 0 offset:100 ; 4-byte Folded Spill
	buffer_store_dword v0, off, s[36:39], 0 offset:104 ; 4-byte Folded Spill
	v_add_co_ci_u32_e64 v0, null, s15, v1, vcc_lo
	buffer_store_dword v0, off, s[36:39], 0 offset:108 ; 4-byte Folded Spill
	v_lshlrev_b64 v[0:1], 2, v[18:19]
	v_add_co_u32 v2, vcc_lo, s12, v0
	buffer_store_dword v2, off, s[36:39], 0 offset:112 ; 4-byte Folded Spill
	v_add_co_ci_u32_e64 v2, null, s13, v1, vcc_lo
	v_add_co_u32 v0, vcc_lo, s14, v0
	buffer_store_dword v2, off, s[36:39], 0 offset:116 ; 4-byte Folded Spill
	buffer_store_dword v0, off, s[36:39], 0 offset:120 ; 4-byte Folded Spill
	v_add_co_ci_u32_e64 v0, null, s15, v1, vcc_lo
	buffer_store_dword v0, off, s[36:39], 0 offset:124 ; 4-byte Folded Spill
	v_lshlrev_b64 v[0:1], 2, v[20:21]
	v_add_co_u32 v2, vcc_lo, s12, v0
	buffer_store_dword v2, off, s[36:39], 0 offset:128 ; 4-byte Folded Spill
	v_add_co_ci_u32_e64 v2, null, s13, v1, vcc_lo
	v_add_co_u32 v0, vcc_lo, s14, v0
	buffer_store_dword v2, off, s[36:39], 0 offset:132 ; 4-byte Folded Spill
	buffer_store_dword v0, off, s[36:39], 0 offset:136 ; 4-byte Folded Spill
	v_add_co_ci_u32_e64 v0, null, s15, v1, vcc_lo
	buffer_store_dword v0, off, s[36:39], 0 offset:140 ; 4-byte Folded Spill
	v_lshlrev_b64 v[0:1], 2, v[22:23]
	v_add_co_u32 v2, vcc_lo, s12, v0
	buffer_store_dword v2, off, s[36:39], 0 offset:144 ; 4-byte Folded Spill
	v_add_co_ci_u32_e64 v2, null, s13, v1, vcc_lo
	v_add_co_u32 v0, vcc_lo, s14, v0
	buffer_store_dword v2, off, s[36:39], 0 offset:148 ; 4-byte Folded Spill
	buffer_store_dword v0, off, s[36:39], 0 offset:152 ; 4-byte Folded Spill
	v_add_co_ci_u32_e64 v0, null, s15, v1, vcc_lo
	buffer_store_dword v0, off, s[36:39], 0 offset:156 ; 4-byte Folded Spill
	v_lshlrev_b64 v[0:1], 2, v[24:25]
	v_add_co_u32 v2, vcc_lo, s12, v0
	buffer_store_dword v2, off, s[36:39], 0 offset:160 ; 4-byte Folded Spill
	v_add_co_ci_u32_e64 v2, null, s13, v1, vcc_lo
	v_add_co_u32 v0, vcc_lo, s14, v0
	buffer_store_dword v2, off, s[36:39], 0 offset:164 ; 4-byte Folded Spill
	buffer_store_dword v0, off, s[36:39], 0 offset:168 ; 4-byte Folded Spill
	v_add_co_ci_u32_e64 v0, null, s15, v1, vcc_lo
	buffer_store_dword v0, off, s[36:39], 0 offset:172 ; 4-byte Folded Spill
	v_lshlrev_b64 v[0:1], 2, v[26:27]
	v_add_co_u32 v2, vcc_lo, s12, v0
	buffer_store_dword v2, off, s[36:39], 0 offset:176 ; 4-byte Folded Spill
	v_add_co_ci_u32_e64 v2, null, s13, v1, vcc_lo
	v_add_co_u32 v0, vcc_lo, s14, v0
	buffer_store_dword v2, off, s[36:39], 0 offset:180 ; 4-byte Folded Spill
	buffer_store_dword v0, off, s[36:39], 0 offset:184 ; 4-byte Folded Spill
	v_add_co_ci_u32_e64 v0, null, s15, v1, vcc_lo
	buffer_store_dword v0, off, s[36:39], 0 offset:188 ; 4-byte Folded Spill
	v_lshlrev_b64 v[0:1], 2, v[28:29]
	v_add_co_u32 v2, vcc_lo, s12, v0
	buffer_store_dword v2, off, s[36:39], 0 offset:192 ; 4-byte Folded Spill
	v_add_co_ci_u32_e64 v2, null, s13, v1, vcc_lo
	v_add_co_u32 v0, vcc_lo, s14, v0
	buffer_store_dword v2, off, s[36:39], 0 offset:196 ; 4-byte Folded Spill
	buffer_store_dword v0, off, s[36:39], 0 offset:200 ; 4-byte Folded Spill
	v_add_co_ci_u32_e64 v0, null, s15, v1, vcc_lo
	buffer_store_dword v0, off, s[36:39], 0 offset:204 ; 4-byte Folded Spill
	v_lshlrev_b64 v[0:1], 2, v[30:31]
	v_add_co_u32 v2, vcc_lo, s12, v0
	buffer_store_dword v2, off, s[36:39], 0 offset:208 ; 4-byte Folded Spill
	v_add_co_ci_u32_e64 v2, null, s13, v1, vcc_lo
	v_add_co_u32 v0, vcc_lo, s14, v0
	buffer_store_dword v2, off, s[36:39], 0 offset:212 ; 4-byte Folded Spill
	buffer_store_dword v0, off, s[36:39], 0 offset:216 ; 4-byte Folded Spill
	v_add_co_ci_u32_e64 v0, null, s15, v1, vcc_lo
	buffer_store_dword v0, off, s[36:39], 0 offset:220 ; 4-byte Folded Spill
	v_lshlrev_b64 v[0:1], 2, v[32:33]
	v_add_co_u32 v2, vcc_lo, s12, v0
	buffer_store_dword v2, off, s[36:39], 0 offset:224 ; 4-byte Folded Spill
	v_add_co_ci_u32_e64 v2, null, s13, v1, vcc_lo
	v_add_co_u32 v0, vcc_lo, s14, v0
	buffer_store_dword v2, off, s[36:39], 0 offset:228 ; 4-byte Folded Spill
	buffer_store_dword v0, off, s[36:39], 0 offset:232 ; 4-byte Folded Spill
	v_add_co_ci_u32_e64 v0, null, s15, v1, vcc_lo
	buffer_store_dword v0, off, s[36:39], 0 offset:236 ; 4-byte Folded Spill
	v_lshlrev_b64 v[0:1], 2, v[159:160]
	v_add_co_u32 v2, vcc_lo, s12, v0
	buffer_store_dword v2, off, s[36:39], 0 offset:240 ; 4-byte Folded Spill
	v_add_co_ci_u32_e64 v2, null, s13, v1, vcc_lo
	v_add_co_u32 v232, vcc_lo, s14, v0
	v_add_co_ci_u32_e64 v233, null, s15, v1, vcc_lo
	v_lshlrev_b64 v[0:1], 2, v[161:162]
	buffer_store_dword v2, off, s[36:39], 0 offset:244 ; 4-byte Folded Spill
	v_lshlrev_b64 v[2:3], 2, v[178:179]
	v_add_co_u32 v234, vcc_lo, s12, v0
	v_add_co_ci_u32_e64 v235, null, s13, v1, vcc_lo
	v_add_co_u32 v236, vcc_lo, s14, v0
	v_add_co_ci_u32_e64 v237, null, s15, v1, vcc_lo
	v_lshlrev_b64 v[0:1], 2, v[163:164]
	v_add_co_u32 v238, vcc_lo, s12, v0
	v_add_co_ci_u32_e64 v239, null, s13, v1, vcc_lo
	v_add_co_u32 v240, vcc_lo, s14, v0
	v_add_co_ci_u32_e64 v241, null, s15, v1, vcc_lo
	;; [unrolled: 5-line block ×6, first 2 shown]
	v_add_co_u32 v0, vcc_lo, s12, v2
	v_add_co_ci_u32_e64 v1, null, s13, v3, vcc_lo
	v_add_co_u32 v170, vcc_lo, s14, v2
	v_add_co_ci_u32_e64 v171, null, s15, v3, vcc_lo
	v_lshlrev_b64 v[2:3], 2, v[180:181]
	v_add_co_u32 v172, vcc_lo, s12, v2
	v_add_co_ci_u32_e64 v173, null, s13, v3, vcc_lo
	v_add_co_u32 v174, vcc_lo, s14, v2
	v_add_co_ci_u32_e64 v175, null, s15, v3, vcc_lo
	v_lshlrev_b64 v[2:3], 2, v[182:183]
	;; [unrolled: 5-line block ×8, first 2 shown]
	v_add_co_u32 v200, vcc_lo, s12, v2
	v_add_co_ci_u32_e64 v201, null, s13, v3, vcc_lo
	v_add_co_u32 v202, vcc_lo, s14, v2
	v_mov_b32_e32 v2, 0
	v_add_co_ci_u32_e64 v203, null, s15, v3, vcc_lo
	v_add_nc_u32_e32 v3, s7, v228
	s_mul_i32 s7, s11, s1
	v_mov_b32_e32 v4, v2
	s_mul_hi_u32 s12, s10, s1
	v_mov_b32_e32 v204, v2
	s_add_i32 s13, s12, s7
	s_mul_i32 s12, s10, s1
	v_lshlrev_b64 v[159:160], 2, v[3:4]
	v_mov_b32_e32 v3, v168
	v_mov_b32_e32 v168, 0
	s_lshl_b64 s[12:13], s[12:13], 2
	s_mov_b64 s[14:15], 31
	s_branch .LBB51_147
.LBB51_145:                             ;   in Loop: Header=BB51_147 Depth=1
	s_or_b32 exec_lo, exec_lo, s7
	v_add_co_u32 v3, vcc_lo, v225, v159
	v_add_co_ci_u32_e64 v4, null, v169, v160, vcc_lo
	global_load_dword v7, v[3:4], off
	v_add_co_u32 v3, vcc_lo, v166, v159
	v_add_co_ci_u32_e64 v4, null, v167, v160, vcc_lo
	global_load_dword v3, v[3:4], off
	s_waitcnt vmcnt(3)
	ds_bpermute_b32 v4, v2, v6
	s_waitcnt vmcnt(1) lgkmcnt(0)
	v_sub_f32_e32 v4, v7, v4
	ds_bpermute_b32 v7, v2, v5
	s_waitcnt vmcnt(0)
	v_mul_f32_e32 v4, v3, v4
	v_add_f32_e32 v3, v230, v3
	s_waitcnt lgkmcnt(0)
	v_fmac_f32_e32 v168, v4, v7
	v_add_co_u32 v7, vcc_lo, v49, v159
	v_add_co_ci_u32_e64 v8, null, v50, v160, vcc_lo
	global_load_dword v9, v[7:8], off
	v_add_co_u32 v7, vcc_lo, v35, v159
	v_add_co_ci_u32_e64 v8, null, v36, v160, vcc_lo
	global_load_dword v4, v[7:8], off
	ds_bpermute_b32 v7, v2, v6 offset:4
	ds_bpermute_b32 v8, v2, v5 offset:4
	s_waitcnt vmcnt(1) lgkmcnt(1)
	v_sub_f32_e32 v7, v9, v7
	s_waitcnt vmcnt(0)
	v_mul_f32_e32 v7, v4, v7
	v_add_f32_e32 v3, v3, v4
	ds_bpermute_b32 v4, v2, v6 offset:124
	s_waitcnt lgkmcnt(1)
	v_fmac_f32_e32 v168, v7, v8
	v_add_co_u32 v7, vcc_lo, v53, v159
	v_add_co_ci_u32_e64 v8, null, v54, v160, vcc_lo
	global_load_dword v9, v[7:8], off
	v_add_co_u32 v7, vcc_lo, v37, v159
	v_add_co_ci_u32_e64 v8, null, v38, v160, vcc_lo
	global_load_dword v7, v[7:8], off
	ds_bpermute_b32 v8, v2, v6 offset:8
	s_waitcnt vmcnt(1) lgkmcnt(0)
	v_sub_f32_e32 v8, v9, v8
	ds_bpermute_b32 v9, v2, v5 offset:8
	s_waitcnt vmcnt(0)
	v_mul_f32_e32 v8, v7, v8
	v_add_f32_e32 v3, v3, v7
	s_waitcnt lgkmcnt(0)
	v_fmac_f32_e32 v168, v8, v9
	v_add_co_u32 v8, vcc_lo, v55, v159
	v_add_co_ci_u32_e64 v9, null, v56, v160, vcc_lo
	global_load_dword v10, v[8:9], off
	v_add_co_u32 v8, vcc_lo, v39, v159
	v_add_co_ci_u32_e64 v9, null, v40, v160, vcc_lo
	global_load_dword v8, v[8:9], off
	ds_bpermute_b32 v9, v2, v6 offset:12
	s_waitcnt vmcnt(1) lgkmcnt(0)
	v_sub_f32_e32 v9, v10, v9
	ds_bpermute_b32 v10, v2, v5 offset:12
	s_waitcnt vmcnt(0)
	v_mul_f32_e32 v9, v8, v9
	v_add_f32_e32 v3, v3, v8
	;; [unrolled: 15-line block ×8, first 2 shown]
	s_waitcnt lgkmcnt(0)
	v_fmac_f32_e32 v168, v15, v16
	v_add_co_u32 v15, vcc_lo, v73, v159
	v_add_co_ci_u32_e64 v16, null, v74, v160, vcc_lo
	global_load_dword v17, v[15:16], off
	v_add_co_u32 v15, vcc_lo, v71, v159
	v_add_co_ci_u32_e64 v16, null, v72, v160, vcc_lo
	global_load_dword v18, v[15:16], off
	ds_bpermute_b32 v15, v2, v6 offset:40
	ds_bpermute_b32 v16, v2, v5 offset:40
	s_waitcnt vmcnt(1) lgkmcnt(1)
	v_sub_f32_e32 v15, v17, v15
	s_waitcnt vmcnt(0)
	v_mul_f32_e32 v15, v18, v15
	v_add_f32_e32 v3, v3, v18
	s_waitcnt lgkmcnt(0)
	v_fmac_f32_e32 v168, v15, v16
	v_add_co_u32 v15, vcc_lo, v77, v159
	v_add_co_ci_u32_e64 v16, null, v78, v160, vcc_lo
	global_load_dword v17, v[15:16], off
	v_add_co_u32 v15, vcc_lo, v75, v159
	v_add_co_ci_u32_e64 v16, null, v76, v160, vcc_lo
	global_load_dword v19, v[15:16], off
	ds_bpermute_b32 v15, v2, v6 offset:44
	ds_bpermute_b32 v16, v2, v5 offset:44
	s_waitcnt vmcnt(1) lgkmcnt(1)
	v_sub_f32_e32 v15, v17, v15
	s_waitcnt vmcnt(0)
	v_mul_f32_e32 v15, v19, v15
	v_add_f32_e32 v3, v3, v19
	;; [unrolled: 15-line block ×20, first 2 shown]
	s_waitcnt lgkmcnt(0)
	v_fmac_f32_e32 v168, v15, v16
	v_add_co_u32 v15, vcc_lo, v153, v159
	v_add_co_ci_u32_e64 v16, null, v154, v160, vcc_lo
	global_load_dword v17, v[15:16], off
	v_add_co_u32 v15, vcc_lo, v151, v159
	v_add_co_ci_u32_e64 v16, null, v152, v160, vcc_lo
	global_load_dword v205, v[15:16], off
	ds_bpermute_b32 v15, v2, v6 offset:120
	ds_bpermute_b32 v16, v2, v5 offset:120
	;; [unrolled: 1-line block ×3, first 2 shown]
	s_waitcnt vmcnt(1) lgkmcnt(2)
	v_sub_f32_e32 v15, v17, v15
	s_waitcnt vmcnt(0)
	v_mul_f32_e32 v15, v205, v15
	v_add_f32_e32 v3, v3, v205
	s_waitcnt lgkmcnt(1)
	v_fmac_f32_e32 v168, v15, v16
	v_add_co_u32 v15, vcc_lo, v157, v159
	v_add_co_ci_u32_e64 v16, null, v158, v160, vcc_lo
	v_add_co_u32 v6, vcc_lo, v155, v159
	v_add_co_ci_u32_e64 v7, null, v156, v160, vcc_lo
	global_load_dword v15, v[15:16], off
	v_mov_b32_e32 v165, v168
	global_load_dword v34, v[6:7], off
	s_waitcnt vmcnt(1)
	v_sub_f32_e32 v4, v15, v4
	s_waitcnt vmcnt(0)
	v_mul_f32_e32 v4, v34, v4
	s_waitcnt lgkmcnt(0)
	v_mul_f32_e32 v4, v4, v5
.LBB51_146:                             ;   in Loop: Header=BB51_147 Depth=1
	v_add_f32_e32 v230, v3, v34
	buffer_load_dword v3, off, s[36:39], 0 offset:248 ; 4-byte Folded Reload
	v_add_f32_e32 v168, v165, v4
	buffer_load_dword v4, off, s[36:39], 0  ; 4-byte Folded Reload
	v_add_co_u32 v166, vcc_lo, v166, s12
	v_add_co_ci_u32_e64 v167, null, s13, v167, vcc_lo
	v_add_co_u32 v225, vcc_lo, v225, s12
	v_add_co_ci_u32_e64 v169, null, s13, v169, vcc_lo
	;; [unrolled: 2-line block ×64, first 2 shown]
	s_add_u32 s22, s22, s1
	s_addc_u32 s23, s23, 0
	s_add_u32 s14, s14, s1
	v_cmp_ge_i64_e64 s7, s[22:23], s[8:9]
	s_addc_u32 s15, 0, s15
	s_waitcnt vmcnt(1)
	v_add_co_u32 v3, vcc_lo, v3, s1
	v_add_co_ci_u32_e64 v204, null, 0, v204, vcc_lo
	s_waitcnt vmcnt(0)
	v_add_co_u32 v4, vcc_lo, v4, s12
	buffer_store_dword v4, off, s[36:39], 0 ; 4-byte Folded Spill
	buffer_load_dword v4, off, s[36:39], 0 offset:4 ; 4-byte Folded Reload
	s_waitcnt vmcnt(0)
	v_add_co_ci_u32_e64 v4, null, s13, v4, vcc_lo
	buffer_store_dword v4, off, s[36:39], 0 offset:4 ; 4-byte Folded Spill
	buffer_load_dword v4, off, s[36:39], 0 offset:8 ; 4-byte Folded Reload
	s_waitcnt vmcnt(0)
	v_add_co_u32 v4, vcc_lo, v4, s12
	buffer_store_dword v4, off, s[36:39], 0 offset:8 ; 4-byte Folded Spill
	buffer_load_dword v4, off, s[36:39], 0 offset:12 ; 4-byte Folded Reload
	s_waitcnt vmcnt(0)
	v_add_co_ci_u32_e64 v4, null, s13, v4, vcc_lo
	buffer_store_dword v4, off, s[36:39], 0 offset:12 ; 4-byte Folded Spill
	buffer_load_dword v4, off, s[36:39], 0 offset:16 ; 4-byte Folded Reload
	s_waitcnt vmcnt(0)
	v_add_co_u32 v4, vcc_lo, v4, s12
	buffer_store_dword v4, off, s[36:39], 0 offset:16 ; 4-byte Folded Spill
	;; [unrolled: 8-line block ×30, first 2 shown]
	buffer_load_dword v4, off, s[36:39], 0 offset:244 ; 4-byte Folded Reload
	s_waitcnt vmcnt(0)
	v_add_co_ci_u32_e64 v4, null, s13, v4, vcc_lo
	v_add_co_u32 v232, vcc_lo, v232, s12
	v_add_co_ci_u32_e64 v233, null, s13, v233, vcc_lo
	v_add_co_u32 v234, vcc_lo, v234, s12
	;; [unrolled: 2-line block ×31, first 2 shown]
	v_add_co_ci_u32_e64 v203, null, s13, v203, vcc_lo
	s_and_b32 vcc_lo, exec_lo, s7
	buffer_store_dword v4, off, s[36:39], 0 offset:244 ; 4-byte Folded Spill
	s_cbranch_vccnz .LBB51_218
.LBB51_147:                             ; =>This Inner Loop Header: Depth=1
	s_add_u32 s24, s20, s14
	s_addc_u32 s25, 0, s15
	v_add_co_u32 v161, vcc_lo, s20, v3
	v_cmp_ge_i64_e64 s7, s[24:25], s[8:9]
	v_add_co_ci_u32_e64 v162, null, 0, v204, vcc_lo
	buffer_store_dword v3, off, s[36:39], 0 offset:248 ; 4-byte Folded Spill
                                        ; implicit-def: $vgpr34
                                        ; implicit-def: $vgpr4
                                        ; implicit-def: $vgpr3
                                        ; implicit-def: $vgpr165
	s_and_b32 vcc_lo, exec_lo, s7
	s_mov_b32 s7, -1
	s_cbranch_vccz .LBB51_215
; %bb.148:                              ;   in Loop: Header=BB51_147 Depth=1
	s_load_dword s7, s[2:3], 0xc
	s_clause 0x1
	buffer_load_dword v3, off, s[36:39], 0 offset:300
	buffer_load_dword v4, off, s[36:39], 0 offset:304
	v_mov_b32_e32 v231, 0
	v_mov_b32_e32 v205, 0
	;; [unrolled: 1-line block ×3, first 2 shown]
	s_waitcnt lgkmcnt(0)
	s_and_b32 s7, s7, 0xffff
	s_waitcnt vmcnt(1)
	v_mad_u32_u24 v3, v3, s7, v228
	s_mov_b32 s7, exec_lo
	v_and_b32_e32 v3, 31, v3
	v_add_co_u32 v3, vcc_lo, v161, v3
	s_waitcnt vmcnt(0)
	v_add_co_ci_u32_e64 v4, null, 0, v162, vcc_lo
	v_cmpx_gt_i64_e64 s[8:9], v[3:4]
	s_cbranch_execz .LBB51_150
; %bb.149:                              ;   in Loop: Header=BB51_147 Depth=1
	v_lshlrev_b64 v[3:4], 2, v[3:4]
	v_add_co_u32 v5, vcc_lo, s16, v3
	v_add_co_ci_u32_e64 v6, null, s17, v4, vcc_lo
	v_add_co_u32 v3, vcc_lo, s18, v3
	v_add_co_ci_u32_e64 v4, null, s19, v4, vcc_lo
	global_load_dword v206, v[5:6], off
	global_load_dword v205, v[3:4], off
.LBB51_150:                             ;   in Loop: Header=BB51_147 Depth=1
	s_or_b32 exec_lo, exec_lo, s7
	v_mov_b32_e32 v33, v2
	v_mov_b32_e32 v3, v2
	;; [unrolled: 1-line block ×63, first 2 shown]
	s_mov_b32 s7, exec_lo
	v_cmpx_gt_i64_e64 s[8:9], v[161:162]
	s_cbranch_execz .LBB51_152
; %bb.151:                              ;   in Loop: Header=BB51_147 Depth=1
	v_add_co_u32 v3, vcc_lo, v225, v159
	v_add_co_ci_u32_e64 v4, null, v169, v160, vcc_lo
	v_add_co_u32 v5, vcc_lo, v166, v159
	v_add_co_ci_u32_e64 v6, null, v167, v160, vcc_lo
	global_load_dword v231, v[3:4], off
	global_load_dword v3, v[5:6], off
	v_mov_b32_e32 v4, v2
	v_mov_b32_e32 v5, v2
	;; [unrolled: 1-line block ×31, first 2 shown]
.LBB51_152:                             ;   in Loop: Header=BB51_147 Depth=1
	s_or_b32 exec_lo, exec_lo, s7
	v_add_co_u32 v207, vcc_lo, v161, 1
	v_add_co_ci_u32_e64 v208, null, 0, v162, vcc_lo
	v_cmp_gt_i64_e32 vcc_lo, s[8:9], v[207:208]
	v_mov_b32_e32 v207, 0
	buffer_store_dword v207, off, s[36:39], 0 offset:252 ; 4-byte Folded Spill
	v_mov_b32_e32 v207, 0
	buffer_store_dword v207, off, s[36:39], 0 offset:256 ; 4-byte Folded Spill
	s_and_saveexec_b32 s7, vcc_lo
	s_cbranch_execz .LBB51_154
; %bb.153:                              ;   in Loop: Header=BB51_147 Depth=1
	v_add_co_u32 v207, vcc_lo, v200, v159
	v_add_co_ci_u32_e64 v208, null, v201, v160, vcc_lo
	v_add_co_u32 v209, vcc_lo, v202, v159
	v_add_co_ci_u32_e64 v210, null, v203, v160, vcc_lo
	global_load_dword v4, v[207:208], off
	global_load_dword v207, v[209:210], off
	s_waitcnt vmcnt(0)
	buffer_store_dword v207, off, s[36:39], 0 offset:256 ; 4-byte Folded Spill
.LBB51_154:                             ;   in Loop: Header=BB51_147 Depth=1
	s_or_b32 exec_lo, exec_lo, s7
	v_add_co_u32 v207, vcc_lo, v161, 2
	v_add_co_ci_u32_e64 v208, null, 0, v162, vcc_lo
	s_mov_b32 s7, exec_lo
	v_cmpx_gt_i64_e64 s[8:9], v[207:208]
	s_cbranch_execz .LBB51_156
; %bb.155:                              ;   in Loop: Header=BB51_147 Depth=1
	v_add_co_u32 v207, vcc_lo, v196, v159
	v_add_co_ci_u32_e64 v208, null, v197, v160, vcc_lo
	v_add_co_u32 v209, vcc_lo, v198, v159
	v_add_co_ci_u32_e64 v210, null, v199, v160, vcc_lo
	global_load_dword v5, v[207:208], off
	global_load_dword v207, v[209:210], off
	s_waitcnt vmcnt(0)
	buffer_store_dword v207, off, s[36:39], 0 offset:252 ; 4-byte Folded Spill
.LBB51_156:                             ;   in Loop: Header=BB51_147 Depth=1
	s_or_b32 exec_lo, exec_lo, s7
	v_add_co_u32 v207, vcc_lo, v161, 3
	v_add_co_ci_u32_e64 v208, null, 0, v162, vcc_lo
	v_cmp_gt_i64_e32 vcc_lo, s[8:9], v[207:208]
	v_mov_b32_e32 v207, 0
	buffer_store_dword v207, off, s[36:39], 0 offset:260 ; 4-byte Folded Spill
	v_mov_b32_e32 v207, 0
	buffer_store_dword v207, off, s[36:39], 0 offset:264 ; 4-byte Folded Spill
	s_and_saveexec_b32 s7, vcc_lo
	s_cbranch_execz .LBB51_158
; %bb.157:                              ;   in Loop: Header=BB51_147 Depth=1
	v_add_co_u32 v207, vcc_lo, v192, v159
	v_add_co_ci_u32_e64 v208, null, v193, v160, vcc_lo
	v_add_co_u32 v209, vcc_lo, v194, v159
	v_add_co_ci_u32_e64 v210, null, v195, v160, vcc_lo
	global_load_dword v6, v[207:208], off
	global_load_dword v207, v[209:210], off
	s_waitcnt vmcnt(0)
	buffer_store_dword v207, off, s[36:39], 0 offset:264 ; 4-byte Folded Spill
.LBB51_158:                             ;   in Loop: Header=BB51_147 Depth=1
	s_or_b32 exec_lo, exec_lo, s7
	v_add_co_u32 v207, vcc_lo, v161, 4
	v_add_co_ci_u32_e64 v208, null, 0, v162, vcc_lo
	s_mov_b32 s7, exec_lo
	v_cmpx_gt_i64_e64 s[8:9], v[207:208]
	s_cbranch_execz .LBB51_160
; %bb.159:                              ;   in Loop: Header=BB51_147 Depth=1
	v_add_co_u32 v207, vcc_lo, v188, v159
	v_add_co_ci_u32_e64 v208, null, v189, v160, vcc_lo
	v_add_co_u32 v209, vcc_lo, v190, v159
	v_add_co_ci_u32_e64 v210, null, v191, v160, vcc_lo
	global_load_dword v7, v[207:208], off
	global_load_dword v207, v[209:210], off
	s_waitcnt vmcnt(0)
	buffer_store_dword v207, off, s[36:39], 0 offset:260 ; 4-byte Folded Spill
.LBB51_160:                             ;   in Loop: Header=BB51_147 Depth=1
	;; [unrolled: 36-line block ×6, first 2 shown]
	s_or_b32 exec_lo, exec_lo, s7
	v_add_co_u32 v207, vcc_lo, v161, 13
	v_add_co_ci_u32_e64 v208, null, 0, v162, vcc_lo
	v_mov_b32_e32 v209, 0
	v_cmp_gt_i64_e32 vcc_lo, s[8:9], v[207:208]
	v_mov_b32_e32 v208, 0
	s_and_saveexec_b32 s7, vcc_lo
	s_cbranch_execz .LBB51_178
; %bb.177:                              ;   in Loop: Header=BB51_147 Depth=1
	v_add_co_u32 v209, vcc_lo, v242, v159
	v_add_co_ci_u32_e64 v210, null, v243, v160, vcc_lo
	v_add_co_u32 v211, vcc_lo, v244, v159
	v_add_co_ci_u32_e64 v212, null, v245, v160, vcc_lo
	global_load_dword v16, v[209:210], off
	global_load_dword v209, v[211:212], off
.LBB51_178:                             ;   in Loop: Header=BB51_147 Depth=1
	s_or_b32 exec_lo, exec_lo, s7
	v_add_co_u32 v210, vcc_lo, v161, 14
	v_add_co_ci_u32_e64 v211, null, 0, v162, vcc_lo
	s_mov_b32 s7, exec_lo
	v_cmpx_gt_i64_e64 s[8:9], v[210:211]
	s_cbranch_execz .LBB51_180
; %bb.179:                              ;   in Loop: Header=BB51_147 Depth=1
	v_add_co_u32 v207, vcc_lo, v238, v159
	v_add_co_ci_u32_e64 v208, null, v239, v160, vcc_lo
	v_add_co_u32 v210, vcc_lo, v240, v159
	v_add_co_ci_u32_e64 v211, null, v241, v160, vcc_lo
	global_load_dword v17, v[207:208], off
	global_load_dword v208, v[210:211], off
.LBB51_180:                             ;   in Loop: Header=BB51_147 Depth=1
	s_or_b32 exec_lo, exec_lo, s7
	v_add_co_u32 v210, vcc_lo, v161, 15
	v_add_co_ci_u32_e64 v211, null, 0, v162, vcc_lo
	v_cmp_gt_i64_e32 vcc_lo, s[8:9], v[210:211]
	v_mov_b32_e32 v210, 0
	v_mov_b32_e32 v211, 0
	s_and_saveexec_b32 s7, vcc_lo
	s_cbranch_execz .LBB51_182
; %bb.181:                              ;   in Loop: Header=BB51_147 Depth=1
	v_add_co_u32 v211, vcc_lo, v234, v159
	v_add_co_ci_u32_e64 v212, null, v235, v160, vcc_lo
	v_add_co_u32 v213, vcc_lo, v236, v159
	v_add_co_ci_u32_e64 v214, null, v237, v160, vcc_lo
	global_load_dword v18, v[211:212], off
	global_load_dword v211, v[213:214], off
.LBB51_182:                             ;   in Loop: Header=BB51_147 Depth=1
	s_or_b32 exec_lo, exec_lo, s7
	v_add_co_u32 v212, vcc_lo, v161, 16
	v_add_co_ci_u32_e64 v213, null, 0, v162, vcc_lo
	s_mov_b32 s7, exec_lo
	v_cmpx_gt_i64_e64 s[8:9], v[212:213]
	s_cbranch_execz .LBB51_184
; %bb.183:                              ;   in Loop: Header=BB51_147 Depth=1
	buffer_load_dword v19, off, s[36:39], 0 offset:240 ; 4-byte Folded Reload
	s_waitcnt vmcnt(0)
	v_add_co_u32 v212, vcc_lo, v19, v159
	buffer_load_dword v19, off, s[36:39], 0 offset:244 ; 4-byte Folded Reload
	s_waitcnt vmcnt(0)
	v_add_co_ci_u32_e64 v213, null, v19, v160, vcc_lo
	v_add_co_u32 v214, vcc_lo, v232, v159
	v_add_co_ci_u32_e64 v215, null, v233, v160, vcc_lo
	global_load_dword v19, v[212:213], off
	global_load_dword v210, v[214:215], off
.LBB51_184:                             ;   in Loop: Header=BB51_147 Depth=1
	s_or_b32 exec_lo, exec_lo, s7
	v_add_co_u32 v212, vcc_lo, v161, 17
	v_add_co_ci_u32_e64 v213, null, 0, v162, vcc_lo
	v_cmp_gt_i64_e32 vcc_lo, s[8:9], v[212:213]
	v_mov_b32_e32 v212, 0
	v_mov_b32_e32 v213, 0
	s_and_saveexec_b32 s7, vcc_lo
	s_cbranch_execz .LBB51_186
; %bb.185:                              ;   in Loop: Header=BB51_147 Depth=1
	buffer_load_dword v20, off, s[36:39], 0 offset:224 ; 4-byte Folded Reload
	s_waitcnt vmcnt(0)
	v_add_co_u32 v213, vcc_lo, v20, v159
	buffer_load_dword v20, off, s[36:39], 0 offset:228 ; 4-byte Folded Reload
	s_waitcnt vmcnt(0)
	v_add_co_ci_u32_e64 v214, null, v20, v160, vcc_lo
	buffer_load_dword v20, off, s[36:39], 0 offset:232 ; 4-byte Folded Reload
	s_waitcnt vmcnt(0)
	v_add_co_u32 v215, vcc_lo, v20, v159
	buffer_load_dword v20, off, s[36:39], 0 offset:236 ; 4-byte Folded Reload
	s_waitcnt vmcnt(0)
	v_add_co_ci_u32_e64 v216, null, v20, v160, vcc_lo
	global_load_dword v20, v[213:214], off
	global_load_dword v213, v[215:216], off
.LBB51_186:                             ;   in Loop: Header=BB51_147 Depth=1
	s_or_b32 exec_lo, exec_lo, s7
	v_add_co_u32 v214, vcc_lo, v161, 18
	v_add_co_ci_u32_e64 v215, null, 0, v162, vcc_lo
	s_mov_b32 s7, exec_lo
	v_cmpx_gt_i64_e64 s[8:9], v[214:215]
	s_cbranch_execz .LBB51_188
; %bb.187:                              ;   in Loop: Header=BB51_147 Depth=1
	buffer_load_dword v21, off, s[36:39], 0 offset:208 ; 4-byte Folded Reload
	s_waitcnt vmcnt(0)
	v_add_co_u32 v214, vcc_lo, v21, v159
	buffer_load_dword v21, off, s[36:39], 0 offset:212 ; 4-byte Folded Reload
	s_waitcnt vmcnt(0)
	v_add_co_ci_u32_e64 v215, null, v21, v160, vcc_lo
	buffer_load_dword v21, off, s[36:39], 0 offset:216 ; 4-byte Folded Reload
	s_waitcnt vmcnt(0)
	v_add_co_u32 v216, vcc_lo, v21, v159
	buffer_load_dword v21, off, s[36:39], 0 offset:220 ; 4-byte Folded Reload
	s_waitcnt vmcnt(0)
	v_add_co_ci_u32_e64 v217, null, v21, v160, vcc_lo
	global_load_dword v21, v[214:215], off
	global_load_dword v212, v[216:217], off
.LBB51_188:                             ;   in Loop: Header=BB51_147 Depth=1
	s_or_b32 exec_lo, exec_lo, s7
	v_add_co_u32 v214, vcc_lo, v161, 19
	v_add_co_ci_u32_e64 v215, null, 0, v162, vcc_lo
	v_mov_b32_e32 v207, 0
	v_cmp_gt_i64_e32 vcc_lo, s[8:9], v[214:215]
	v_mov_b32_e32 v214, 0
	s_and_saveexec_b32 s7, vcc_lo
	s_cbranch_execz .LBB51_190
; %bb.189:                              ;   in Loop: Header=BB51_147 Depth=1
	buffer_load_dword v22, off, s[36:39], 0 offset:192 ; 4-byte Folded Reload
	s_waitcnt vmcnt(0)
	v_add_co_u32 v215, vcc_lo, v22, v159
	buffer_load_dword v22, off, s[36:39], 0 offset:196 ; 4-byte Folded Reload
	s_waitcnt vmcnt(0)
	v_add_co_ci_u32_e64 v216, null, v22, v160, vcc_lo
	buffer_load_dword v22, off, s[36:39], 0 offset:200 ; 4-byte Folded Reload
	s_waitcnt vmcnt(0)
	v_add_co_u32 v217, vcc_lo, v22, v159
	buffer_load_dword v22, off, s[36:39], 0 offset:204 ; 4-byte Folded Reload
	s_waitcnt vmcnt(0)
	v_add_co_ci_u32_e64 v218, null, v22, v160, vcc_lo
	global_load_dword v22, v[215:216], off
	global_load_dword v207, v[217:218], off
.LBB51_190:                             ;   in Loop: Header=BB51_147 Depth=1
	s_or_b32 exec_lo, exec_lo, s7
	v_add_co_u32 v215, vcc_lo, v161, 20
	v_add_co_ci_u32_e64 v216, null, 0, v162, vcc_lo
	s_mov_b32 s7, exec_lo
	v_cmpx_gt_i64_e64 s[8:9], v[215:216]
	s_cbranch_execz .LBB51_192
; %bb.191:                              ;   in Loop: Header=BB51_147 Depth=1
	buffer_load_dword v23, off, s[36:39], 0 offset:176 ; 4-byte Folded Reload
	s_waitcnt vmcnt(0)
	v_add_co_u32 v214, vcc_lo, v23, v159
	buffer_load_dword v23, off, s[36:39], 0 offset:180 ; 4-byte Folded Reload
	s_waitcnt vmcnt(0)
	v_add_co_ci_u32_e64 v215, null, v23, v160, vcc_lo
	buffer_load_dword v23, off, s[36:39], 0 offset:184 ; 4-byte Folded Reload
	s_waitcnt vmcnt(0)
	v_add_co_u32 v216, vcc_lo, v23, v159
	buffer_load_dword v23, off, s[36:39], 0 offset:188 ; 4-byte Folded Reload
	s_waitcnt vmcnt(0)
	v_add_co_ci_u32_e64 v217, null, v23, v160, vcc_lo
	global_load_dword v23, v[214:215], off
	global_load_dword v214, v[216:217], off
.LBB51_192:                             ;   in Loop: Header=BB51_147 Depth=1
	s_or_b32 exec_lo, exec_lo, s7
	v_add_co_u32 v215, vcc_lo, v161, 21
	v_add_co_ci_u32_e64 v216, null, 0, v162, vcc_lo
	v_mov_b32_e32 v217, 0
	v_mov_b32_e32 v218, 0
	s_mov_b32 s7, exec_lo
	v_cmpx_gt_i64_e64 s[8:9], v[215:216]
	s_cbranch_execz .LBB51_194
; %bb.193:                              ;   in Loop: Header=BB51_147 Depth=1
	buffer_load_dword v24, off, s[36:39], 0 offset:160 ; 4-byte Folded Reload
	s_waitcnt vmcnt(0)
	v_add_co_u32 v215, vcc_lo, v24, v159
	buffer_load_dword v24, off, s[36:39], 0 offset:164 ; 4-byte Folded Reload
	s_waitcnt vmcnt(0)
	v_add_co_ci_u32_e64 v216, null, v24, v160, vcc_lo
	buffer_load_dword v24, off, s[36:39], 0 offset:168 ; 4-byte Folded Reload
	s_waitcnt vmcnt(0)
	v_add_co_u32 v218, vcc_lo, v24, v159
	buffer_load_dword v24, off, s[36:39], 0 offset:172 ; 4-byte Folded Reload
	s_waitcnt vmcnt(0)
	v_add_co_ci_u32_e64 v219, null, v24, v160, vcc_lo
	global_load_dword v24, v[215:216], off
	global_load_dword v218, v[218:219], off
.LBB51_194:                             ;   in Loop: Header=BB51_147 Depth=1
	s_or_b32 exec_lo, exec_lo, s7
	v_add_co_u32 v215, vcc_lo, v161, 22
	v_add_co_ci_u32_e64 v216, null, 0, v162, vcc_lo
	s_mov_b32 s7, exec_lo
	v_cmpx_gt_i64_e64 s[8:9], v[215:216]
	s_cbranch_execz .LBB51_196
; %bb.195:                              ;   in Loop: Header=BB51_147 Depth=1
	buffer_load_dword v25, off, s[36:39], 0 offset:144 ; 4-byte Folded Reload
	s_waitcnt vmcnt(0)
	v_add_co_u32 v215, vcc_lo, v25, v159
	buffer_load_dword v25, off, s[36:39], 0 offset:148 ; 4-byte Folded Reload
	s_waitcnt vmcnt(0)
	v_add_co_ci_u32_e64 v216, null, v25, v160, vcc_lo
	buffer_load_dword v25, off, s[36:39], 0 offset:152 ; 4-byte Folded Reload
	s_waitcnt vmcnt(0)
	v_add_co_u32 v219, vcc_lo, v25, v159
	buffer_load_dword v25, off, s[36:39], 0 offset:156 ; 4-byte Folded Reload
	s_waitcnt vmcnt(0)
	v_add_co_ci_u32_e64 v220, null, v25, v160, vcc_lo
	global_load_dword v25, v[215:216], off
	global_load_dword v217, v[219:220], off
.LBB51_196:                             ;   in Loop: Header=BB51_147 Depth=1
	s_or_b32 exec_lo, exec_lo, s7
	v_add_co_u32 v215, vcc_lo, v161, 23
	v_add_co_ci_u32_e64 v216, null, 0, v162, vcc_lo
	v_mov_b32_e32 v219, 0
	v_mov_b32_e32 v222, 0
	s_mov_b32 s7, exec_lo
	v_cmpx_gt_i64_e64 s[8:9], v[215:216]
	;; [unrolled: 46-line block ×3, first 2 shown]
	s_cbranch_execz .LBB51_202
; %bb.201:                              ;   in Loop: Header=BB51_147 Depth=1
	buffer_load_dword v28, off, s[36:39], 0 offset:96 ; 4-byte Folded Reload
	s_waitcnt vmcnt(0)
	v_add_co_u32 v215, vcc_lo, v28, v159
	buffer_load_dword v28, off, s[36:39], 0 offset:100 ; 4-byte Folded Reload
	s_waitcnt vmcnt(0)
	v_add_co_ci_u32_e64 v216, null, v28, v160, vcc_lo
	buffer_load_dword v28, off, s[36:39], 0 offset:104 ; 4-byte Folded Reload
	s_waitcnt vmcnt(0)
	v_add_co_u32 v220, vcc_lo, v28, v159
	buffer_load_dword v28, off, s[36:39], 0 offset:108 ; 4-byte Folded Reload
	s_waitcnt vmcnt(0)
	v_add_co_ci_u32_e64 v221, null, v28, v160, vcc_lo
	global_load_dword v28, v[215:216], off
	global_load_dword v224, v[220:221], off
.LBB51_202:                             ;   in Loop: Header=BB51_147 Depth=1
	s_or_b32 exec_lo, exec_lo, s7
	v_add_co_u32 v215, vcc_lo, v161, 26
	v_add_co_ci_u32_e64 v216, null, 0, v162, vcc_lo
	s_mov_b32 s7, exec_lo
	v_cmpx_gt_i64_e64 s[8:9], v[215:216]
	s_cbranch_execz .LBB51_204
; %bb.203:                              ;   in Loop: Header=BB51_147 Depth=1
	buffer_load_dword v29, off, s[36:39], 0 offset:80 ; 4-byte Folded Reload
	s_waitcnt vmcnt(0)
	v_add_co_u32 v215, vcc_lo, v29, v159
	buffer_load_dword v29, off, s[36:39], 0 offset:84 ; 4-byte Folded Reload
	s_waitcnt vmcnt(0)
	v_add_co_ci_u32_e64 v216, null, v29, v160, vcc_lo
	buffer_load_dword v29, off, s[36:39], 0 offset:88 ; 4-byte Folded Reload
	s_waitcnt vmcnt(0)
	v_add_co_u32 v220, vcc_lo, v29, v159
	buffer_load_dword v29, off, s[36:39], 0 offset:92 ; 4-byte Folded Reload
	s_waitcnt vmcnt(0)
	v_add_co_ci_u32_e64 v221, null, v29, v160, vcc_lo
	global_load_dword v29, v[215:216], off
	global_load_dword v223, v[220:221], off
.LBB51_204:                             ;   in Loop: Header=BB51_147 Depth=1
	s_or_b32 exec_lo, exec_lo, s7
	v_add_co_u32 v215, vcc_lo, v161, 27
	v_add_co_ci_u32_e64 v216, null, 0, v162, vcc_lo
	v_cmp_gt_i64_e32 vcc_lo, s[8:9], v[215:216]
	v_mov_b32_e32 v215, 0
	v_mov_b32_e32 v216, 0
	s_and_saveexec_b32 s7, vcc_lo
	s_cbranch_execz .LBB51_206
; %bb.205:                              ;   in Loop: Header=BB51_147 Depth=1
	buffer_load_dword v30, off, s[36:39], 0 offset:64 ; 4-byte Folded Reload
	s_waitcnt vmcnt(0)
	v_add_co_u32 v220, vcc_lo, v30, v159
	buffer_load_dword v30, off, s[36:39], 0 offset:68 ; 4-byte Folded Reload
	s_waitcnt vmcnt(0)
	v_add_co_ci_u32_e64 v221, null, v30, v160, vcc_lo
	buffer_load_dword v30, off, s[36:39], 0 offset:72 ; 4-byte Folded Reload
	s_waitcnt vmcnt(0)
	v_add_co_u32 v226, vcc_lo, v30, v159
	buffer_load_dword v30, off, s[36:39], 0 offset:76 ; 4-byte Folded Reload
	s_waitcnt vmcnt(0)
	v_add_co_ci_u32_e64 v227, null, v30, v160, vcc_lo
	global_load_dword v30, v[220:221], off
	global_load_dword v216, v[226:227], off
.LBB51_206:                             ;   in Loop: Header=BB51_147 Depth=1
	s_or_b32 exec_lo, exec_lo, s7
	v_add_co_u32 v220, vcc_lo, v161, 28
	v_add_co_ci_u32_e64 v221, null, 0, v162, vcc_lo
	s_mov_b32 s7, exec_lo
	v_cmpx_gt_i64_e64 s[8:9], v[220:221]
	s_cbranch_execz .LBB51_208
; %bb.207:                              ;   in Loop: Header=BB51_147 Depth=1
	buffer_load_dword v31, off, s[36:39], 0 offset:48 ; 4-byte Folded Reload
	s_waitcnt vmcnt(0)
	v_add_co_u32 v220, vcc_lo, v31, v159
	buffer_load_dword v31, off, s[36:39], 0 offset:52 ; 4-byte Folded Reload
	s_waitcnt vmcnt(0)
	v_add_co_ci_u32_e64 v221, null, v31, v160, vcc_lo
	buffer_load_dword v31, off, s[36:39], 0 offset:56 ; 4-byte Folded Reload
	s_waitcnt vmcnt(0)
	v_add_co_u32 v226, vcc_lo, v31, v159
	buffer_load_dword v31, off, s[36:39], 0 offset:60 ; 4-byte Folded Reload
	s_waitcnt vmcnt(0)
	v_add_co_ci_u32_e64 v227, null, v31, v160, vcc_lo
	global_load_dword v31, v[220:221], off
	global_load_dword v215, v[226:227], off
.LBB51_208:                             ;   in Loop: Header=BB51_147 Depth=1
	s_or_b32 exec_lo, exec_lo, s7
	v_add_co_u32 v220, vcc_lo, v161, 29
	v_add_co_ci_u32_e64 v221, null, 0, v162, vcc_lo
	v_cmp_gt_i64_e32 vcc_lo, s[8:9], v[220:221]
	v_mov_b32_e32 v220, 0
	v_mov_b32_e32 v221, 0
	s_and_saveexec_b32 s7, vcc_lo
	s_cbranch_execz .LBB51_210
; %bb.209:                              ;   in Loop: Header=BB51_147 Depth=1
	buffer_load_dword v32, off, s[36:39], 0 offset:32 ; 4-byte Folded Reload
	s_waitcnt vmcnt(0)
	v_add_co_u32 v226, vcc_lo, v32, v159
	buffer_load_dword v32, off, s[36:39], 0 offset:36 ; 4-byte Folded Reload
	s_waitcnt vmcnt(0)
	v_add_co_ci_u32_e64 v227, null, v32, v160, vcc_lo
	buffer_load_dword v32, off, s[36:39], 0 offset:40 ; 4-byte Folded Reload
	s_waitcnt vmcnt(0)
	v_add_co_u32 v228, vcc_lo, v32, v159
	buffer_load_dword v32, off, s[36:39], 0 offset:44 ; 4-byte Folded Reload
	s_waitcnt vmcnt(0)
	v_add_co_ci_u32_e64 v229, null, v32, v160, vcc_lo
	global_load_dword v32, v[226:227], off
	global_load_dword v221, v[228:229], off
.LBB51_210:                             ;   in Loop: Header=BB51_147 Depth=1
	s_or_b32 exec_lo, exec_lo, s7
	v_add_co_u32 v226, vcc_lo, v161, 30
	v_add_co_ci_u32_e64 v227, null, 0, v162, vcc_lo
	s_mov_b32 s7, exec_lo
	v_cmpx_gt_i64_e64 s[8:9], v[226:227]
	s_cbranch_execz .LBB51_212
; %bb.211:                              ;   in Loop: Header=BB51_147 Depth=1
	buffer_load_dword v33, off, s[36:39], 0 offset:16 ; 4-byte Folded Reload
	s_waitcnt vmcnt(0)
	v_add_co_u32 v226, vcc_lo, v33, v159
	buffer_load_dword v33, off, s[36:39], 0 offset:20 ; 4-byte Folded Reload
	s_waitcnt vmcnt(0)
	v_add_co_ci_u32_e64 v227, null, v33, v160, vcc_lo
	buffer_load_dword v33, off, s[36:39], 0 offset:24 ; 4-byte Folded Reload
	s_waitcnt vmcnt(0)
	v_add_co_u32 v228, vcc_lo, v33, v159
	buffer_load_dword v33, off, s[36:39], 0 offset:28 ; 4-byte Folded Reload
	s_waitcnt vmcnt(0)
	v_add_co_ci_u32_e64 v229, null, v33, v160, vcc_lo
	global_load_dword v33, v[226:227], off
	global_load_dword v220, v[228:229], off
.LBB51_212:                             ;   in Loop: Header=BB51_147 Depth=1
	s_or_b32 exec_lo, exec_lo, s7
	v_add_co_u32 v226, vcc_lo, v161, 31
	v_add_co_ci_u32_e64 v227, null, 0, v162, vcc_lo
	v_cmp_gt_i64_e32 vcc_lo, s[8:9], v[226:227]
	v_mov_b32_e32 v226, 0
	s_and_saveexec_b32 s7, vcc_lo
	s_cbranch_execz .LBB51_214
; %bb.213:                              ;   in Loop: Header=BB51_147 Depth=1
	buffer_load_dword v34, off, s[36:39], 0 ; 4-byte Folded Reload
	s_waitcnt vmcnt(0)
	v_add_co_u32 v226, vcc_lo, v34, v159
	buffer_load_dword v34, off, s[36:39], 0 offset:4 ; 4-byte Folded Reload
	s_waitcnt vmcnt(0)
	v_add_co_ci_u32_e64 v227, null, v34, v160, vcc_lo
	buffer_load_dword v34, off, s[36:39], 0 offset:8 ; 4-byte Folded Reload
	s_waitcnt vmcnt(0)
	v_add_co_u32 v228, vcc_lo, v34, v159
	buffer_load_dword v34, off, s[36:39], 0 offset:12 ; 4-byte Folded Reload
	s_waitcnt vmcnt(0)
	v_add_co_ci_u32_e64 v229, null, v34, v160, vcc_lo
	global_load_dword v34, v[226:227], off
	global_load_dword v226, v[228:229], off
.LBB51_214:                             ;   in Loop: Header=BB51_147 Depth=1
	s_or_b32 exec_lo, exec_lo, s7
	buffer_load_dword v228, off, s[36:39], 0 offset:256 ; 4-byte Folded Reload
	s_waitcnt vmcnt(2)
	ds_bpermute_b32 v227, v2, v206 offset:4
	ds_bpermute_b32 v165, v2, v206
	s_mov_b32 s7, 0
	s_waitcnt lgkmcnt(0)
	v_sub_f32_e32 v165, v231, v165
	s_waitcnt vmcnt(1)
	v_mul_f32_e32 v165, v3, v165
	v_add_f32_e32 v3, v230, v3
	v_add_f32_e32 v3, v4, v3
	;; [unrolled: 1-line block ×31, first 2 shown]
	s_waitcnt vmcnt(0)
	v_sub_f32_e32 v227, v228, v227
	ds_bpermute_b32 v228, v2, v205
	v_mul_f32_e32 v227, v4, v227
	ds_bpermute_b32 v4, v2, v206 offset:108
	s_waitcnt lgkmcnt(1)
	v_fma_f32 v165, v165, v228, v168
	ds_bpermute_b32 v228, v2, v205 offset:4
	s_waitcnt lgkmcnt(1)
	v_sub_f32_e32 v4, v216, v4
	v_mul_f32_e32 v4, v30, v4
	s_waitcnt lgkmcnt(0)
	v_fmac_f32_e32 v165, v227, v228
	buffer_load_dword v228, off, s[36:39], 0 offset:252 ; 4-byte Folded Reload
	ds_bpermute_b32 v227, v2, v206 offset:8
	s_waitcnt vmcnt(0) lgkmcnt(0)
	v_sub_f32_e32 v227, v228, v227
	ds_bpermute_b32 v228, v2, v205 offset:8
	v_mul_f32_e32 v227, v5, v227
	ds_bpermute_b32 v5, v2, v205 offset:108
	s_waitcnt lgkmcnt(1)
	v_fmac_f32_e32 v165, v227, v228
	buffer_load_dword v228, off, s[36:39], 0 offset:264 ; 4-byte Folded Reload
	ds_bpermute_b32 v227, v2, v206 offset:12
	s_waitcnt vmcnt(0) lgkmcnt(0)
	v_sub_f32_e32 v227, v228, v227
	ds_bpermute_b32 v228, v2, v205 offset:12
	v_mul_f32_e32 v227, v6, v227
	ds_bpermute_b32 v6, v2, v206 offset:116
	s_waitcnt lgkmcnt(1)
	v_fmac_f32_e32 v165, v227, v228
	buffer_load_dword v228, off, s[36:39], 0 offset:260 ; 4-byte Folded Reload
	ds_bpermute_b32 v227, v2, v206 offset:16
	s_waitcnt lgkmcnt(1)
	v_sub_f32_e32 v6, v221, v6
	v_mul_f32_e32 v6, v32, v6
	s_waitcnt vmcnt(0) lgkmcnt(0)
	v_sub_f32_e32 v227, v228, v227
	ds_bpermute_b32 v228, v2, v205 offset:16
	v_mul_f32_e32 v227, v7, v227
	ds_bpermute_b32 v7, v2, v205 offset:116
	s_waitcnt lgkmcnt(1)
	v_fmac_f32_e32 v165, v227, v228
	buffer_load_dword v228, off, s[36:39], 0 offset:272 ; 4-byte Folded Reload
	ds_bpermute_b32 v227, v2, v206 offset:20
	s_waitcnt vmcnt(0) lgkmcnt(0)
	v_sub_f32_e32 v227, v228, v227
	ds_bpermute_b32 v228, v2, v205 offset:20
	v_mul_f32_e32 v227, v8, v227
	ds_bpermute_b32 v8, v2, v205 offset:120
	s_waitcnt lgkmcnt(1)
	v_fmac_f32_e32 v165, v227, v228
	buffer_load_dword v228, off, s[36:39], 0 offset:268 ; 4-byte Folded Reload
	ds_bpermute_b32 v227, v2, v206 offset:24
	;; [unrolled: 9-line block ×3, first 2 shown]
	s_waitcnt vmcnt(0) lgkmcnt(0)
	v_sub_f32_e32 v227, v228, v227
	ds_bpermute_b32 v228, v2, v205 offset:28
	v_mul_f32_e32 v227, v10, v227
	s_waitcnt lgkmcnt(0)
	v_fmac_f32_e32 v165, v227, v228
	buffer_load_dword v228, off, s[36:39], 0 offset:276 ; 4-byte Folded Reload
	ds_bpermute_b32 v227, v2, v206 offset:32
	s_waitcnt vmcnt(0) lgkmcnt(0)
	v_sub_f32_e32 v227, v228, v227
	ds_bpermute_b32 v228, v2, v205 offset:32
	v_mul_f32_e32 v227, v11, v227
	s_waitcnt lgkmcnt(0)
	v_fmac_f32_e32 v165, v227, v228
	buffer_load_dword v228, off, s[36:39], 0 offset:288 ; 4-byte Folded Reload
	ds_bpermute_b32 v227, v2, v206 offset:36
	s_waitcnt vmcnt(0) lgkmcnt(0)
	v_sub_f32_e32 v227, v228, v227
	ds_bpermute_b32 v228, v2, v205 offset:36
	v_mul_f32_e32 v227, v12, v227
	s_waitcnt lgkmcnt(0)
	v_fmac_f32_e32 v165, v227, v228
	buffer_load_dword v228, off, s[36:39], 0 offset:284 ; 4-byte Folded Reload
	ds_bpermute_b32 v227, v2, v206 offset:40
	s_waitcnt vmcnt(0) lgkmcnt(0)
	v_sub_f32_e32 v227, v228, v227
	ds_bpermute_b32 v228, v2, v205 offset:40
	v_mul_f32_e32 v227, v13, v227
	s_waitcnt lgkmcnt(0)
	v_fmac_f32_e32 v165, v227, v228
	buffer_load_dword v228, off, s[36:39], 0 offset:296 ; 4-byte Folded Reload
	ds_bpermute_b32 v227, v2, v206 offset:44
	s_waitcnt vmcnt(0) lgkmcnt(0)
	v_sub_f32_e32 v227, v228, v227
	ds_bpermute_b32 v228, v2, v205 offset:44
	v_mul_f32_e32 v227, v14, v227
	s_waitcnt lgkmcnt(0)
	v_fmac_f32_e32 v165, v227, v228
	buffer_load_dword v228, off, s[36:39], 0 offset:292 ; 4-byte Folded Reload
	ds_bpermute_b32 v227, v2, v206 offset:48
	s_waitcnt vmcnt(0) lgkmcnt(0)
	v_sub_f32_e32 v227, v228, v227
	ds_bpermute_b32 v228, v2, v205 offset:48
	v_mul_f32_e32 v227, v15, v227
	s_waitcnt lgkmcnt(0)
	v_fmac_f32_e32 v165, v227, v228
	ds_bpermute_b32 v227, v2, v206 offset:52
	buffer_load_dword v228, off, s[36:39], 0 offset:308 ; 4-byte Folded Reload
	s_waitcnt lgkmcnt(0)
	v_sub_f32_e32 v209, v209, v227
	ds_bpermute_b32 v227, v2, v205 offset:52
	v_mul_f32_e32 v209, v16, v209
	s_waitcnt lgkmcnt(0)
	v_fmac_f32_e32 v165, v209, v227
	ds_bpermute_b32 v209, v2, v206 offset:56
	s_waitcnt lgkmcnt(0)
	v_sub_f32_e32 v208, v208, v209
	ds_bpermute_b32 v209, v2, v205 offset:56
	v_mul_f32_e32 v208, v17, v208
	s_waitcnt lgkmcnt(0)
	v_fmac_f32_e32 v165, v208, v209
	ds_bpermute_b32 v208, v2, v206 offset:60
	ds_bpermute_b32 v209, v2, v205 offset:60
	s_waitcnt lgkmcnt(1)
	v_sub_f32_e32 v208, v211, v208
	v_mul_f32_e32 v208, v18, v208
	s_waitcnt lgkmcnt(0)
	v_fmac_f32_e32 v165, v208, v209
	ds_bpermute_b32 v208, v2, v206 offset:64
	ds_bpermute_b32 v209, v2, v205 offset:64
	s_waitcnt lgkmcnt(1)
	v_sub_f32_e32 v208, v210, v208
	;; [unrolled: 7-line block ×4, first 2 shown]
	v_mul_f32_e32 v208, v21, v208
	s_waitcnt lgkmcnt(0)
	v_fmac_f32_e32 v165, v208, v209
	ds_bpermute_b32 v208, v2, v206 offset:76
	s_waitcnt lgkmcnt(0)
	v_sub_f32_e32 v207, v207, v208
	ds_bpermute_b32 v208, v2, v205 offset:76
	v_mul_f32_e32 v207, v22, v207
	s_waitcnt lgkmcnt(0)
	v_fmac_f32_e32 v165, v207, v208
	ds_bpermute_b32 v207, v2, v206 offset:80
	ds_bpermute_b32 v208, v2, v205 offset:80
	s_waitcnt lgkmcnt(1)
	v_sub_f32_e32 v207, v214, v207
	v_mul_f32_e32 v207, v23, v207
	s_waitcnt lgkmcnt(0)
	v_fmac_f32_e32 v165, v207, v208
	ds_bpermute_b32 v207, v2, v206 offset:84
	ds_bpermute_b32 v208, v2, v205 offset:84
	s_waitcnt lgkmcnt(1)
	v_sub_f32_e32 v207, v218, v207
	;; [unrolled: 7-line block ×7, first 2 shown]
	v_mul_f32_e32 v207, v29, v207
	s_waitcnt lgkmcnt(0)
	v_fmac_f32_e32 v165, v207, v208
	v_fmac_f32_e32 v165, v4, v5
	ds_bpermute_b32 v4, v2, v206 offset:112
	ds_bpermute_b32 v5, v2, v205 offset:112
	s_waitcnt lgkmcnt(1)
	v_sub_f32_e32 v4, v215, v4
	v_mul_f32_e32 v4, v31, v4
	s_waitcnt lgkmcnt(0)
	v_fmac_f32_e32 v165, v4, v5
	ds_bpermute_b32 v4, v2, v206 offset:120
	ds_bpermute_b32 v5, v2, v206 offset:124
	v_fmac_f32_e32 v165, v6, v7
	s_waitcnt lgkmcnt(1)
	v_sub_f32_e32 v4, v220, v4
	s_waitcnt lgkmcnt(0)
	v_sub_f32_e32 v5, v226, v5
	v_mul_f32_e32 v4, v33, v4
	v_mul_f32_e32 v5, v34, v5
	v_fmac_f32_e32 v165, v4, v8
	v_mul_f32_e32 v4, v5, v9
.LBB51_215:                             ;   in Loop: Header=BB51_147 Depth=1
	s_and_b32 vcc_lo, exec_lo, s7
	s_cbranch_vccz .LBB51_146
; %bb.216:                              ;   in Loop: Header=BB51_147 Depth=1
	s_load_dword s7, s[2:3], 0x0
	v_mov_b32_e32 v6, 0
	s_waitcnt lgkmcnt(0)
	s_cmp_lt_u32 s6, s7
	s_cselect_b32 s7, 12, 18
	s_add_u32 s24, s2, s7
	s_addc_u32 s25, s3, 0
	s_mov_b32 s7, exec_lo
	global_load_ushort v3, v2, s[24:25]
	s_clause 0x1
	buffer_load_dword v4, off, s[36:39], 0 offset:300
	buffer_load_dword v5, off, s[36:39], 0 offset:304
	s_waitcnt vmcnt(0)
	v_mov_b32_e32 v5, 0
	v_mad_u32_u24 v3, v4, v3, v228
	v_and_b32_e32 v3, 31, v3
	v_add_co_u32 v3, vcc_lo, v161, v3
	v_add_co_ci_u32_e64 v4, null, 0, v162, vcc_lo
	v_cmpx_gt_i64_e64 s[8:9], v[3:4]
	s_cbranch_execz .LBB51_145
; %bb.217:                              ;   in Loop: Header=BB51_147 Depth=1
	v_lshlrev_b64 v[3:4], 2, v[3:4]
	v_add_co_u32 v5, vcc_lo, s16, v3
	v_add_co_ci_u32_e64 v6, null, s17, v4, vcc_lo
	v_add_co_u32 v3, vcc_lo, s18, v3
	v_add_co_ci_u32_e64 v4, null, s19, v4, vcc_lo
	global_load_dword v6, v[5:6], off
	global_load_dword v5, v[3:4], off
	s_branch .LBB51_145
.LBB51_218:
	s_clause 0x1
	buffer_load_dword v1, off, s[36:39], 0 offset:300
	buffer_load_dword v2, off, s[36:39], 0 offset:304
.LBB51_219:
	s_mov_b32 s7, 0
	s_mov_b32 s1, exec_lo
	s_lshl_b64 s[2:3], s[6:7], 6
	v_or_b32_e32 v4, s2, v228
	v_mov_b32_e32 v5, s3
	v_cmpx_gt_i64_e64 s[10:11], v[4:5]
	s_cbranch_execz .LBB51_224
; %bb.220:
	s_clause 0x1
	s_load_dword s1, s[4:5], 0x4c
	s_load_dwordx4 s[4:7], s[4:5], 0x30
	s_waitcnt vmcnt(0)
	v_mov_b32_e32 v2, 0
	s_waitcnt lgkmcnt(0)
	s_lshr_b32 s1, s1, 16
	s_cmp_eq_u64 s[4:5], 0
	v_mad_u64_u32 v[2:3], null, s1, s0, v[1:2]
	v_lshlrev_b64 v[0:1], 2, v[4:5]
	v_mul_lo_u32 v3, v3, s10
	v_mul_lo_u32 v6, v2, s11
	s_cbranch_scc1 .LBB51_222
; %bb.221:
	v_mad_u64_u32 v[4:5], null, v2, s10, 0
	v_add3_u32 v5, v5, v6, v3
	v_lshlrev_b64 v[4:5], 2, v[4:5]
	v_add_co_u32 v4, vcc_lo, s4, v4
	v_add_co_ci_u32_e64 v5, null, s5, v5, vcc_lo
	v_add_co_u32 v4, vcc_lo, v4, v0
	v_add_co_ci_u32_e64 v5, null, v5, v1, vcc_lo
	global_store_dword v[4:5], v168, off
.LBB51_222:
	s_cmp_eq_u64 s[6:7], 0
	s_cbranch_scc1 .LBB51_224
; %bb.223:
	v_mad_u64_u32 v[4:5], null, v2, s10, 0
	v_add3_u32 v5, v5, v6, v3
	v_lshlrev_b64 v[2:3], 2, v[4:5]
	v_add_co_u32 v2, vcc_lo, s6, v2
	v_add_co_ci_u32_e64 v3, null, s7, v3, vcc_lo
	v_add_co_u32 v0, vcc_lo, v2, v0
	v_add_co_ci_u32_e64 v1, null, v3, v1, vcc_lo
	global_store_dword v[0:1], v230, off
.LBB51_224:
	s_endpgm
	.section	.rodata,"a",@progbits
	.p2align	6, 0x0
	.amdhsa_kernel _ZN2at6native12_GLOBAL__N_135GammaBetaBackwardCUDAKernelTemplateIffLj64ELj1ELj32ELb1ELb0ELb0EEEvllPKT_S5_PKT0_S8_PS3_S9_
		.amdhsa_group_segment_fixed_size 0
		.amdhsa_private_segment_fixed_size 316
		.amdhsa_kernarg_size 320
		.amdhsa_user_sgpr_count 6
		.amdhsa_user_sgpr_private_segment_buffer 1
		.amdhsa_user_sgpr_dispatch_ptr 0
		.amdhsa_user_sgpr_queue_ptr 0
		.amdhsa_user_sgpr_kernarg_segment_ptr 1
		.amdhsa_user_sgpr_dispatch_id 0
		.amdhsa_user_sgpr_flat_scratch_init 0
		.amdhsa_user_sgpr_private_segment_size 0
		.amdhsa_wavefront_size32 1
		.amdhsa_uses_dynamic_stack 0
		.amdhsa_system_sgpr_private_segment_wavefront_offset 1
		.amdhsa_system_sgpr_workgroup_id_x 1
		.amdhsa_system_sgpr_workgroup_id_y 1
		.amdhsa_system_sgpr_workgroup_id_z 0
		.amdhsa_system_sgpr_workgroup_info 0
		.amdhsa_system_vgpr_workitem_id 1
		.amdhsa_next_free_vgpr 256
		.amdhsa_next_free_sgpr 40
		.amdhsa_reserve_vcc 1
		.amdhsa_reserve_flat_scratch 0
		.amdhsa_float_round_mode_32 0
		.amdhsa_float_round_mode_16_64 0
		.amdhsa_float_denorm_mode_32 3
		.amdhsa_float_denorm_mode_16_64 3
		.amdhsa_dx10_clamp 1
		.amdhsa_ieee_mode 1
		.amdhsa_fp16_overflow 0
		.amdhsa_workgroup_processor_mode 1
		.amdhsa_memory_ordered 1
		.amdhsa_forward_progress 1
		.amdhsa_shared_vgpr_count 0
		.amdhsa_exception_fp_ieee_invalid_op 0
		.amdhsa_exception_fp_denorm_src 0
		.amdhsa_exception_fp_ieee_div_zero 0
		.amdhsa_exception_fp_ieee_overflow 0
		.amdhsa_exception_fp_ieee_underflow 0
		.amdhsa_exception_fp_ieee_inexact 0
		.amdhsa_exception_int_div_zero 0
	.end_amdhsa_kernel
	.section	.text._ZN2at6native12_GLOBAL__N_135GammaBetaBackwardCUDAKernelTemplateIffLj64ELj1ELj32ELb1ELb0ELb0EEEvllPKT_S5_PKT0_S8_PS3_S9_,"axG",@progbits,_ZN2at6native12_GLOBAL__N_135GammaBetaBackwardCUDAKernelTemplateIffLj64ELj1ELj32ELb1ELb0ELb0EEEvllPKT_S5_PKT0_S8_PS3_S9_,comdat
.Lfunc_end51:
	.size	_ZN2at6native12_GLOBAL__N_135GammaBetaBackwardCUDAKernelTemplateIffLj64ELj1ELj32ELb1ELb0ELb0EEEvllPKT_S5_PKT0_S8_PS3_S9_, .Lfunc_end51-_ZN2at6native12_GLOBAL__N_135GammaBetaBackwardCUDAKernelTemplateIffLj64ELj1ELj32ELb1ELb0ELb0EEEvllPKT_S5_PKT0_S8_PS3_S9_
                                        ; -- End function
	.set _ZN2at6native12_GLOBAL__N_135GammaBetaBackwardCUDAKernelTemplateIffLj64ELj1ELj32ELb1ELb0ELb0EEEvllPKT_S5_PKT0_S8_PS3_S9_.num_vgpr, 256
	.set _ZN2at6native12_GLOBAL__N_135GammaBetaBackwardCUDAKernelTemplateIffLj64ELj1ELj32ELb1ELb0ELb0EEEvllPKT_S5_PKT0_S8_PS3_S9_.num_agpr, 0
	.set _ZN2at6native12_GLOBAL__N_135GammaBetaBackwardCUDAKernelTemplateIffLj64ELj1ELj32ELb1ELb0ELb0EEEvllPKT_S5_PKT0_S8_PS3_S9_.numbered_sgpr, 40
	.set _ZN2at6native12_GLOBAL__N_135GammaBetaBackwardCUDAKernelTemplateIffLj64ELj1ELj32ELb1ELb0ELb0EEEvllPKT_S5_PKT0_S8_PS3_S9_.num_named_barrier, 0
	.set _ZN2at6native12_GLOBAL__N_135GammaBetaBackwardCUDAKernelTemplateIffLj64ELj1ELj32ELb1ELb0ELb0EEEvllPKT_S5_PKT0_S8_PS3_S9_.private_seg_size, 316
	.set _ZN2at6native12_GLOBAL__N_135GammaBetaBackwardCUDAKernelTemplateIffLj64ELj1ELj32ELb1ELb0ELb0EEEvllPKT_S5_PKT0_S8_PS3_S9_.uses_vcc, 1
	.set _ZN2at6native12_GLOBAL__N_135GammaBetaBackwardCUDAKernelTemplateIffLj64ELj1ELj32ELb1ELb0ELb0EEEvllPKT_S5_PKT0_S8_PS3_S9_.uses_flat_scratch, 0
	.set _ZN2at6native12_GLOBAL__N_135GammaBetaBackwardCUDAKernelTemplateIffLj64ELj1ELj32ELb1ELb0ELb0EEEvllPKT_S5_PKT0_S8_PS3_S9_.has_dyn_sized_stack, 0
	.set _ZN2at6native12_GLOBAL__N_135GammaBetaBackwardCUDAKernelTemplateIffLj64ELj1ELj32ELb1ELb0ELb0EEEvllPKT_S5_PKT0_S8_PS3_S9_.has_recursion, 0
	.set _ZN2at6native12_GLOBAL__N_135GammaBetaBackwardCUDAKernelTemplateIffLj64ELj1ELj32ELb1ELb0ELb0EEEvllPKT_S5_PKT0_S8_PS3_S9_.has_indirect_call, 0
	.section	.AMDGPU.csdata,"",@progbits
; Kernel info:
; codeLenInByte = 30360
; TotalNumSgprs: 42
; NumVgprs: 256
; ScratchSize: 316
; MemoryBound: 0
; FloatMode: 240
; IeeeMode: 1
; LDSByteSize: 0 bytes/workgroup (compile time only)
; SGPRBlocks: 0
; VGPRBlocks: 31
; NumSGPRsForWavesPerEU: 42
; NumVGPRsForWavesPerEU: 256
; Occupancy: 4
; WaveLimiterHint : 0
; COMPUTE_PGM_RSRC2:SCRATCH_EN: 1
; COMPUTE_PGM_RSRC2:USER_SGPR: 6
; COMPUTE_PGM_RSRC2:TRAP_HANDLER: 0
; COMPUTE_PGM_RSRC2:TGID_X_EN: 1
; COMPUTE_PGM_RSRC2:TGID_Y_EN: 1
; COMPUTE_PGM_RSRC2:TGID_Z_EN: 0
; COMPUTE_PGM_RSRC2:TIDIG_COMP_CNT: 1
	.section	.text._ZN2at6native12_GLOBAL__N_135GammaBetaBackwardCUDAKernelTemplateIffLj64ELj1ELj8ELb1ELb1ELb0EEEvllPKT_S5_PKT0_S8_PS3_S9_,"axG",@progbits,_ZN2at6native12_GLOBAL__N_135GammaBetaBackwardCUDAKernelTemplateIffLj64ELj1ELj8ELb1ELb1ELb0EEEvllPKT_S5_PKT0_S8_PS3_S9_,comdat
	.globl	_ZN2at6native12_GLOBAL__N_135GammaBetaBackwardCUDAKernelTemplateIffLj64ELj1ELj8ELb1ELb1ELb0EEEvllPKT_S5_PKT0_S8_PS3_S9_ ; -- Begin function _ZN2at6native12_GLOBAL__N_135GammaBetaBackwardCUDAKernelTemplateIffLj64ELj1ELj8ELb1ELb1ELb0EEEvllPKT_S5_PKT0_S8_PS3_S9_
	.p2align	8
	.type	_ZN2at6native12_GLOBAL__N_135GammaBetaBackwardCUDAKernelTemplateIffLj64ELj1ELj8ELb1ELb1ELb0EEEvllPKT_S5_PKT0_S8_PS3_S9_,@function
_ZN2at6native12_GLOBAL__N_135GammaBetaBackwardCUDAKernelTemplateIffLj64ELj1ELj8ELb1ELb1ELb0EEEvllPKT_S5_PKT0_S8_PS3_S9_: ; @_ZN2at6native12_GLOBAL__N_135GammaBetaBackwardCUDAKernelTemplateIffLj64ELj1ELj8ELb1ELb1ELb0EEEvllPKT_S5_PKT0_S8_PS3_S9_
; %bb.0:
	s_load_dwordx4 s[16:19], s[4:5], 0x0
	s_lshl_b32 s2, s7, 3
	s_mov_b32 s3, 0
	s_waitcnt lgkmcnt(0)
	v_cmp_gt_i64_e64 s0, s[16:17], s[2:3]
	s_and_b32 vcc_lo, exec_lo, s0
	s_cbranch_vccnz .LBB52_2
; %bb.1:
	s_add_u32 s24, s4, 64
	s_addc_u32 s25, s5, 0
	s_mov_b32 s0, s3
	s_branch .LBB52_3
.LBB52_2:
	s_mov_b32 s0, -1
                                        ; implicit-def: $sgpr24_sgpr25
.LBB52_3:
	s_load_dwordx4 s[20:23], s[4:5], 0x30
	v_mov_b32_e32 v17, 0
	v_mov_b32_e32 v9, 0
	s_andn2_b32 vcc_lo, exec_lo, s0
	s_cbranch_vccnz .LBB52_10
; %bb.4:
	s_clause 0x2
	s_load_dword s0, s[4:5], 0x4c
	s_load_dword s1, s[4:5], 0x44
	s_load_dwordx8 s[8:15], s[4:5], 0x10
	v_lshlrev_b32_e32 v2, 3, v1
	s_add_u32 s24, s4, 64
	s_addc_u32 s25, s5, 0
	v_mov_b32_e32 v3, 0
	v_mov_b32_e32 v8, 8
	v_add_co_u32 v4, s4, v2, s2
	v_add_co_ci_u32_e64 v5, null, 0, 0, s4
	v_lshl_or_b32 v2, s6, 6, v0
	v_mul_lo_u32 v9, s19, v4
	v_mad_u64_u32 v[6:7], null, s18, v4, 0
	v_mul_lo_u32 v18, s18, v5
	v_lshlrev_b64 v[16:17], 2, v[2:3]
	v_mov_b32_e32 v10, 4
	v_mov_b32_e32 v11, 12
	s_waitcnt lgkmcnt(0)
	s_and_b32 s0, s0, 0xffff
	s_lshl_b32 s26, s1, 3
	v_mad_u32_u24 v15, v1, s0, v0
	s_mul_i32 s1, s19, s26
	v_add3_u32 v7, v7, v18, v9
	s_mul_hi_u32 s4, s18, s26
	v_mov_b32_e32 v12, 16
	v_and_b32_e32 v20, 31, v15
	v_mov_b32_e32 v13, 20
	v_lshlrev_b64 v[18:19], 2, v[6:7]
	v_mov_b32_e32 v14, 24
	v_mov_b32_e32 v15, 28
	v_add_co_u32 v4, vcc_lo, v4, v20
	v_add_co_ci_u32_e64 v5, null, 0, v5, vcc_lo
	v_add_co_u32 v2, vcc_lo, v18, v16
	v_cmp_gt_u32_e64 s0, 8, v20
	v_lshlrev_b64 v[6:7], 2, v[4:5]
	v_add_co_ci_u32_e64 v16, null, v19, v17, vcc_lo
	v_mov_b32_e32 v9, 0
	v_mov_b32_e32 v17, 0
	s_mov_b32 s27, 0
	s_add_i32 s29, s4, s1
	s_mul_i32 s28, s18, s26
	s_lshl_b64 s[4:5], s[26:27], 2
	s_lshl_b64 s[28:29], s[28:29], 2
	;; [unrolled: 1-line block ×3, first 2 shown]
	s_branch .LBB52_7
.LBB52_5:                               ;   in Loop: Header=BB52_7 Depth=1
	s_or_b32 exec_lo, exec_lo, s27
.LBB52_6:                               ;   in Loop: Header=BB52_7 Depth=1
	s_or_b32 exec_lo, exec_lo, s1
	v_add_co_u32 v20, vcc_lo, s8, v2
	v_add_co_ci_u32_e64 v21, null, s9, v16, vcc_lo
	v_add_co_u32 v22, vcc_lo, s10, v2
	v_add_co_ci_u32_e64 v23, null, s11, v16, vcc_lo
	global_load_dword v30, v[20:21], off
	v_add_co_u32 v20, vcc_lo, v20, s30
	v_add_co_ci_u32_e64 v21, null, s31, v21, vcc_lo
	v_add_co_u32 v24, vcc_lo, v22, s30
	v_add_co_ci_u32_e64 v25, null, s31, v23, vcc_lo
	;; [unrolled: 2-line block ×4, first 2 shown]
	global_load_dword v31, v[22:23], off
	global_load_dword v32, v[20:21], off
	;; [unrolled: 1-line block ×5, first 2 shown]
	v_add_co_u32 v20, vcc_lo, v28, s30
	v_add_co_ci_u32_e64 v21, null, s31, v29, vcc_lo
	v_add_co_u32 v22, vcc_lo, v26, s30
	v_add_co_ci_u32_e64 v23, null, s31, v27, vcc_lo
	global_load_dword v36, v[20:21], off
	v_add_co_u32 v24, vcc_lo, v22, s30
	v_add_co_ci_u32_e64 v25, null, s31, v23, vcc_lo
	v_add_co_u32 v20, vcc_lo, v20, s30
	v_add_co_ci_u32_e64 v21, null, s31, v21, vcc_lo
	v_add_co_u32 v26, vcc_lo, v24, s30
	v_add_co_ci_u32_e64 v27, null, s31, v25, vcc_lo
	v_add_co_u32 v28, vcc_lo, v20, s30
	v_add_co_ci_u32_e64 v29, null, s31, v21, vcc_lo
	s_clause 0x1
	global_load_dword v37, v[22:23], off
	global_load_dword v24, v[24:25], off
	;; [unrolled: 1-line block ×5, first 2 shown]
	v_add_co_u32 v20, vcc_lo, v28, s30
	v_add_co_ci_u32_e64 v21, null, s31, v29, vcc_lo
	v_add_co_u32 v22, vcc_lo, v26, s30
	v_add_co_ci_u32_e64 v23, null, s31, v27, vcc_lo
	global_load_dword v26, v[20:21], off
	v_add_co_u32 v20, vcc_lo, v20, s30
	v_add_co_ci_u32_e64 v21, null, s31, v21, vcc_lo
	global_load_dword v27, v[22:23], off
	global_load_dword v28, v[20:21], off
	v_add_co_u32 v20, vcc_lo, v22, s30
	v_add_co_ci_u32_e64 v21, null, s31, v23, vcc_lo
	s_waitcnt vmcnt(16)
	ds_bpermute_b32 v22, v10, v19
	s_waitcnt vmcnt(15)
	ds_bpermute_b32 v23, v3, v18
	ds_bpermute_b32 v29, v8, v19
	global_load_dword v20, v[20:21], off
	ds_bpermute_b32 v21, v3, v19
	ds_bpermute_b32 v40, v10, v18
	;; [unrolled: 1-line block ×5, first 2 shown]
	s_add_u32 s2, s2, s26
	v_add_co_u32 v6, vcc_lo, v6, s4
	s_addc_u32 s3, s3, 0
	v_add_co_ci_u32_e64 v7, null, s5, v7, vcc_lo
	v_add_co_u32 v4, vcc_lo, v4, s26
	v_cmp_lt_i64_e64 s1, s[2:3], s[16:17]
	v_add_co_ci_u32_e64 v5, null, 0, v5, vcc_lo
	v_add_co_u32 v2, vcc_lo, v2, s28
	v_add_co_ci_u32_e64 v16, null, s29, v16, vcc_lo
	s_and_b32 vcc_lo, exec_lo, s1
	s_waitcnt vmcnt(15)
	v_add_f32_e32 v17, v17, v30
	s_waitcnt vmcnt(14) lgkmcnt(4)
	v_sub_f32_e32 v21, v31, v21
	ds_bpermute_b32 v31, v8, v18
	s_waitcnt vmcnt(12)
	v_sub_f32_e32 v22, v33, v22
	ds_bpermute_b32 v33, v11, v18
	v_add_f32_e32 v17, v17, v32
	v_mul_f32_e32 v21, v30, v21
	ds_bpermute_b32 v30, v13, v18
	s_waitcnt vmcnt(11)
	v_add_f32_e32 v17, v17, v34
	v_fmac_f32_e32 v9, v21, v23
	v_mul_f32_e32 v21, v32, v22
	s_waitcnt vmcnt(10)
	v_sub_f32_e32 v22, v35, v29
	ds_bpermute_b32 v23, v12, v18
	ds_bpermute_b32 v29, v14, v19
	;; [unrolled: 1-line block ×3, first 2 shown]
	s_waitcnt lgkmcnt(9)
	v_fmac_f32_e32 v9, v21, v40
	v_mul_f32_e32 v21, v34, v22
	s_waitcnt vmcnt(9) lgkmcnt(8)
	v_sub_f32_e32 v22, v36, v41
	s_waitcnt lgkmcnt(5)
	v_fmac_f32_e32 v9, v21, v31
	s_waitcnt vmcnt(8)
	v_mul_f32_e32 v21, v37, v22
	v_add_f32_e32 v17, v17, v37
	s_waitcnt vmcnt(6)
	v_sub_f32_e32 v22, v25, v42
	ds_bpermute_b32 v25, v14, v18
	ds_bpermute_b32 v18, v15, v18
	s_waitcnt lgkmcnt(6)
	v_fmac_f32_e32 v9, v21, v33
	v_add_f32_e32 v17, v17, v24
	v_mul_f32_e32 v21, v24, v22
	s_waitcnt vmcnt(4)
	v_sub_f32_e32 v22, v39, v43
	v_add_f32_e32 v17, v17, v38
	s_waitcnt lgkmcnt(4)
	v_fmac_f32_e32 v9, v21, v23
	v_mul_f32_e32 v21, v38, v22
	s_waitcnt vmcnt(3) lgkmcnt(3)
	v_sub_f32_e32 v22, v26, v29
	v_fmac_f32_e32 v9, v21, v30
	s_waitcnt vmcnt(2)
	v_mul_f32_e32 v21, v27, v22
	s_waitcnt vmcnt(1) lgkmcnt(2)
	v_sub_f32_e32 v19, v28, v19
	v_add_f32_e32 v17, v17, v27
	s_waitcnt lgkmcnt(1)
	v_fmac_f32_e32 v9, v21, v25
	s_waitcnt vmcnt(0)
	v_mul_f32_e32 v19, v20, v19
	v_add_f32_e32 v17, v17, v20
	s_waitcnt lgkmcnt(0)
	v_fmac_f32_e32 v9, v19, v18
	s_cbranch_vccz .LBB52_10
.LBB52_7:                               ; =>This Inner Loop Header: Depth=1
	v_mov_b32_e32 v18, 0
	v_mov_b32_e32 v19, 0
	s_and_saveexec_b32 s1, s0
	s_cbranch_execz .LBB52_6
; %bb.8:                                ;   in Loop: Header=BB52_7 Depth=1
	v_mov_b32_e32 v19, 0
	v_mov_b32_e32 v18, 0
	s_mov_b32 s27, exec_lo
	v_cmpx_gt_i64_e64 s[16:17], v[4:5]
	s_cbranch_execz .LBB52_5
; %bb.9:                                ;   in Loop: Header=BB52_7 Depth=1
	v_add_co_u32 v18, vcc_lo, s12, v6
	v_add_co_ci_u32_e64 v19, null, s13, v7, vcc_lo
	v_add_co_u32 v20, vcc_lo, s14, v6
	v_add_co_ci_u32_e64 v21, null, s15, v7, vcc_lo
	global_load_dword v19, v[18:19], off
	global_load_dword v18, v[20:21], off
	s_branch .LBB52_5
.LBB52_10:
	s_load_dword s0, s[24:25], 0xc
	v_mov_b32_e32 v2, 0
	s_waitcnt lgkmcnt(0)
	s_lshr_b32 s0, s0, 16
	v_mad_u64_u32 v[1:2], null, s0, s7, v[1:2]
	s_mov_b32 s7, 0
	s_lshl_b64 s[0:1], s[6:7], 6
	s_cmp_eq_u64 s[20:21], 0
	v_or_b32_e32 v5, s0, v0
	v_mov_b32_e32 v6, s1
	v_mul_lo_u32 v0, v2, s18
	v_mul_lo_u32 v4, v1, s19
	v_lshlrev_b64 v[2:3], 2, v[5:6]
	s_cbranch_scc1 .LBB52_12
; %bb.11:
	v_mad_u64_u32 v[5:6], null, v1, s18, 0
	v_add3_u32 v6, v6, v4, v0
	v_lshlrev_b64 v[5:6], 2, v[5:6]
	v_add_co_u32 v5, vcc_lo, s20, v5
	v_add_co_ci_u32_e64 v6, null, s21, v6, vcc_lo
	v_add_co_u32 v5, vcc_lo, v5, v2
	v_add_co_ci_u32_e64 v6, null, v6, v3, vcc_lo
	global_store_dword v[5:6], v9, off
.LBB52_12:
	s_cmp_eq_u64 s[22:23], 0
	s_cbranch_scc1 .LBB52_14
; %bb.13:
	v_mad_u64_u32 v[5:6], null, v1, s18, 0
	v_add3_u32 v6, v6, v4, v0
	v_lshlrev_b64 v[0:1], 2, v[5:6]
	v_add_co_u32 v0, vcc_lo, s22, v0
	v_add_co_ci_u32_e64 v1, null, s23, v1, vcc_lo
	v_add_co_u32 v0, vcc_lo, v0, v2
	v_add_co_ci_u32_e64 v1, null, v1, v3, vcc_lo
	global_store_dword v[0:1], v17, off
.LBB52_14:
	s_endpgm
	.section	.rodata,"a",@progbits
	.p2align	6, 0x0
	.amdhsa_kernel _ZN2at6native12_GLOBAL__N_135GammaBetaBackwardCUDAKernelTemplateIffLj64ELj1ELj8ELb1ELb1ELb0EEEvllPKT_S5_PKT0_S8_PS3_S9_
		.amdhsa_group_segment_fixed_size 0
		.amdhsa_private_segment_fixed_size 0
		.amdhsa_kernarg_size 320
		.amdhsa_user_sgpr_count 6
		.amdhsa_user_sgpr_private_segment_buffer 1
		.amdhsa_user_sgpr_dispatch_ptr 0
		.amdhsa_user_sgpr_queue_ptr 0
		.amdhsa_user_sgpr_kernarg_segment_ptr 1
		.amdhsa_user_sgpr_dispatch_id 0
		.amdhsa_user_sgpr_flat_scratch_init 0
		.amdhsa_user_sgpr_private_segment_size 0
		.amdhsa_wavefront_size32 1
		.amdhsa_uses_dynamic_stack 0
		.amdhsa_system_sgpr_private_segment_wavefront_offset 0
		.amdhsa_system_sgpr_workgroup_id_x 1
		.amdhsa_system_sgpr_workgroup_id_y 1
		.amdhsa_system_sgpr_workgroup_id_z 0
		.amdhsa_system_sgpr_workgroup_info 0
		.amdhsa_system_vgpr_workitem_id 1
		.amdhsa_next_free_vgpr 44
		.amdhsa_next_free_sgpr 32
		.amdhsa_reserve_vcc 1
		.amdhsa_reserve_flat_scratch 0
		.amdhsa_float_round_mode_32 0
		.amdhsa_float_round_mode_16_64 0
		.amdhsa_float_denorm_mode_32 3
		.amdhsa_float_denorm_mode_16_64 3
		.amdhsa_dx10_clamp 1
		.amdhsa_ieee_mode 1
		.amdhsa_fp16_overflow 0
		.amdhsa_workgroup_processor_mode 1
		.amdhsa_memory_ordered 1
		.amdhsa_forward_progress 1
		.amdhsa_shared_vgpr_count 0
		.amdhsa_exception_fp_ieee_invalid_op 0
		.amdhsa_exception_fp_denorm_src 0
		.amdhsa_exception_fp_ieee_div_zero 0
		.amdhsa_exception_fp_ieee_overflow 0
		.amdhsa_exception_fp_ieee_underflow 0
		.amdhsa_exception_fp_ieee_inexact 0
		.amdhsa_exception_int_div_zero 0
	.end_amdhsa_kernel
	.section	.text._ZN2at6native12_GLOBAL__N_135GammaBetaBackwardCUDAKernelTemplateIffLj64ELj1ELj8ELb1ELb1ELb0EEEvllPKT_S5_PKT0_S8_PS3_S9_,"axG",@progbits,_ZN2at6native12_GLOBAL__N_135GammaBetaBackwardCUDAKernelTemplateIffLj64ELj1ELj8ELb1ELb1ELb0EEEvllPKT_S5_PKT0_S8_PS3_S9_,comdat
.Lfunc_end52:
	.size	_ZN2at6native12_GLOBAL__N_135GammaBetaBackwardCUDAKernelTemplateIffLj64ELj1ELj8ELb1ELb1ELb0EEEvllPKT_S5_PKT0_S8_PS3_S9_, .Lfunc_end52-_ZN2at6native12_GLOBAL__N_135GammaBetaBackwardCUDAKernelTemplateIffLj64ELj1ELj8ELb1ELb1ELb0EEEvllPKT_S5_PKT0_S8_PS3_S9_
                                        ; -- End function
	.set _ZN2at6native12_GLOBAL__N_135GammaBetaBackwardCUDAKernelTemplateIffLj64ELj1ELj8ELb1ELb1ELb0EEEvllPKT_S5_PKT0_S8_PS3_S9_.num_vgpr, 44
	.set _ZN2at6native12_GLOBAL__N_135GammaBetaBackwardCUDAKernelTemplateIffLj64ELj1ELj8ELb1ELb1ELb0EEEvllPKT_S5_PKT0_S8_PS3_S9_.num_agpr, 0
	.set _ZN2at6native12_GLOBAL__N_135GammaBetaBackwardCUDAKernelTemplateIffLj64ELj1ELj8ELb1ELb1ELb0EEEvllPKT_S5_PKT0_S8_PS3_S9_.numbered_sgpr, 32
	.set _ZN2at6native12_GLOBAL__N_135GammaBetaBackwardCUDAKernelTemplateIffLj64ELj1ELj8ELb1ELb1ELb0EEEvllPKT_S5_PKT0_S8_PS3_S9_.num_named_barrier, 0
	.set _ZN2at6native12_GLOBAL__N_135GammaBetaBackwardCUDAKernelTemplateIffLj64ELj1ELj8ELb1ELb1ELb0EEEvllPKT_S5_PKT0_S8_PS3_S9_.private_seg_size, 0
	.set _ZN2at6native12_GLOBAL__N_135GammaBetaBackwardCUDAKernelTemplateIffLj64ELj1ELj8ELb1ELb1ELb0EEEvllPKT_S5_PKT0_S8_PS3_S9_.uses_vcc, 1
	.set _ZN2at6native12_GLOBAL__N_135GammaBetaBackwardCUDAKernelTemplateIffLj64ELj1ELj8ELb1ELb1ELb0EEEvllPKT_S5_PKT0_S8_PS3_S9_.uses_flat_scratch, 0
	.set _ZN2at6native12_GLOBAL__N_135GammaBetaBackwardCUDAKernelTemplateIffLj64ELj1ELj8ELb1ELb1ELb0EEEvllPKT_S5_PKT0_S8_PS3_S9_.has_dyn_sized_stack, 0
	.set _ZN2at6native12_GLOBAL__N_135GammaBetaBackwardCUDAKernelTemplateIffLj64ELj1ELj8ELb1ELb1ELb0EEEvllPKT_S5_PKT0_S8_PS3_S9_.has_recursion, 0
	.set _ZN2at6native12_GLOBAL__N_135GammaBetaBackwardCUDAKernelTemplateIffLj64ELj1ELj8ELb1ELb1ELb0EEEvllPKT_S5_PKT0_S8_PS3_S9_.has_indirect_call, 0
	.section	.AMDGPU.csdata,"",@progbits
; Kernel info:
; codeLenInByte = 1460
; TotalNumSgprs: 34
; NumVgprs: 44
; ScratchSize: 0
; MemoryBound: 0
; FloatMode: 240
; IeeeMode: 1
; LDSByteSize: 0 bytes/workgroup (compile time only)
; SGPRBlocks: 0
; VGPRBlocks: 5
; NumSGPRsForWavesPerEU: 34
; NumVGPRsForWavesPerEU: 44
; Occupancy: 16
; WaveLimiterHint : 0
; COMPUTE_PGM_RSRC2:SCRATCH_EN: 0
; COMPUTE_PGM_RSRC2:USER_SGPR: 6
; COMPUTE_PGM_RSRC2:TRAP_HANDLER: 0
; COMPUTE_PGM_RSRC2:TGID_X_EN: 1
; COMPUTE_PGM_RSRC2:TGID_Y_EN: 1
; COMPUTE_PGM_RSRC2:TGID_Z_EN: 0
; COMPUTE_PGM_RSRC2:TIDIG_COMP_CNT: 1
	.section	.text._ZN2at6native12_GLOBAL__N_135GammaBetaBackwardCUDAKernelTemplateIffLj64ELj1ELj8ELb1ELb0ELb0EEEvllPKT_S5_PKT0_S8_PS3_S9_,"axG",@progbits,_ZN2at6native12_GLOBAL__N_135GammaBetaBackwardCUDAKernelTemplateIffLj64ELj1ELj8ELb1ELb0ELb0EEEvllPKT_S5_PKT0_S8_PS3_S9_,comdat
	.globl	_ZN2at6native12_GLOBAL__N_135GammaBetaBackwardCUDAKernelTemplateIffLj64ELj1ELj8ELb1ELb0ELb0EEEvllPKT_S5_PKT0_S8_PS3_S9_ ; -- Begin function _ZN2at6native12_GLOBAL__N_135GammaBetaBackwardCUDAKernelTemplateIffLj64ELj1ELj8ELb1ELb0ELb0EEEvllPKT_S5_PKT0_S8_PS3_S9_
	.p2align	8
	.type	_ZN2at6native12_GLOBAL__N_135GammaBetaBackwardCUDAKernelTemplateIffLj64ELj1ELj8ELb1ELb0ELb0EEEvllPKT_S5_PKT0_S8_PS3_S9_,@function
_ZN2at6native12_GLOBAL__N_135GammaBetaBackwardCUDAKernelTemplateIffLj64ELj1ELj8ELb1ELb0ELb0EEEvllPKT_S5_PKT0_S8_PS3_S9_: ; @_ZN2at6native12_GLOBAL__N_135GammaBetaBackwardCUDAKernelTemplateIffLj64ELj1ELj8ELb1ELb0ELb0EEEvllPKT_S5_PKT0_S8_PS3_S9_
; %bb.0:
	s_clause 0x1
	s_load_dwordx8 s[12:19], s[4:5], 0x0
	s_load_dwordx4 s[20:23], s[4:5], 0x20
	s_mov_b32 s0, s7
	s_lshl_b32 s7, s6, 6
	s_mov_b32 s25, 0
	s_or_b32 s24, s7, 63
	s_waitcnt lgkmcnt(0)
	v_cmp_le_i64_e64 s1, s[14:15], s[24:25]
	s_lshl_b32 s24, s0, 3
	v_cmp_gt_i64_e64 s28, s[12:13], s[24:25]
	s_and_b32 vcc_lo, exec_lo, s1
	v_cndmask_b32_e64 v2, 0, 1, s28
	v_cmp_ne_u32_e64 s1, 1, v2
	s_cbranch_vccz .LBB53_49
; %bb.1:
	v_mov_b32_e32 v51, 0
	v_mov_b32_e32 v57, 0
	s_and_b32 vcc_lo, exec_lo, s1
	s_cbranch_vccnz .LBB53_50
; %bb.2:
	v_lshlrev_b32_e32 v23, 3, v1
	v_mov_b32_e32 v2, 0
	v_add_nc_u32_e32 v3, s7, v0
	s_load_dword s2, s[4:5], 0x44
	s_add_u32 s8, s4, 64
	v_add_co_u32 v11, s1, v23, s24
	v_add_co_ci_u32_e64 v12, null, 0, 0, s1
	v_mov_b32_e32 v4, v2
	v_mul_lo_u32 v7, s15, v11
	v_mad_u64_u32 v[5:6], null, s14, v11, 0
	v_mul_lo_u32 v8, s14, v12
	v_cmp_gt_i64_e64 s1, s[14:15], v[3:4]
	v_lshlrev_b64 v[19:20], 2, v[3:4]
	s_addc_u32 s9, s5, 0
	v_mov_b32_e32 v24, v2
	v_mov_b32_e32 v59, 0
	;; [unrolled: 1-line block ×3, first 2 shown]
	s_mov_b64 s[26:27], s[24:25]
	v_add3_u32 v6, v6, v8, v7
	v_add_co_u32 v7, vcc_lo, v11, 7
	v_add_co_ci_u32_e64 v8, null, 0, v12, vcc_lo
	v_add_co_u32 v9, vcc_lo, v11, 6
	v_add_co_ci_u32_e64 v10, null, 0, v12, vcc_lo
	v_lshlrev_b64 v[3:4], 2, v[5:6]
	v_mul_lo_u32 v13, s15, v7
	v_mul_lo_u32 v14, s14, v8
	v_mad_u64_u32 v[7:8], null, s14, v7, 0
	v_mul_lo_u32 v15, s15, v9
	v_mul_lo_u32 v16, s14, v10
	v_mad_u64_u32 v[9:10], null, s14, v9, 0
	v_add_co_u32 v25, vcc_lo, s16, v3
	v_add_co_ci_u32_e64 v26, null, s17, v4, vcc_lo
	v_add_co_u32 v27, vcc_lo, s18, v3
	v_add3_u32 v8, v8, v14, v13
	v_add_co_ci_u32_e64 v28, null, s19, v4, vcc_lo
	v_add_co_u32 v13, vcc_lo, v11, 5
	v_add3_u32 v10, v10, v16, v15
	v_add_co_ci_u32_e64 v14, null, 0, v12, vcc_lo
	v_lshlrev_b64 v[3:4], 2, v[7:8]
	v_mul_lo_u32 v15, s15, v13
	v_lshlrev_b64 v[7:8], 2, v[9:10]
	v_mul_lo_u32 v14, s14, v14
	v_mad_u64_u32 v[9:10], null, s14, v13, 0
	v_add_co_u32 v29, vcc_lo, s16, v3
	v_add_co_ci_u32_e64 v30, null, s17, v4, vcc_lo
	v_add_co_u32 v31, vcc_lo, s18, v3
	s_waitcnt lgkmcnt(0)
	s_lshl_b32 s29, s2, 3
	v_add_co_ci_u32_e64 v32, null, s19, v4, vcc_lo
	v_add_co_u32 v33, vcc_lo, s16, v7
	v_add3_u32 v10, v10, v14, v15
	s_mul_i32 s2, s15, s29
	s_mul_hi_u32 s3, s14, s29
	v_add_co_ci_u32_e64 v34, null, s17, v8, vcc_lo
	v_add_co_u32 v13, vcc_lo, v11, 4
	s_add_i32 s11, s3, s2
	v_add_co_u32 v35, s2, s18, v7
	v_add_co_ci_u32_e64 v7, null, 0, v12, vcc_lo
	v_lshlrev_b64 v[3:4], 2, v[9:10]
	v_add_co_u32 v9, vcc_lo, v11, 3
	v_add_co_ci_u32_e64 v10, null, 0, v12, vcc_lo
	v_add_co_ci_u32_e64 v36, null, s19, v8, s2
	v_mul_lo_u32 v14, s15, v13
	v_mul_lo_u32 v15, s14, v7
	v_mad_u64_u32 v[7:8], null, s14, v13, 0
	v_mul_lo_u32 v13, s15, v9
	v_mul_lo_u32 v16, s14, v10
	v_mad_u64_u32 v[9:10], null, s14, v9, 0
	v_add_co_u32 v37, vcc_lo, s16, v3
	v_add_co_ci_u32_e64 v38, null, s17, v4, vcc_lo
	v_add3_u32 v8, v8, v15, v14
	v_add_co_u32 v39, vcc_lo, s18, v3
	v_add_co_ci_u32_e64 v40, null, s19, v4, vcc_lo
	v_add_co_u32 v11, vcc_lo, v11, 2
	v_add3_u32 v10, v10, v16, v13
	v_add_co_ci_u32_e64 v12, null, 0, v12, vcc_lo
	v_lshlrev_b64 v[3:4], 2, v[7:8]
	v_mul_lo_u32 v13, s15, v11
	v_lshlrev_b64 v[7:8], 2, v[9:10]
	v_mul_lo_u32 v12, s14, v12
	v_mad_u64_u32 v[9:10], null, s14, v11, 0
	v_add_co_u32 v41, vcc_lo, s16, v3
	v_add_co_ci_u32_e64 v42, null, s17, v4, vcc_lo
	v_add_co_u32 v43, vcc_lo, s18, v3
	v_add_co_ci_u32_e64 v44, null, s19, v4, vcc_lo
	;; [unrolled: 2-line block ×3, first 2 shown]
	v_add3_u32 v10, v10, v12, v13
	v_add_co_u32 v47, vcc_lo, s18, v7
	v_add_co_ci_u32_e64 v48, null, s19, v8, vcc_lo
	v_add_co_u32 v5, vcc_lo, v5, s14
	v_add_co_ci_u32_e64 v6, null, s15, v6, vcc_lo
	v_lshlrev_b64 v[3:4], 2, v[9:10]
	s_mul_i32 s10, s14, s29
	v_lshlrev_b64 v[5:6], 2, v[5:6]
	s_lshl_b64 s[2:3], s[10:11], 2
	s_mov_b64 s[10:11], 7
	v_add_co_u32 v49, vcc_lo, s16, v3
	v_add_co_ci_u32_e64 v50, null, s17, v4, vcc_lo
	v_add_co_u32 v52, vcc_lo, s18, v3
	v_add_co_ci_u32_e64 v53, null, s19, v4, vcc_lo
	v_add_co_u32 v54, vcc_lo, s16, v5
	v_add_co_ci_u32_e64 v55, null, s17, v6, vcc_lo
	v_add_co_u32 v56, vcc_lo, s18, v5
	v_add_co_ci_u32_e64 v58, null, s19, v6, vcc_lo
.LBB53_3:                               ; =>This Inner Loop Header: Depth=1
	s_add_u32 s30, s24, s10
	s_addc_u32 s31, 0, s11
	v_add_co_u32 v21, vcc_lo, s24, v23
	v_cmp_ge_i64_e64 s30, s[30:31], s[12:13]
	v_add_co_ci_u32_e64 v22, null, 0, v24, vcc_lo
                                        ; implicit-def: $vgpr3_vgpr4_vgpr5_vgpr6_vgpr7_vgpr8_vgpr9_vgpr10
                                        ; implicit-def: $vgpr61
                                        ; implicit-def: $vgpr11_vgpr12_vgpr13_vgpr14_vgpr15_vgpr16_vgpr17_vgpr18
                                        ; implicit-def: $vgpr3
                                        ; implicit-def: $vgpr4
                                        ; implicit-def: $vgpr57
	s_and_b32 vcc_lo, exec_lo, s30
	s_mov_b32 s30, -1
	s_cbranch_vccz .LBB53_25
; %bb.4:                                ;   in Loop: Header=BB53_3 Depth=1
	s_load_dword s30, s[8:9], 0xc
	v_mov_b32_e32 v61, 0
	v_mov_b32_e32 v60, 0
	s_waitcnt lgkmcnt(0)
	s_and_b32 s30, s30, 0xffff
	v_mad_u32_u24 v3, v1, s30, v0
	s_mov_b32 s30, exec_lo
	v_and_b32_e32 v3, 31, v3
	v_cmpx_gt_u32_e32 8, v3
	s_cbranch_execz .LBB53_8
; %bb.5:                                ;   in Loop: Header=BB53_3 Depth=1
	v_add_co_u32 v3, vcc_lo, v21, v3
	v_add_co_ci_u32_e64 v4, null, 0, v22, vcc_lo
	v_mov_b32_e32 v60, 0
	v_mov_b32_e32 v61, 0
	s_mov_b32 s31, exec_lo
	v_cmpx_gt_i64_e64 s[12:13], v[3:4]
	s_cbranch_execz .LBB53_7
; %bb.6:                                ;   in Loop: Header=BB53_3 Depth=1
	v_lshlrev_b64 v[3:4], 2, v[3:4]
	v_add_co_u32 v5, vcc_lo, s20, v3
	v_add_co_ci_u32_e64 v6, null, s21, v4, vcc_lo
	v_add_co_u32 v3, vcc_lo, s22, v3
	v_add_co_ci_u32_e64 v4, null, s23, v4, vcc_lo
	global_load_dword v60, v[5:6], off
	global_load_dword v61, v[3:4], off
.LBB53_7:                               ;   in Loop: Header=BB53_3 Depth=1
	s_or_b32 exec_lo, exec_lo, s31
.LBB53_8:                               ;   in Loop: Header=BB53_3 Depth=1
	s_or_b32 exec_lo, exec_lo, s30
	v_mov_b32_e32 v9, v2
	v_mov_b32_e32 v3, v2
	;; [unrolled: 1-line block ×7, first 2 shown]
	v_cmp_gt_i64_e32 vcc_lo, s[12:13], v[21:22]
	v_mov_b32_e32 v18, v9
	v_mov_b32_e32 v15, v6
	;; [unrolled: 1-line block ×16, first 2 shown]
	s_and_b32 s31, s1, vcc_lo
	s_and_saveexec_b32 s30, s31
	s_cbranch_execz .LBB53_10
; %bb.9:                                ;   in Loop: Header=BB53_3 Depth=1
	v_add_co_u32 v3, vcc_lo, v25, v19
	v_add_co_ci_u32_e64 v4, null, v26, v20, vcc_lo
	v_add_co_u32 v5, vcc_lo, v27, v19
	v_add_co_ci_u32_e64 v6, null, v28, v20, vcc_lo
	global_load_dword v3, v[3:4], off
	global_load_dword v11, v[5:6], off
	v_mov_b32_e32 v4, v2
	v_mov_b32_e32 v5, v2
	;; [unrolled: 1-line block ×14, first 2 shown]
.LBB53_10:                              ;   in Loop: Header=BB53_3 Depth=1
	s_or_b32 exec_lo, exec_lo, s30
	v_add_co_u32 v62, vcc_lo, v21, 1
	v_add_co_ci_u32_e64 v63, null, 0, v22, vcc_lo
	v_cmp_gt_i64_e32 vcc_lo, s[12:13], v[62:63]
	s_and_b32 s31, s1, vcc_lo
	s_and_saveexec_b32 s30, s31
	s_cbranch_execz .LBB53_12
; %bb.11:                               ;   in Loop: Header=BB53_3 Depth=1
	v_add_co_u32 v62, vcc_lo, v54, v19
	v_add_co_ci_u32_e64 v63, null, v55, v20, vcc_lo
	v_add_co_u32 v64, vcc_lo, v56, v19
	v_add_co_ci_u32_e64 v65, null, v58, v20, vcc_lo
	global_load_dword v4, v[62:63], off
	global_load_dword v12, v[64:65], off
.LBB53_12:                              ;   in Loop: Header=BB53_3 Depth=1
	s_or_b32 exec_lo, exec_lo, s30
	v_add_co_u32 v62, vcc_lo, v21, 2
	v_add_co_ci_u32_e64 v63, null, 0, v22, vcc_lo
	v_cmp_gt_i64_e32 vcc_lo, s[12:13], v[62:63]
	s_and_b32 s31, s1, vcc_lo
	s_and_saveexec_b32 s30, s31
	s_cbranch_execz .LBB53_14
; %bb.13:                               ;   in Loop: Header=BB53_3 Depth=1
	v_add_co_u32 v62, vcc_lo, v49, v19
	v_add_co_ci_u32_e64 v63, null, v50, v20, vcc_lo
	v_add_co_u32 v64, vcc_lo, v52, v19
	v_add_co_ci_u32_e64 v65, null, v53, v20, vcc_lo
	global_load_dword v5, v[62:63], off
	global_load_dword v13, v[64:65], off
.LBB53_14:                              ;   in Loop: Header=BB53_3 Depth=1
	;; [unrolled: 15-line block ×7, first 2 shown]
	s_or_b32 exec_lo, exec_lo, s30
	s_waitcnt vmcnt(1)
	ds_bpermute_b32 v57, v2, v60
	ds_bpermute_b32 v62, v2, v60 offset:4
	ds_bpermute_b32 v63, v2, v60 offset:8
	s_waitcnt vmcnt(0)
	ds_bpermute_b32 v64, v2, v61
	ds_bpermute_b32 v65, v2, v60 offset:12
	ds_bpermute_b32 v66, v2, v61 offset:4
	;; [unrolled: 1-line block ×4, first 2 shown]
	v_add_f32_e32 v69, v51, v3
	ds_bpermute_b32 v70, v2, v61 offset:12
	ds_bpermute_b32 v71, v2, v60 offset:20
	s_mov_b32 s30, 0
	s_waitcnt lgkmcnt(9)
	v_sub_f32_e32 v11, v11, v57
	s_waitcnt lgkmcnt(8)
	v_sub_f32_e32 v12, v12, v62
	ds_bpermute_b32 v62, v2, v60 offset:24
	s_waitcnt lgkmcnt(8)
	v_sub_f32_e32 v13, v13, v63
	ds_bpermute_b32 v63, v2, v61 offset:20
	v_mul_f32_e32 v3, v3, v11
	ds_bpermute_b32 v11, v2, v61 offset:16
	v_mul_f32_e32 v12, v4, v12
	v_mul_f32_e32 v13, v5, v13
	v_add_f32_e32 v4, v4, v69
	s_waitcnt lgkmcnt(9)
	v_fma_f32 v57, v3, v64, v59
	s_waitcnt lgkmcnt(8)
	v_sub_f32_e32 v3, v14, v65
	ds_bpermute_b32 v64, v2, v61 offset:24
	ds_bpermute_b32 v61, v2, v61 offset:28
	v_add_f32_e32 v4, v5, v4
	s_waitcnt lgkmcnt(9)
	v_fmac_f32_e32 v57, v12, v66
	s_waitcnt lgkmcnt(8)
	v_sub_f32_e32 v12, v15, v67
	v_mul_f32_e32 v14, v6, v3
	ds_bpermute_b32 v3, v2, v60 offset:28
	s_waitcnt lgkmcnt(6)
	v_sub_f32_e32 v5, v16, v71
	v_fmac_f32_e32 v57, v13, v68
	v_mul_f32_e32 v12, v7, v12
	v_add_f32_e32 v4, v6, v4
	s_waitcnt lgkmcnt(5)
	v_sub_f32_e32 v6, v17, v62
	v_mul_f32_e32 v5, v8, v5
	v_fmac_f32_e32 v57, v14, v70
	v_add_f32_e32 v4, v7, v4
	v_mul_f32_e32 v6, v9, v6
	s_waitcnt lgkmcnt(3)
	v_fmac_f32_e32 v57, v12, v11
	v_add_f32_e32 v4, v8, v4
	v_fmac_f32_e32 v57, v5, v63
	v_add_f32_e32 v4, v9, v4
	s_waitcnt lgkmcnt(2)
	v_fmac_f32_e32 v57, v6, v64
.LBB53_25:                              ;   in Loop: Header=BB53_3 Depth=1
	s_and_b32 vcc_lo, exec_lo, s30
	s_cbranch_vccz .LBB53_40
; %bb.26:                               ;   in Loop: Header=BB53_3 Depth=1
	s_load_dword s30, s[8:9], 0x0
	v_mov_b32_e32 v60, 0
	v_mov_b32_e32 v57, 0
	s_waitcnt lgkmcnt(0)
	s_cmp_lt_u32 s6, s30
	s_cselect_b32 s30, 12, 18
	s_add_u32 s30, s8, s30
	s_addc_u32 s31, s9, 0
	global_load_ushort v3, v2, s[30:31]
	s_mov_b32 s30, exec_lo
	s_waitcnt vmcnt(0)
	v_mad_u32_u24 v3, v1, v3, v0
	v_and_b32_e32 v3, 31, v3
	v_cmpx_gt_u32_e32 8, v3
	s_cbranch_execz .LBB53_30
; %bb.27:                               ;   in Loop: Header=BB53_3 Depth=1
	v_add_co_u32 v3, vcc_lo, v21, v3
	v_add_co_ci_u32_e64 v4, null, 0, v22, vcc_lo
	v_mov_b32_e32 v57, 0
	v_mov_b32_e32 v60, 0
	s_mov_b32 s31, exec_lo
	v_cmpx_gt_i64_e64 s[12:13], v[3:4]
	s_cbranch_execz .LBB53_29
; %bb.28:                               ;   in Loop: Header=BB53_3 Depth=1
	v_lshlrev_b64 v[3:4], 2, v[3:4]
	v_add_co_u32 v5, vcc_lo, s20, v3
	v_add_co_ci_u32_e64 v6, null, s21, v4, vcc_lo
	v_add_co_u32 v3, vcc_lo, s22, v3
	v_add_co_ci_u32_e64 v4, null, s23, v4, vcc_lo
	global_load_dword v57, v[5:6], off
	global_load_dword v60, v[3:4], off
.LBB53_29:                              ;   in Loop: Header=BB53_3 Depth=1
	s_or_b32 exec_lo, exec_lo, s31
.LBB53_30:                              ;   in Loop: Header=BB53_3 Depth=1
	s_or_b32 exec_lo, exec_lo, s30
	v_mov_b32_e32 v9, v2
	v_mov_b32_e32 v3, v2
	;; [unrolled: 1-line block ×23, first 2 shown]
	s_and_saveexec_b32 s30, s1
	s_cbranch_execnz .LBB53_42
; %bb.31:                               ;   in Loop: Header=BB53_3 Depth=1
	s_or_b32 exec_lo, exec_lo, s30
	s_and_saveexec_b32 s30, s1
	s_cbranch_execnz .LBB53_43
.LBB53_32:                              ;   in Loop: Header=BB53_3 Depth=1
	s_or_b32 exec_lo, exec_lo, s30
	s_and_saveexec_b32 s30, s1
	s_cbranch_execnz .LBB53_44
.LBB53_33:                              ;   in Loop: Header=BB53_3 Depth=1
	s_or_b32 exec_lo, exec_lo, s30
	s_and_saveexec_b32 s30, s1
	s_cbranch_execnz .LBB53_45
.LBB53_34:                              ;   in Loop: Header=BB53_3 Depth=1
	s_or_b32 exec_lo, exec_lo, s30
	s_and_saveexec_b32 s30, s1
	s_cbranch_execnz .LBB53_46
.LBB53_35:                              ;   in Loop: Header=BB53_3 Depth=1
	s_or_b32 exec_lo, exec_lo, s30
	s_and_saveexec_b32 s30, s1
	s_cbranch_execnz .LBB53_47
.LBB53_36:                              ;   in Loop: Header=BB53_3 Depth=1
	s_or_b32 exec_lo, exec_lo, s30
	s_and_saveexec_b32 s30, s1
	s_cbranch_execnz .LBB53_48
.LBB53_37:                              ;   in Loop: Header=BB53_3 Depth=1
	s_or_b32 exec_lo, exec_lo, s30
	s_and_saveexec_b32 s30, s1
	s_cbranch_execz .LBB53_39
.LBB53_38:                              ;   in Loop: Header=BB53_3 Depth=1
	v_add_co_u32 v21, vcc_lo, v29, v19
	v_add_co_ci_u32_e64 v22, null, v30, v20, vcc_lo
	v_add_co_u32 v61, vcc_lo, v31, v19
	v_add_co_ci_u32_e64 v62, null, v32, v20, vcc_lo
	global_load_dword v10, v[21:22], off
	global_load_dword v18, v[61:62], off
.LBB53_39:                              ;   in Loop: Header=BB53_3 Depth=1
	s_or_b32 exec_lo, exec_lo, s30
	s_waitcnt vmcnt(1)
	ds_bpermute_b32 v21, v2, v57
	ds_bpermute_b32 v22, v2, v57 offset:4
	ds_bpermute_b32 v61, v2, v57 offset:8
	s_waitcnt vmcnt(0)
	ds_bpermute_b32 v62, v2, v60
	ds_bpermute_b32 v63, v2, v57 offset:12
	ds_bpermute_b32 v64, v2, v60 offset:4
	;; [unrolled: 1-line block ×5, first 2 shown]
	s_waitcnt lgkmcnt(8)
	v_sub_f32_e32 v11, v11, v21
	ds_bpermute_b32 v21, v2, v60 offset:12
	s_waitcnt lgkmcnt(8)
	v_sub_f32_e32 v12, v12, v22
	ds_bpermute_b32 v22, v2, v60 offset:16
	s_waitcnt lgkmcnt(8)
	v_sub_f32_e32 v13, v13, v61
	v_mul_f32_e32 v11, v3, v11
	v_add_f32_e32 v3, v51, v3
	v_mul_f32_e32 v12, v4, v12
	ds_bpermute_b32 v51, v2, v60 offset:20
	s_waitcnt lgkmcnt(7)
	v_sub_f32_e32 v14, v14, v63
	v_fmac_f32_e32 v59, v11, v62
	ds_bpermute_b32 v11, v2, v57 offset:24
	v_mul_f32_e32 v13, v5, v13
	v_add_f32_e32 v3, v4, v3
	s_waitcnt lgkmcnt(6)
	v_sub_f32_e32 v4, v15, v65
	v_fmac_f32_e32 v59, v12, v64
	v_mul_f32_e32 v12, v6, v14
	s_waitcnt lgkmcnt(4)
	v_sub_f32_e32 v14, v16, v67
	v_add_f32_e32 v5, v5, v3
	v_mul_f32_e32 v4, v7, v4
	v_fmac_f32_e32 v59, v13, v66
	ds_bpermute_b32 v13, v2, v60 offset:24
	ds_bpermute_b32 v61, v2, v60 offset:28
	;; [unrolled: 1-line block ×3, first 2 shown]
	v_add_f32_e32 v5, v6, v5
	s_waitcnt lgkmcnt(6)
	v_fmac_f32_e32 v59, v12, v21
	v_mul_f32_e32 v6, v8, v14
	v_add_f32_e32 v5, v7, v5
	s_waitcnt lgkmcnt(5)
	v_fmac_f32_e32 v59, v4, v22
	s_waitcnt lgkmcnt(3)
	v_sub_f32_e32 v4, v17, v11
	v_add_f32_e32 v5, v8, v5
	v_fmac_f32_e32 v59, v6, v51
	v_mul_f32_e32 v4, v9, v4
	s_waitcnt lgkmcnt(2)
	v_fmac_f32_e32 v59, v4, v13
	v_add_f32_e32 v4, v9, v5
	v_mov_b32_e32 v57, v59
.LBB53_40:                              ;   in Loop: Header=BB53_3 Depth=1
	v_add_co_u32 v25, vcc_lo, v25, s2
	v_add_co_ci_u32_e64 v26, null, s3, v26, vcc_lo
	v_add_co_u32 v27, vcc_lo, v27, s2
	v_add_co_ci_u32_e64 v28, null, s3, v28, vcc_lo
	;; [unrolled: 2-line block ×11, first 2 shown]
	v_add_co_u32 v47, vcc_lo, v47, s2
	s_waitcnt lgkmcnt(0)
	v_sub_f32_e32 v3, v18, v3
	v_add_co_ci_u32_e64 v48, null, s3, v48, vcc_lo
	v_add_co_u32 v49, vcc_lo, v49, s2
	v_add_co_ci_u32_e64 v50, null, s3, v50, vcc_lo
	v_add_co_u32 v52, vcc_lo, v52, s2
	s_add_u32 s26, s26, s29
	v_add_co_ci_u32_e64 v53, null, s3, v53, vcc_lo
	v_add_co_u32 v54, vcc_lo, v54, s2
	v_mul_f32_e32 v3, v10, v3
	s_addc_u32 s27, s27, 0
	v_add_co_ci_u32_e64 v55, null, s3, v55, vcc_lo
	v_add_co_u32 v56, vcc_lo, v56, s2
	v_cmp_lt_i64_e64 s30, s[26:27], s[12:13]
	v_add_co_ci_u32_e64 v58, null, s3, v58, vcc_lo
	v_add_co_u32 v23, vcc_lo, v23, s29
	v_add_f32_e32 v51, v4, v10
	v_fmac_f32_e32 v57, v3, v61
	v_add_co_ci_u32_e64 v24, null, 0, v24, vcc_lo
	s_add_u32 s10, s10, s29
	s_addc_u32 s11, 0, s11
	s_and_b32 vcc_lo, exec_lo, s30
	s_cbranch_vccz .LBB53_50
; %bb.41:                               ;   in Loop: Header=BB53_3 Depth=1
	v_mov_b32_e32 v59, v57
	s_branch .LBB53_3
.LBB53_42:                              ;   in Loop: Header=BB53_3 Depth=1
	v_add_co_u32 v3, vcc_lo, v25, v19
	v_add_co_ci_u32_e64 v4, null, v26, v20, vcc_lo
	v_add_co_u32 v5, vcc_lo, v27, v19
	v_add_co_ci_u32_e64 v6, null, v28, v20, vcc_lo
	global_load_dword v3, v[3:4], off
	global_load_dword v11, v[5:6], off
	v_mov_b32_e32 v4, v2
	v_mov_b32_e32 v5, v2
	;; [unrolled: 1-line block ×14, first 2 shown]
	s_or_b32 exec_lo, exec_lo, s30
	s_and_saveexec_b32 s30, s1
	s_cbranch_execz .LBB53_32
.LBB53_43:                              ;   in Loop: Header=BB53_3 Depth=1
	v_add_co_u32 v21, vcc_lo, v54, v19
	v_add_co_ci_u32_e64 v22, null, v55, v20, vcc_lo
	v_add_co_u32 v61, vcc_lo, v56, v19
	v_add_co_ci_u32_e64 v62, null, v58, v20, vcc_lo
	global_load_dword v4, v[21:22], off
	global_load_dword v12, v[61:62], off
	s_or_b32 exec_lo, exec_lo, s30
	s_and_saveexec_b32 s30, s1
	s_cbranch_execz .LBB53_33
.LBB53_44:                              ;   in Loop: Header=BB53_3 Depth=1
	v_add_co_u32 v21, vcc_lo, v49, v19
	v_add_co_ci_u32_e64 v22, null, v50, v20, vcc_lo
	v_add_co_u32 v61, vcc_lo, v52, v19
	v_add_co_ci_u32_e64 v62, null, v53, v20, vcc_lo
	global_load_dword v5, v[21:22], off
	global_load_dword v13, v[61:62], off
	s_or_b32 exec_lo, exec_lo, s30
	s_and_saveexec_b32 s30, s1
	s_cbranch_execz .LBB53_34
.LBB53_45:                              ;   in Loop: Header=BB53_3 Depth=1
	v_add_co_u32 v21, vcc_lo, v45, v19
	v_add_co_ci_u32_e64 v22, null, v46, v20, vcc_lo
	v_add_co_u32 v61, vcc_lo, v47, v19
	v_add_co_ci_u32_e64 v62, null, v48, v20, vcc_lo
	global_load_dword v6, v[21:22], off
	global_load_dword v14, v[61:62], off
	s_or_b32 exec_lo, exec_lo, s30
	s_and_saveexec_b32 s30, s1
	s_cbranch_execz .LBB53_35
.LBB53_46:                              ;   in Loop: Header=BB53_3 Depth=1
	v_add_co_u32 v21, vcc_lo, v41, v19
	v_add_co_ci_u32_e64 v22, null, v42, v20, vcc_lo
	v_add_co_u32 v61, vcc_lo, v43, v19
	v_add_co_ci_u32_e64 v62, null, v44, v20, vcc_lo
	global_load_dword v7, v[21:22], off
	global_load_dword v15, v[61:62], off
	s_or_b32 exec_lo, exec_lo, s30
	s_and_saveexec_b32 s30, s1
	s_cbranch_execz .LBB53_36
.LBB53_47:                              ;   in Loop: Header=BB53_3 Depth=1
	v_add_co_u32 v21, vcc_lo, v37, v19
	v_add_co_ci_u32_e64 v22, null, v38, v20, vcc_lo
	v_add_co_u32 v61, vcc_lo, v39, v19
	v_add_co_ci_u32_e64 v62, null, v40, v20, vcc_lo
	global_load_dword v8, v[21:22], off
	global_load_dword v16, v[61:62], off
	s_or_b32 exec_lo, exec_lo, s30
	s_and_saveexec_b32 s30, s1
	s_cbranch_execz .LBB53_37
.LBB53_48:                              ;   in Loop: Header=BB53_3 Depth=1
	v_add_co_u32 v21, vcc_lo, v33, v19
	v_add_co_ci_u32_e64 v22, null, v34, v20, vcc_lo
	v_add_co_u32 v61, vcc_lo, v35, v19
	v_add_co_ci_u32_e64 v62, null, v36, v20, vcc_lo
	global_load_dword v9, v[21:22], off
	global_load_dword v17, v[61:62], off
	s_or_b32 exec_lo, exec_lo, s30
	s_and_saveexec_b32 s30, s1
	s_cbranch_execnz .LBB53_38
	s_branch .LBB53_39
.LBB53_49:
                                        ; implicit-def: $vgpr51
                                        ; implicit-def: $vgpr57
	s_branch .LBB53_51
.LBB53_50:
	s_cbranch_execnz .LBB53_82
.LBB53_51:
	v_mov_b32_e32 v51, 0
	v_mov_b32_e32 v57, 0
	s_andn2_b32 vcc_lo, exec_lo, s28
	s_cbranch_vccnz .LBB53_82
; %bb.52:
	v_lshlrev_b32_e32 v52, 3, v1
	v_lshlrev_b32_e32 v4, 5, v1
	s_add_u32 s26, s4, 64
	s_addc_u32 s27, s5, 0
	s_lshl_b64 s[2:3], s[24:25], 2
	v_add_co_u32 v10, s1, v52, s24
	v_add_co_ci_u32_e64 v11, null, 0, 0, s1
	v_add_co_u32 v7, s1, v4, s2
	v_mul_lo_u32 v5, s15, v10
	v_mul_lo_u32 v6, s14, v11
	v_mad_u64_u32 v[2:3], null, s14, v10, 0
	v_add_co_ci_u32_e64 v8, null, 0, s3, s1
	v_mov_b32_e32 v57, 0
	s_mov_b64 s[28:29], s[24:25]
	v_add3_u32 v3, v3, v6, v5
	v_add_co_u32 v6, vcc_lo, v7, 4
	v_add_co_ci_u32_e64 v9, null, 0, v8, vcc_lo
	v_lshlrev_b64 v[4:5], 2, v[2:3]
	v_mad_u64_u32 v[19:20], null, s14, v6, s[16:17]
	v_mul_lo_u32 v9, s14, v9
	v_mul_lo_u32 v12, s15, v6
	v_mad_u64_u32 v[33:34], null, s14, v6, s[18:19]
	v_add_co_u32 v53, vcc_lo, s16, v4
	v_add_co_ci_u32_e64 v54, null, s17, v5, vcc_lo
	v_add_co_u32 v55, vcc_lo, s18, v4
	v_add_co_ci_u32_e64 v56, null, s19, v5, vcc_lo
	;; [unrolled: 2-line block ×4, first 2 shown]
	v_add_co_u32 v16, vcc_lo, v7, 16
	v_mad_u64_u32 v[21:22], null, s14, v4, s[16:17]
	v_mul_lo_u32 v5, s14, v5
	v_mul_lo_u32 v15, s15, v4
	v_add_co_ci_u32_e64 v18, null, 0, v8, vcc_lo
	v_add_co_u32 v41, vcc_lo, v7, 20
	v_mad_u64_u32 v[35:36], null, s14, v4, s[18:19]
	v_add_co_ci_u32_e64 v29, null, 0, v8, vcc_lo
	v_add_co_u32 v44, vcc_lo, v7, 24
	v_add_co_ci_u32_e64 v31, null, 0, v8, vcc_lo
	v_add_co_u32 v7, vcc_lo, v7, 28
	;; [unrolled: 2-line block ×3, first 2 shown]
	v_add3_u32 v22, v15, v22, v5
	v_add3_u32 v36, v15, v36, v5
	v_add_co_ci_u32_e64 v5, null, 0, v11, vcc_lo
	v_add3_u32 v20, v12, v20, v9
	v_add3_u32 v34, v12, v34, v9
	v_mul_lo_u32 v6, s15, v4
	v_mul_lo_u32 v9, s14, v5
	v_mad_u64_u32 v[4:5], null, s14, v4, 0
	v_mul_lo_u32 v49, s14, v31
	v_mad_u64_u32 v[31:32], null, s14, v7, s[16:17]
	v_mul_lo_u32 v8, s14, v8
	v_mul_lo_u32 v51, s15, v7
	v_mad_u64_u32 v[45:46], null, s14, v7, s[18:19]
	v_add3_u32 v5, v5, v9, v6
	v_add_co_u32 v6, vcc_lo, v10, 6
	v_add_co_ci_u32_e64 v7, null, 0, v11, vcc_lo
	v_mad_u64_u32 v[23:24], null, s14, v13, s[16:17]
	v_mul_lo_u32 v14, s14, v14
	v_mul_lo_u32 v17, s15, v13
	v_add3_u32 v32, v51, v32, v8
	v_mad_u64_u32 v[37:38], null, s14, v13, s[18:19]
	v_add3_u32 v46, v51, v46, v8
	v_mul_lo_u32 v8, s15, v6
	v_mul_lo_u32 v9, s14, v7
	v_mad_u64_u32 v[6:7], null, s14, v6, 0
	v_lshlrev_b64 v[4:5], 2, v[4:5]
	v_add_co_u32 v12, vcc_lo, v10, 5
	v_add_co_ci_u32_e64 v13, null, 0, v11, vcc_lo
	v_add3_u32 v24, v17, v24, v14
	v_add_co_u32 v58, vcc_lo, s16, v4
	v_add3_u32 v38, v17, v38, v14
	v_add3_u32 v7, v7, v9, v8
	v_mul_lo_u32 v14, s15, v12
	v_mul_lo_u32 v13, s14, v13
	v_mad_u64_u32 v[8:9], null, s14, v12, 0
	v_add_co_ci_u32_e64 v59, null, s17, v5, vcc_lo
	v_add_co_u32 v12, vcc_lo, v10, 4
	v_add_co_ci_u32_e64 v15, null, 0, v11, vcc_lo
	v_add_co_u32 v60, vcc_lo, s18, v4
	v_add_co_ci_u32_e64 v61, null, s19, v5, vcc_lo
	v_lshlrev_b64 v[4:5], 2, v[6:7]
	v_add3_u32 v9, v9, v13, v14
	v_mul_lo_u32 v13, s15, v12
	v_mul_lo_u32 v14, s14, v15
	v_mad_u64_u32 v[6:7], null, s14, v12, 0
	v_lshlrev_b64 v[8:9], 2, v[8:9]
	v_add_co_u32 v62, vcc_lo, s16, v4
	v_add_co_ci_u32_e64 v63, null, s17, v5, vcc_lo
	v_add_co_u32 v64, vcc_lo, s18, v4
	v_add3_u32 v7, v7, v14, v13
	v_add_co_ci_u32_e64 v65, null, s19, v5, vcc_lo
	v_add_co_u32 v66, vcc_lo, s16, v8
	v_add_co_ci_u32_e64 v67, null, s17, v9, vcc_lo
	v_lshlrev_b64 v[4:5], 2, v[6:7]
	v_add_co_u32 v6, vcc_lo, v10, 3
	v_add_co_ci_u32_e64 v7, null, 0, v11, vcc_lo
	v_add_co_u32 v68, s1, s18, v8
	v_add_co_u32 v8, vcc_lo, v10, 2
	v_add_co_ci_u32_e64 v69, null, s19, v9, s1
	v_mul_lo_u32 v12, s15, v6
	v_add_co_ci_u32_e64 v9, null, 0, v11, vcc_lo
	v_mul_lo_u32 v10, s14, v7
	v_mad_u64_u32 v[6:7], null, s14, v6, 0
	v_mul_lo_u32 v11, s15, v8
	v_mul_lo_u32 v13, s14, v9
	v_mad_u64_u32 v[8:9], null, s14, v8, 0
	v_add_co_u32 v70, vcc_lo, s16, v4
	v_add3_u32 v7, v7, v10, v12
	s_load_dword s1, s[4:5], 0x44
	v_add_co_ci_u32_e64 v71, null, s17, v5, vcc_lo
	v_add_co_u32 v72, vcc_lo, s18, v4
	v_add_co_ci_u32_e64 v73, null, s19, v5, vcc_lo
	v_lshlrev_b64 v[4:5], 2, v[6:7]
	v_add3_u32 v9, v9, v13, v11
	v_add_co_u32 v2, vcc_lo, v2, s14
	v_mad_u64_u32 v[25:26], null, s14, v16, s[16:17]
	v_mul_lo_u32 v18, s14, v18
	v_mul_lo_u32 v43, s15, v16
	v_mad_u64_u32 v[39:40], null, s14, v16, s[18:19]
	v_add_co_ci_u32_e64 v3, null, s15, v3, vcc_lo
	v_lshlrev_b64 v[6:7], 2, v[8:9]
	v_add_co_u32 v74, vcc_lo, s16, v4
	v_add_co_ci_u32_e64 v75, null, s17, v5, vcc_lo
	v_add_co_u32 v76, vcc_lo, s18, v4
	v_lshlrev_b64 v[3:4], 2, v[2:3]
	v_mov_b32_e32 v2, 0
	v_mad_u64_u32 v[27:28], null, s14, v41, s[16:17]
	v_mul_lo_u32 v47, s14, v29
	v_mul_lo_u32 v48, s15, v41
	v_mad_u64_u32 v[41:42], null, s14, v41, s[18:19]
	v_mad_u64_u32 v[29:30], null, s14, v44, s[16:17]
	v_mul_lo_u32 v50, s15, v44
	v_add3_u32 v26, v43, v26, v18
	v_add3_u32 v40, v43, v40, v18
	v_mad_u64_u32 v[43:44], null, s14, v44, s[18:19]
	v_add_co_ci_u32_e64 v77, null, s19, v5, vcc_lo
	v_add_co_u32 v78, vcc_lo, s16, v6
	v_add_co_ci_u32_e64 v79, null, s17, v7, vcc_lo
	v_add_co_u32 v80, vcc_lo, s18, v6
	v_add_nc_u32_e32 v5, s7, v0
	v_mov_b32_e32 v6, v2
	v_add_co_ci_u32_e64 v81, null, s19, v7, vcc_lo
	v_add_co_u32 v82, vcc_lo, s16, v3
	s_waitcnt lgkmcnt(0)
	s_lshl_b32 s11, s1, 3
	v_add_co_ci_u32_e64 v83, null, s17, v4, vcc_lo
	v_add_co_u32 v84, vcc_lo, s18, v3
	v_add3_u32 v28, v48, v28, v47
	v_add3_u32 v42, v48, v42, v47
	s_mul_i32 s1, s15, s11
	s_mul_hi_u32 s2, s14, s11
	v_lshlrev_b64 v[47:48], 2, v[5:6]
	v_add3_u32 v30, v50, v30, v49
	v_add3_u32 v44, v50, v44, v49
	v_add_co_ci_u32_e64 v85, null, s19, v4, vcc_lo
	v_mov_b32_e32 v86, v2
	v_mov_b32_e32 v51, 0
	s_add_i32 s3, s2, s1
	s_mul_i32 s2, s14, s11
	s_mov_b64 s[18:19], 7
	s_lshl_b64 s[16:17], s[2:3], 2
	s_branch .LBB53_56
.LBB53_53:                              ;   in Loop: Header=BB53_56 Depth=1
	s_or_b32 exec_lo, exec_lo, s2
.LBB53_54:                              ;   in Loop: Header=BB53_56 Depth=1
	s_or_b32 exec_lo, exec_lo, s1
	v_add_co_u32 v3, vcc_lo, v55, v47
	v_add_co_ci_u32_e64 v4, null, v56, v48, vcc_lo
	v_add_co_u32 v7, vcc_lo, v53, v47
	v_add_co_ci_u32_e64 v8, null, v54, v48, vcc_lo
	global_load_dword v49, v[3:4], off
	global_load_dword v50, v[7:8], off
	v_add_co_u32 v3, vcc_lo, v33, v47
	v_add_co_ci_u32_e64 v4, null, v34, v48, vcc_lo
	v_add_co_u32 v10, s3, v39, v47
	v_add_co_ci_u32_e64 v11, null, v40, v48, s3
	global_load_dword v87, v[3:4], off
	v_add_co_u32 v3, vcc_lo, v19, v47
	v_add_co_ci_u32_e64 v4, null, v20, v48, vcc_lo
	v_add_co_u32 v13, s8, v41, v47
	s_waitcnt vmcnt(4)
	ds_bpermute_b32 v91, v2, v6
	global_load_dword v88, v[3:4], off
	v_add_co_u32 v3, vcc_lo, v35, v47
	v_add_co_ci_u32_e64 v4, null, v36, v48, vcc_lo
	v_add_co_u32 v7, vcc_lo, v21, v47
	v_add_co_ci_u32_e64 v8, null, v22, v48, vcc_lo
	global_load_dword v89, v[3:4], off
	global_load_dword v90, v[7:8], off
	v_add_co_u32 v7, s1, v37, v47
	v_add_co_ci_u32_e64 v8, null, v38, v48, s1
	v_add_co_ci_u32_e64 v14, null, v42, v48, s8
	global_load_dword v11, v[10:11], off
	v_add_co_u32 v3, vcc_lo, v23, v47
	v_add_co_u32 v9, s2, v25, v47
	global_load_dword v92, v[7:8], off
	global_load_dword v14, v[13:14], off
	v_add_co_ci_u32_e64 v4, null, v24, v48, vcc_lo
	v_add_co_ci_u32_e64 v10, null, v26, v48, s2
	s_waitcnt vmcnt(9)
	ds_bpermute_b32 v93, v2, v5
	global_load_dword v94, v[3:4], off
	global_load_dword v9, v[9:10], off
	v_add_co_u32 v12, s7, v27, v47
	v_add_co_u32 v15, s9, v43, v47
	;; [unrolled: 1-line block ×3, first 2 shown]
	v_add_co_ci_u32_e64 v13, null, v28, v48, s7
	v_add_co_ci_u32_e64 v16, null, v44, v48, s9
	;; [unrolled: 1-line block ×3, first 2 shown]
	v_add_co_u32 v7, vcc_lo, v29, v47
	global_load_dword v12, v[12:13], off
	v_add_co_ci_u32_e64 v8, null, v30, v48, vcc_lo
	global_load_dword v13, v[15:16], off
	global_load_dword v15, v[17:18], off
	v_add_co_u32 v3, s1, v31, v47
	global_load_dword v7, v[7:8], off
	ds_bpermute_b32 v8, v2, v6 offset:12
	ds_bpermute_b32 v17, v2, v5 offset:12
	;; [unrolled: 1-line block ×3, first 2 shown]
	s_waitcnt vmcnt(14) lgkmcnt(4)
	v_sub_f32_e32 v4, v49, v91
	s_waitcnt vmcnt(13)
	v_add_f32_e32 v16, v51, v50
	ds_bpermute_b32 v49, v2, v5 offset:24
	v_mul_f32_e32 v10, v50, v4
	v_add_co_ci_u32_e64 v4, null, v32, v48, s1
	s_waitcnt lgkmcnt(4)
	v_fmac_f32_e32 v57, v10, v93
	global_load_dword v10, v[3:4], off
	ds_bpermute_b32 v3, v2, v6 offset:4
	ds_bpermute_b32 v4, v2, v5 offset:4
	s_waitcnt vmcnt(12)
	v_add_f32_e32 v16, v16, v88
	s_waitcnt vmcnt(10)
	v_add_f32_e32 v16, v16, v90
	s_waitcnt lgkmcnt(1)
	v_sub_f32_e32 v3, v87, v3
	v_mul_f32_e32 v3, v88, v3
	s_waitcnt vmcnt(8)
	v_sub_f32_e32 v8, v92, v8
	s_waitcnt lgkmcnt(0)
	v_fmac_f32_e32 v57, v3, v4
	ds_bpermute_b32 v3, v2, v6 offset:8
	ds_bpermute_b32 v4, v2, v5 offset:8
	s_waitcnt vmcnt(6)
	v_mul_f32_e32 v8, v94, v8
	s_waitcnt lgkmcnt(1)
	v_sub_f32_e32 v3, v89, v3
	v_mul_f32_e32 v3, v90, v3
	s_waitcnt lgkmcnt(0)
	v_fmac_f32_e32 v57, v3, v4
	ds_bpermute_b32 v3, v2, v6 offset:16
	ds_bpermute_b32 v4, v2, v6 offset:20
	v_fmac_f32_e32 v57, v8, v17
	v_add_f32_e32 v8, v16, v94
	s_waitcnt vmcnt(5)
	v_add_f32_e32 v8, v8, v9
	s_waitcnt lgkmcnt(1)
	v_sub_f32_e32 v3, v11, v3
	ds_bpermute_b32 v11, v2, v6 offset:24
	ds_bpermute_b32 v6, v2, v6 offset:28
	s_waitcnt lgkmcnt(2)
	v_sub_f32_e32 v4, v14, v4
	ds_bpermute_b32 v14, v2, v5 offset:20
	ds_bpermute_b32 v5, v2, v5 offset:28
	v_mul_f32_e32 v3, v9, v3
	s_waitcnt vmcnt(4)
	v_mul_f32_e32 v4, v12, v4
	v_fmac_f32_e32 v57, v3, v18
	s_waitcnt vmcnt(3) lgkmcnt(3)
	v_sub_f32_e32 v3, v13, v11
	s_waitcnt vmcnt(2) lgkmcnt(2)
	v_sub_f32_e32 v6, v15, v6
	s_waitcnt lgkmcnt(1)
	v_fmac_f32_e32 v57, v4, v14
	v_add_f32_e32 v4, v8, v12
	s_waitcnt vmcnt(1)
	v_mul_f32_e32 v3, v7, v3
	v_fmac_f32_e32 v57, v3, v49
	v_add_f32_e32 v3, v4, v7
	v_mov_b32_e32 v11, v57
	s_waitcnt vmcnt(0)
	v_mul_f32_e32 v6, v10, v6
	s_waitcnt lgkmcnt(0)
	v_mul_f32_e32 v4, v6, v5
.LBB53_55:                              ;   in Loop: Header=BB53_56 Depth=1
	v_add_co_u32 v53, vcc_lo, v53, s16
	v_add_co_ci_u32_e64 v54, null, s17, v54, vcc_lo
	v_add_co_u32 v55, vcc_lo, v55, s16
	v_add_co_ci_u32_e64 v56, null, s17, v56, vcc_lo
	v_add_co_u32 v52, vcc_lo, v52, s11
	v_add_co_ci_u32_e64 v86, null, 0, v86, vcc_lo
	v_add_co_u32 v19, vcc_lo, v19, s16
	v_add_co_ci_u32_e64 v20, null, s17, v20, vcc_lo
	v_add_co_u32 v21, vcc_lo, v21, s16
	v_add_co_ci_u32_e64 v22, null, s17, v22, vcc_lo
	v_add_co_u32 v23, vcc_lo, v23, s16
	v_add_co_ci_u32_e64 v24, null, s17, v24, vcc_lo
	v_add_co_u32 v25, vcc_lo, v25, s16
	v_add_co_ci_u32_e64 v26, null, s17, v26, vcc_lo
	v_add_co_u32 v27, vcc_lo, v27, s16
	v_add_co_ci_u32_e64 v28, null, s17, v28, vcc_lo
	v_add_co_u32 v29, vcc_lo, v29, s16
	v_add_co_ci_u32_e64 v30, null, s17, v30, vcc_lo
	v_add_co_u32 v31, vcc_lo, v31, s16
	v_add_co_ci_u32_e64 v32, null, s17, v32, vcc_lo
	v_add_co_u32 v33, vcc_lo, v33, s16
	v_add_co_ci_u32_e64 v34, null, s17, v34, vcc_lo
	v_add_co_u32 v35, vcc_lo, v35, s16
	v_add_co_ci_u32_e64 v36, null, s17, v36, vcc_lo
	v_add_co_u32 v37, vcc_lo, v37, s16
	v_add_co_ci_u32_e64 v38, null, s17, v38, vcc_lo
	v_add_co_u32 v39, vcc_lo, v39, s16
	v_add_co_ci_u32_e64 v40, null, s17, v40, vcc_lo
	v_add_co_u32 v41, vcc_lo, v41, s16
	v_add_co_ci_u32_e64 v42, null, s17, v42, vcc_lo
	v_add_co_u32 v43, vcc_lo, v43, s16
	v_add_co_ci_u32_e64 v44, null, s17, v44, vcc_lo
	v_add_co_u32 v45, vcc_lo, v45, s16
	v_add_co_ci_u32_e64 v46, null, s17, v46, vcc_lo
	v_add_co_u32 v58, vcc_lo, v58, s16
	v_add_co_ci_u32_e64 v59, null, s17, v59, vcc_lo
	v_add_co_u32 v60, vcc_lo, v60, s16
	v_add_co_ci_u32_e64 v61, null, s17, v61, vcc_lo
	v_add_co_u32 v62, vcc_lo, v62, s16
	v_add_co_ci_u32_e64 v63, null, s17, v63, vcc_lo
	v_add_co_u32 v64, vcc_lo, v64, s16
	v_add_co_ci_u32_e64 v65, null, s17, v65, vcc_lo
	v_add_co_u32 v66, vcc_lo, v66, s16
	v_add_co_ci_u32_e64 v67, null, s17, v67, vcc_lo
	v_add_co_u32 v68, vcc_lo, v68, s16
	v_add_co_ci_u32_e64 v69, null, s17, v69, vcc_lo
	v_add_co_u32 v70, vcc_lo, v70, s16
	v_add_co_ci_u32_e64 v71, null, s17, v71, vcc_lo
	v_add_co_u32 v72, vcc_lo, v72, s16
	v_add_co_ci_u32_e64 v73, null, s17, v73, vcc_lo
	v_add_co_u32 v74, vcc_lo, v74, s16
	v_add_co_ci_u32_e64 v75, null, s17, v75, vcc_lo
	v_add_co_u32 v76, vcc_lo, v76, s16
	v_add_co_ci_u32_e64 v77, null, s17, v77, vcc_lo
	v_add_co_u32 v78, vcc_lo, v78, s16
	s_add_u32 s28, s28, s11
	v_add_co_ci_u32_e64 v79, null, s17, v79, vcc_lo
	v_add_co_u32 v80, vcc_lo, v80, s16
	s_addc_u32 s29, s29, 0
	v_add_co_ci_u32_e64 v81, null, s17, v81, vcc_lo
	v_add_co_u32 v82, vcc_lo, v82, s16
	v_cmp_ge_i64_e64 s1, s[28:29], s[12:13]
	v_add_co_ci_u32_e64 v83, null, s17, v83, vcc_lo
	v_add_co_u32 v84, vcc_lo, v84, s16
	v_add_f32_e32 v57, v11, v4
	v_add_f32_e32 v51, v3, v10
	v_add_co_ci_u32_e64 v85, null, s17, v85, vcc_lo
	s_add_u32 s18, s18, s11
	s_addc_u32 s19, 0, s19
	s_and_b32 vcc_lo, exec_lo, s1
	s_cbranch_vccnz .LBB53_82
.LBB53_56:                              ; =>This Inner Loop Header: Depth=1
	s_add_u32 s2, s24, s18
	s_addc_u32 s3, 0, s19
	v_add_co_u32 v49, vcc_lo, s24, v52
	v_cmp_ge_i64_e64 s1, s[2:3], s[12:13]
	v_add_co_ci_u32_e64 v50, null, 0, v86, vcc_lo
                                        ; implicit-def: $vgpr10
                                        ; implicit-def: $vgpr4
                                        ; implicit-def: $vgpr3
                                        ; implicit-def: $vgpr11
	s_and_b32 vcc_lo, exec_lo, s1
	s_mov_b32 s1, -1
	s_cbranch_vccz .LBB53_78
; %bb.57:                               ;   in Loop: Header=BB53_56 Depth=1
	s_load_dword s1, s[26:27], 0xc
	v_mov_b32_e32 v88, 0
	v_mov_b32_e32 v87, 0
	s_waitcnt lgkmcnt(0)
	s_and_b32 s1, s1, 0xffff
	v_mad_u32_u24 v3, v1, s1, v0
	s_mov_b32 s1, exec_lo
	v_and_b32_e32 v3, 31, v3
	v_cmpx_gt_u32_e32 8, v3
	s_cbranch_execz .LBB53_61
; %bb.58:                               ;   in Loop: Header=BB53_56 Depth=1
	v_add_co_u32 v3, vcc_lo, v49, v3
	v_add_co_ci_u32_e64 v4, null, 0, v50, vcc_lo
	v_mov_b32_e32 v87, 0
	v_mov_b32_e32 v88, 0
	s_mov_b32 s2, exec_lo
	v_cmpx_gt_i64_e64 s[12:13], v[3:4]
	s_cbranch_execz .LBB53_60
; %bb.59:                               ;   in Loop: Header=BB53_56 Depth=1
	v_lshlrev_b64 v[3:4], 2, v[3:4]
	v_add_co_u32 v5, vcc_lo, s20, v3
	v_add_co_ci_u32_e64 v6, null, s21, v4, vcc_lo
	v_add_co_u32 v3, vcc_lo, s22, v3
	v_add_co_ci_u32_e64 v4, null, s23, v4, vcc_lo
	global_load_dword v87, v[5:6], off
	global_load_dword v88, v[3:4], off
.LBB53_60:                              ;   in Loop: Header=BB53_56 Depth=1
	s_or_b32 exec_lo, exec_lo, s2
.LBB53_61:                              ;   in Loop: Header=BB53_56 Depth=1
	s_or_b32 exec_lo, exec_lo, s1
	v_mov_b32_e32 v9, v2
	v_mov_b32_e32 v3, v2
	;; [unrolled: 1-line block ×23, first 2 shown]
	s_mov_b32 s1, exec_lo
	v_cmpx_gt_i64_e64 s[12:13], v[49:50]
	s_cbranch_execz .LBB53_63
; %bb.62:                               ;   in Loop: Header=BB53_56 Depth=1
	v_add_co_u32 v3, vcc_lo, v53, v47
	v_add_co_ci_u32_e64 v4, null, v54, v48, vcc_lo
	v_add_co_u32 v5, vcc_lo, v55, v47
	v_add_co_ci_u32_e64 v6, null, v56, v48, vcc_lo
	global_load_dword v3, v[3:4], off
	global_load_dword v11, v[5:6], off
	v_mov_b32_e32 v4, v2
	v_mov_b32_e32 v5, v2
	;; [unrolled: 1-line block ×14, first 2 shown]
.LBB53_63:                              ;   in Loop: Header=BB53_56 Depth=1
	s_or_b32 exec_lo, exec_lo, s1
	v_add_co_u32 v89, vcc_lo, v49, 1
	v_add_co_ci_u32_e64 v90, null, 0, v50, vcc_lo
	s_mov_b32 s1, exec_lo
	v_cmpx_gt_i64_e64 s[12:13], v[89:90]
	s_cbranch_execz .LBB53_65
; %bb.64:                               ;   in Loop: Header=BB53_56 Depth=1
	v_add_co_u32 v89, vcc_lo, v82, v47
	v_add_co_ci_u32_e64 v90, null, v83, v48, vcc_lo
	v_add_co_u32 v91, vcc_lo, v84, v47
	v_add_co_ci_u32_e64 v92, null, v85, v48, vcc_lo
	global_load_dword v4, v[89:90], off
	global_load_dword v12, v[91:92], off
.LBB53_65:                              ;   in Loop: Header=BB53_56 Depth=1
	s_or_b32 exec_lo, exec_lo, s1
	v_add_co_u32 v89, vcc_lo, v49, 2
	v_add_co_ci_u32_e64 v90, null, 0, v50, vcc_lo
	s_mov_b32 s1, exec_lo
	v_cmpx_gt_i64_e64 s[12:13], v[89:90]
	s_cbranch_execz .LBB53_67
; %bb.66:                               ;   in Loop: Header=BB53_56 Depth=1
	v_add_co_u32 v89, vcc_lo, v78, v47
	v_add_co_ci_u32_e64 v90, null, v79, v48, vcc_lo
	v_add_co_u32 v91, vcc_lo, v80, v47
	v_add_co_ci_u32_e64 v92, null, v81, v48, vcc_lo
	global_load_dword v5, v[89:90], off
	global_load_dword v13, v[91:92], off
.LBB53_67:                              ;   in Loop: Header=BB53_56 Depth=1
	;; [unrolled: 14-line block ×7, first 2 shown]
	s_or_b32 exec_lo, exec_lo, s1
	s_waitcnt vmcnt(1)
	ds_bpermute_b32 v90, v2, v87
	s_waitcnt vmcnt(0)
	ds_bpermute_b32 v89, v2, v88
	s_mov_b32 s1, 0
	s_waitcnt lgkmcnt(1)
	v_sub_f32_e32 v11, v11, v90
	ds_bpermute_b32 v90, v2, v87 offset:4
	v_mul_f32_e32 v11, v3, v11
	v_add_f32_e32 v3, v51, v3
	s_waitcnt lgkmcnt(1)
	v_fma_f32 v11, v11, v89, v57
	ds_bpermute_b32 v89, v2, v88 offset:4
	v_add_f32_e32 v3, v4, v3
	v_add_f32_e32 v3, v5, v3
	s_waitcnt lgkmcnt(1)
	v_sub_f32_e32 v12, v12, v90
	v_add_f32_e32 v3, v6, v3
	v_mul_f32_e32 v12, v4, v12
	ds_bpermute_b32 v4, v2, v88 offset:8
	v_add_f32_e32 v3, v7, v3
	s_waitcnt lgkmcnt(1)
	v_fmac_f32_e32 v11, v12, v89
	ds_bpermute_b32 v12, v2, v87 offset:8
	v_add_f32_e32 v3, v8, v3
	v_add_f32_e32 v3, v9, v3
	s_waitcnt lgkmcnt(0)
	v_sub_f32_e32 v12, v13, v12
	v_mul_f32_e32 v12, v5, v12
	ds_bpermute_b32 v5, v2, v87 offset:12
	v_fmac_f32_e32 v11, v12, v4
	ds_bpermute_b32 v4, v2, v88 offset:12
	s_waitcnt lgkmcnt(1)
	v_sub_f32_e32 v5, v14, v5
	v_mul_f32_e32 v5, v6, v5
	s_waitcnt lgkmcnt(0)
	v_fmac_f32_e32 v11, v5, v4
	ds_bpermute_b32 v5, v2, v87 offset:16
	ds_bpermute_b32 v4, v2, v88 offset:16
	s_waitcnt lgkmcnt(1)
	v_sub_f32_e32 v5, v15, v5
	v_mul_f32_e32 v5, v7, v5
	s_waitcnt lgkmcnt(0)
	v_fmac_f32_e32 v11, v5, v4
	ds_bpermute_b32 v5, v2, v87 offset:20
	;; [unrolled: 7-line block ×4, first 2 shown]
	ds_bpermute_b32 v4, v2, v88 offset:28
	s_waitcnt lgkmcnt(1)
	v_sub_f32_e32 v5, v18, v5
	v_mul_f32_e32 v5, v10, v5
	s_waitcnt lgkmcnt(0)
	v_mul_f32_e32 v4, v5, v4
.LBB53_78:                              ;   in Loop: Header=BB53_56 Depth=1
	s_and_b32 vcc_lo, exec_lo, s1
	s_cbranch_vccz .LBB53_55
; %bb.79:                               ;   in Loop: Header=BB53_56 Depth=1
	s_load_dword s1, s[26:27], 0x0
	v_mov_b32_e32 v5, 0
	v_mov_b32_e32 v6, 0
	s_waitcnt lgkmcnt(0)
	s_cmp_lt_u32 s6, s1
	s_cselect_b32 s1, 12, 18
	s_add_u32 s2, s26, s1
	s_addc_u32 s3, s27, 0
	s_mov_b32 s1, exec_lo
	global_load_ushort v3, v2, s[2:3]
	s_waitcnt vmcnt(0)
	v_mad_u32_u24 v3, v1, v3, v0
	v_and_b32_e32 v3, 31, v3
	v_cmpx_gt_u32_e32 8, v3
	s_cbranch_execz .LBB53_54
; %bb.80:                               ;   in Loop: Header=BB53_56 Depth=1
	v_add_co_u32 v3, vcc_lo, v49, v3
	v_add_co_ci_u32_e64 v4, null, 0, v50, vcc_lo
	v_mov_b32_e32 v6, 0
	v_mov_b32_e32 v5, 0
	s_mov_b32 s2, exec_lo
	v_cmpx_gt_i64_e64 s[12:13], v[3:4]
	s_cbranch_execz .LBB53_53
; %bb.81:                               ;   in Loop: Header=BB53_56 Depth=1
	v_lshlrev_b64 v[3:4], 2, v[3:4]
	v_add_co_u32 v5, vcc_lo, s20, v3
	v_add_co_ci_u32_e64 v6, null, s21, v4, vcc_lo
	v_add_co_u32 v3, vcc_lo, s22, v3
	v_add_co_ci_u32_e64 v4, null, s23, v4, vcc_lo
	global_load_dword v6, v[5:6], off
	global_load_dword v5, v[3:4], off
	s_branch .LBB53_53
.LBB53_82:
	s_mov_b32 s7, 0
	s_mov_b32 s1, exec_lo
	s_lshl_b64 s[2:3], s[6:7], 6
	v_or_b32_e32 v4, s2, v0
	v_mov_b32_e32 v5, s3
	v_cmpx_gt_i64_e64 s[14:15], v[4:5]
	s_cbranch_execz .LBB53_87
; %bb.83:
	s_clause 0x1
	s_load_dword s1, s[4:5], 0x4c
	s_load_dwordx4 s[4:7], s[4:5], 0x30
	v_mov_b32_e32 v2, 0
	s_waitcnt lgkmcnt(0)
	s_lshr_b32 s1, s1, 16
	s_cmp_eq_u64 s[4:5], 0
	v_mad_u64_u32 v[2:3], null, s1, s0, v[1:2]
	v_lshlrev_b64 v[0:1], 2, v[4:5]
	v_mul_lo_u32 v3, v3, s14
	v_mul_lo_u32 v6, v2, s15
	s_cbranch_scc1 .LBB53_85
; %bb.84:
	v_mad_u64_u32 v[4:5], null, v2, s14, 0
	v_add3_u32 v5, v5, v6, v3
	v_lshlrev_b64 v[4:5], 2, v[4:5]
	v_add_co_u32 v4, vcc_lo, s4, v4
	v_add_co_ci_u32_e64 v5, null, s5, v5, vcc_lo
	v_add_co_u32 v4, vcc_lo, v4, v0
	v_add_co_ci_u32_e64 v5, null, v5, v1, vcc_lo
	global_store_dword v[4:5], v57, off
.LBB53_85:
	s_cmp_eq_u64 s[6:7], 0
	s_cbranch_scc1 .LBB53_87
; %bb.86:
	v_mad_u64_u32 v[4:5], null, v2, s14, 0
	v_add3_u32 v5, v5, v6, v3
	v_lshlrev_b64 v[2:3], 2, v[4:5]
	v_add_co_u32 v2, vcc_lo, s6, v2
	v_add_co_ci_u32_e64 v3, null, s7, v3, vcc_lo
	v_add_co_u32 v0, vcc_lo, v2, v0
	v_add_co_ci_u32_e64 v1, null, v3, v1, vcc_lo
	global_store_dword v[0:1], v51, off
.LBB53_87:
	s_endpgm
	.section	.rodata,"a",@progbits
	.p2align	6, 0x0
	.amdhsa_kernel _ZN2at6native12_GLOBAL__N_135GammaBetaBackwardCUDAKernelTemplateIffLj64ELj1ELj8ELb1ELb0ELb0EEEvllPKT_S5_PKT0_S8_PS3_S9_
		.amdhsa_group_segment_fixed_size 0
		.amdhsa_private_segment_fixed_size 0
		.amdhsa_kernarg_size 320
		.amdhsa_user_sgpr_count 6
		.amdhsa_user_sgpr_private_segment_buffer 1
		.amdhsa_user_sgpr_dispatch_ptr 0
		.amdhsa_user_sgpr_queue_ptr 0
		.amdhsa_user_sgpr_kernarg_segment_ptr 1
		.amdhsa_user_sgpr_dispatch_id 0
		.amdhsa_user_sgpr_flat_scratch_init 0
		.amdhsa_user_sgpr_private_segment_size 0
		.amdhsa_wavefront_size32 1
		.amdhsa_uses_dynamic_stack 0
		.amdhsa_system_sgpr_private_segment_wavefront_offset 0
		.amdhsa_system_sgpr_workgroup_id_x 1
		.amdhsa_system_sgpr_workgroup_id_y 1
		.amdhsa_system_sgpr_workgroup_id_z 0
		.amdhsa_system_sgpr_workgroup_info 0
		.amdhsa_system_vgpr_workitem_id 1
		.amdhsa_next_free_vgpr 95
		.amdhsa_next_free_sgpr 32
		.amdhsa_reserve_vcc 1
		.amdhsa_reserve_flat_scratch 0
		.amdhsa_float_round_mode_32 0
		.amdhsa_float_round_mode_16_64 0
		.amdhsa_float_denorm_mode_32 3
		.amdhsa_float_denorm_mode_16_64 3
		.amdhsa_dx10_clamp 1
		.amdhsa_ieee_mode 1
		.amdhsa_fp16_overflow 0
		.amdhsa_workgroup_processor_mode 1
		.amdhsa_memory_ordered 1
		.amdhsa_forward_progress 1
		.amdhsa_shared_vgpr_count 0
		.amdhsa_exception_fp_ieee_invalid_op 0
		.amdhsa_exception_fp_denorm_src 0
		.amdhsa_exception_fp_ieee_div_zero 0
		.amdhsa_exception_fp_ieee_overflow 0
		.amdhsa_exception_fp_ieee_underflow 0
		.amdhsa_exception_fp_ieee_inexact 0
		.amdhsa_exception_int_div_zero 0
	.end_amdhsa_kernel
	.section	.text._ZN2at6native12_GLOBAL__N_135GammaBetaBackwardCUDAKernelTemplateIffLj64ELj1ELj8ELb1ELb0ELb0EEEvllPKT_S5_PKT0_S8_PS3_S9_,"axG",@progbits,_ZN2at6native12_GLOBAL__N_135GammaBetaBackwardCUDAKernelTemplateIffLj64ELj1ELj8ELb1ELb0ELb0EEEvllPKT_S5_PKT0_S8_PS3_S9_,comdat
.Lfunc_end53:
	.size	_ZN2at6native12_GLOBAL__N_135GammaBetaBackwardCUDAKernelTemplateIffLj64ELj1ELj8ELb1ELb0ELb0EEEvllPKT_S5_PKT0_S8_PS3_S9_, .Lfunc_end53-_ZN2at6native12_GLOBAL__N_135GammaBetaBackwardCUDAKernelTemplateIffLj64ELj1ELj8ELb1ELb0ELb0EEEvllPKT_S5_PKT0_S8_PS3_S9_
                                        ; -- End function
	.set _ZN2at6native12_GLOBAL__N_135GammaBetaBackwardCUDAKernelTemplateIffLj64ELj1ELj8ELb1ELb0ELb0EEEvllPKT_S5_PKT0_S8_PS3_S9_.num_vgpr, 95
	.set _ZN2at6native12_GLOBAL__N_135GammaBetaBackwardCUDAKernelTemplateIffLj64ELj1ELj8ELb1ELb0ELb0EEEvllPKT_S5_PKT0_S8_PS3_S9_.num_agpr, 0
	.set _ZN2at6native12_GLOBAL__N_135GammaBetaBackwardCUDAKernelTemplateIffLj64ELj1ELj8ELb1ELb0ELb0EEEvllPKT_S5_PKT0_S8_PS3_S9_.numbered_sgpr, 32
	.set _ZN2at6native12_GLOBAL__N_135GammaBetaBackwardCUDAKernelTemplateIffLj64ELj1ELj8ELb1ELb0ELb0EEEvllPKT_S5_PKT0_S8_PS3_S9_.num_named_barrier, 0
	.set _ZN2at6native12_GLOBAL__N_135GammaBetaBackwardCUDAKernelTemplateIffLj64ELj1ELj8ELb1ELb0ELb0EEEvllPKT_S5_PKT0_S8_PS3_S9_.private_seg_size, 0
	.set _ZN2at6native12_GLOBAL__N_135GammaBetaBackwardCUDAKernelTemplateIffLj64ELj1ELj8ELb1ELb0ELb0EEEvllPKT_S5_PKT0_S8_PS3_S9_.uses_vcc, 1
	.set _ZN2at6native12_GLOBAL__N_135GammaBetaBackwardCUDAKernelTemplateIffLj64ELj1ELj8ELb1ELb0ELb0EEEvllPKT_S5_PKT0_S8_PS3_S9_.uses_flat_scratch, 0
	.set _ZN2at6native12_GLOBAL__N_135GammaBetaBackwardCUDAKernelTemplateIffLj64ELj1ELj8ELb1ELb0ELb0EEEvllPKT_S5_PKT0_S8_PS3_S9_.has_dyn_sized_stack, 0
	.set _ZN2at6native12_GLOBAL__N_135GammaBetaBackwardCUDAKernelTemplateIffLj64ELj1ELj8ELb1ELb0ELb0EEEvllPKT_S5_PKT0_S8_PS3_S9_.has_recursion, 0
	.set _ZN2at6native12_GLOBAL__N_135GammaBetaBackwardCUDAKernelTemplateIffLj64ELj1ELj8ELb1ELb0ELb0EEEvllPKT_S5_PKT0_S8_PS3_S9_.has_indirect_call, 0
	.section	.AMDGPU.csdata,"",@progbits
; Kernel info:
; codeLenInByte = 7988
; TotalNumSgprs: 34
; NumVgprs: 95
; ScratchSize: 0
; MemoryBound: 0
; FloatMode: 240
; IeeeMode: 1
; LDSByteSize: 0 bytes/workgroup (compile time only)
; SGPRBlocks: 0
; VGPRBlocks: 11
; NumSGPRsForWavesPerEU: 34
; NumVGPRsForWavesPerEU: 95
; Occupancy: 10
; WaveLimiterHint : 0
; COMPUTE_PGM_RSRC2:SCRATCH_EN: 0
; COMPUTE_PGM_RSRC2:USER_SGPR: 6
; COMPUTE_PGM_RSRC2:TRAP_HANDLER: 0
; COMPUTE_PGM_RSRC2:TGID_X_EN: 1
; COMPUTE_PGM_RSRC2:TGID_Y_EN: 1
; COMPUTE_PGM_RSRC2:TGID_Z_EN: 0
; COMPUTE_PGM_RSRC2:TIDIG_COMP_CNT: 1
	.section	.text._ZN2at6native12_GLOBAL__N_135GammaBetaBackwardCUDAKernelTemplateIffLj64ELj8ELj64ELb0ELb1ELb0EEEvllPKT_S5_PKT0_S8_PS3_S9_,"axG",@progbits,_ZN2at6native12_GLOBAL__N_135GammaBetaBackwardCUDAKernelTemplateIffLj64ELj8ELj64ELb0ELb1ELb0EEEvllPKT_S5_PKT0_S8_PS3_S9_,comdat
	.globl	_ZN2at6native12_GLOBAL__N_135GammaBetaBackwardCUDAKernelTemplateIffLj64ELj8ELj64ELb0ELb1ELb0EEEvllPKT_S5_PKT0_S8_PS3_S9_ ; -- Begin function _ZN2at6native12_GLOBAL__N_135GammaBetaBackwardCUDAKernelTemplateIffLj64ELj8ELj64ELb0ELb1ELb0EEEvllPKT_S5_PKT0_S8_PS3_S9_
	.p2align	8
	.type	_ZN2at6native12_GLOBAL__N_135GammaBetaBackwardCUDAKernelTemplateIffLj64ELj8ELj64ELb0ELb1ELb0EEEvllPKT_S5_PKT0_S8_PS3_S9_,@function
_ZN2at6native12_GLOBAL__N_135GammaBetaBackwardCUDAKernelTemplateIffLj64ELj8ELj64ELb0ELb1ELb0EEEvllPKT_S5_PKT0_S8_PS3_S9_: ; @_ZN2at6native12_GLOBAL__N_135GammaBetaBackwardCUDAKernelTemplateIffLj64ELj8ELj64ELb0ELb1ELb0EEEvllPKT_S5_PKT0_S8_PS3_S9_
; %bb.0:
	s_load_dwordx4 s[20:23], s[4:5], 0x0
	s_lshl_b32 s2, s7, 6
	s_mov_b32 s3, 0
	s_waitcnt lgkmcnt(0)
	v_cmp_gt_i64_e64 s0, s[20:21], s[2:3]
	s_and_b32 vcc_lo, exec_lo, s0
	s_cbranch_vccnz .LBB54_2
; %bb.1:
	s_mov_b32 s0, s3
	s_branch .LBB54_3
.LBB54_2:
	s_mov_b32 s0, -1
.LBB54_3:
	s_load_dwordx4 s[16:19], s[4:5], 0x30
	v_mov_b32_e32 v17, 0
	v_mov_b32_e32 v2, 0
	s_andn2_b32 vcc_lo, exec_lo, s0
	s_cbranch_vccnz .LBB54_10
; %bb.4:
	s_clause 0x2
	s_load_dword s0, s[4:5], 0x4c
	s_load_dword s1, s[4:5], 0x44
	s_load_dwordx8 s[8:15], s[4:5], 0x10
	v_lshlrev_b32_e32 v2, 3, v1
	v_mov_b32_e32 v3, 0
	v_mov_b32_e32 v8, 8
	;; [unrolled: 1-line block ×4, first 2 shown]
	v_add_co_u32 v4, s4, v2, s2
	v_add_co_ci_u32_e64 v5, null, 0, 0, s4
	v_lshl_add_u32 v2, s6, 6, v0
	v_mul_lo_u32 v17, s23, v4
	v_mad_u64_u32 v[6:7], null, s22, v4, 0
	v_mul_lo_u32 v18, s22, v5
	v_mov_b32_e32 v11, 16
	v_mov_b32_e32 v12, 20
	;; [unrolled: 1-line block ×3, first 2 shown]
	s_waitcnt lgkmcnt(0)
	s_and_b32 s0, s0, 0xffff
	s_lshl_b32 s4, s1, 6
	v_mad_u32_u24 v15, v1, s0, v0
	s_mul_i32 s1, s23, s4
	v_add3_u32 v7, v7, v18, v17
	s_mul_hi_u32 s7, s22, s4
	v_mov_b32_e32 v14, 28
	v_and_b32_e32 v19, 31, v15
	v_lshlrev_b64 v[15:16], 2, v[2:3]
	v_lshlrev_b64 v[17:18], 2, v[6:7]
	v_mov_b32_e32 v2, 0
	s_mov_b32 s5, 0
	v_add_co_u32 v4, vcc_lo, v4, v19
	v_add_co_ci_u32_e64 v5, null, 0, v5, vcc_lo
	v_add_co_u32 v15, vcc_lo, v17, v15
	v_cmp_gt_u32_e64 s0, 8, v19
	v_lshlrev_b64 v[6:7], 2, v[4:5]
	v_add_co_ci_u32_e64 v16, null, v18, v16, vcc_lo
	v_mov_b32_e32 v17, 0
	s_add_i32 s27, s7, s1
	s_mul_i32 s26, s22, s4
	s_lshl_b64 s[24:25], s[4:5], 2
	s_lshl_b64 s[26:27], s[26:27], 2
	;; [unrolled: 1-line block ×3, first 2 shown]
	s_branch .LBB54_7
.LBB54_5:                               ;   in Loop: Header=BB54_7 Depth=1
	s_or_b32 exec_lo, exec_lo, s5
.LBB54_6:                               ;   in Loop: Header=BB54_7 Depth=1
	s_or_b32 exec_lo, exec_lo, s1
	v_add_co_u32 v20, vcc_lo, s8, v15
	v_add_co_ci_u32_e64 v21, null, s9, v16, vcc_lo
	v_add_co_u32 v22, vcc_lo, s10, v15
	v_add_co_ci_u32_e64 v23, null, s11, v16, vcc_lo
	global_load_dword v30, v[20:21], off
	v_add_co_u32 v20, vcc_lo, v20, s22
	v_add_co_ci_u32_e64 v21, null, s23, v21, vcc_lo
	v_add_co_u32 v24, vcc_lo, v22, s22
	v_add_co_ci_u32_e64 v25, null, s23, v23, vcc_lo
	;; [unrolled: 2-line block ×4, first 2 shown]
	global_load_dword v31, v[22:23], off
	global_load_dword v32, v[20:21], off
	;; [unrolled: 1-line block ×5, first 2 shown]
	v_add_co_u32 v20, vcc_lo, v28, s22
	v_add_co_ci_u32_e64 v21, null, s23, v29, vcc_lo
	v_add_co_u32 v22, vcc_lo, v26, s22
	v_add_co_ci_u32_e64 v23, null, s23, v27, vcc_lo
	global_load_dword v36, v[20:21], off
	v_add_co_u32 v24, vcc_lo, v22, s22
	v_add_co_ci_u32_e64 v25, null, s23, v23, vcc_lo
	v_add_co_u32 v20, vcc_lo, v20, s22
	v_add_co_ci_u32_e64 v21, null, s23, v21, vcc_lo
	;; [unrolled: 2-line block ×4, first 2 shown]
	s_clause 0x1
	global_load_dword v37, v[22:23], off
	global_load_dword v24, v[24:25], off
	global_load_dword v25, v[20:21], off
	global_load_dword v38, v[26:27], off
	global_load_dword v39, v[28:29], off
	v_add_co_u32 v20, vcc_lo, v28, s22
	v_add_co_ci_u32_e64 v21, null, s23, v29, vcc_lo
	v_add_co_u32 v22, vcc_lo, v26, s22
	v_add_co_ci_u32_e64 v23, null, s23, v27, vcc_lo
	global_load_dword v26, v[20:21], off
	v_add_co_u32 v20, vcc_lo, v20, s22
	v_add_co_ci_u32_e64 v21, null, s23, v21, vcc_lo
	global_load_dword v27, v[22:23], off
	global_load_dword v28, v[20:21], off
	v_add_co_u32 v20, vcc_lo, v22, s22
	v_add_co_ci_u32_e64 v21, null, s23, v23, vcc_lo
	s_waitcnt vmcnt(16)
	ds_bpermute_b32 v22, v9, v19
	s_waitcnt vmcnt(15)
	ds_bpermute_b32 v23, v3, v18
	ds_bpermute_b32 v29, v8, v19
	global_load_dword v20, v[20:21], off
	ds_bpermute_b32 v21, v3, v19
	ds_bpermute_b32 v40, v9, v18
	;; [unrolled: 1-line block ×5, first 2 shown]
	s_add_u32 s2, s2, s4
	v_add_co_u32 v6, vcc_lo, v6, s24
	s_addc_u32 s3, s3, 0
	v_add_co_ci_u32_e64 v7, null, s25, v7, vcc_lo
	v_add_co_u32 v4, vcc_lo, v4, s4
	v_cmp_lt_i64_e64 s1, s[2:3], s[20:21]
	v_add_co_ci_u32_e64 v5, null, 0, v5, vcc_lo
	v_add_co_u32 v15, vcc_lo, v15, s26
	v_add_co_ci_u32_e64 v16, null, s27, v16, vcc_lo
	s_and_b32 vcc_lo, exec_lo, s1
	s_waitcnt vmcnt(15)
	v_add_f32_e32 v17, v17, v30
	s_waitcnt vmcnt(14) lgkmcnt(4)
	v_sub_f32_e32 v21, v31, v21
	ds_bpermute_b32 v31, v8, v18
	s_waitcnt vmcnt(12)
	v_sub_f32_e32 v22, v33, v22
	ds_bpermute_b32 v33, v10, v18
	v_add_f32_e32 v17, v17, v32
	v_mul_f32_e32 v21, v30, v21
	ds_bpermute_b32 v30, v12, v18
	s_waitcnt vmcnt(11)
	v_add_f32_e32 v17, v17, v34
	v_fmac_f32_e32 v2, v21, v23
	v_mul_f32_e32 v21, v32, v22
	s_waitcnt vmcnt(10)
	v_sub_f32_e32 v22, v35, v29
	ds_bpermute_b32 v23, v11, v18
	ds_bpermute_b32 v29, v13, v19
	;; [unrolled: 1-line block ×3, first 2 shown]
	s_waitcnt lgkmcnt(9)
	v_fmac_f32_e32 v2, v21, v40
	v_mul_f32_e32 v21, v34, v22
	s_waitcnt vmcnt(9) lgkmcnt(8)
	v_sub_f32_e32 v22, v36, v41
	s_waitcnt lgkmcnt(5)
	v_fmac_f32_e32 v2, v21, v31
	s_waitcnt vmcnt(8)
	v_mul_f32_e32 v21, v37, v22
	v_add_f32_e32 v17, v17, v37
	s_waitcnt vmcnt(6)
	v_sub_f32_e32 v22, v25, v42
	ds_bpermute_b32 v25, v13, v18
	ds_bpermute_b32 v18, v14, v18
	s_waitcnt lgkmcnt(6)
	v_fmac_f32_e32 v2, v21, v33
	v_add_f32_e32 v17, v17, v24
	v_mul_f32_e32 v21, v24, v22
	s_waitcnt vmcnt(4)
	v_sub_f32_e32 v22, v39, v43
	v_add_f32_e32 v17, v17, v38
	s_waitcnt lgkmcnt(4)
	v_fmac_f32_e32 v2, v21, v23
	v_mul_f32_e32 v21, v38, v22
	s_waitcnt vmcnt(3) lgkmcnt(3)
	v_sub_f32_e32 v22, v26, v29
	v_fmac_f32_e32 v2, v21, v30
	s_waitcnt vmcnt(2)
	v_mul_f32_e32 v21, v27, v22
	s_waitcnt vmcnt(1) lgkmcnt(2)
	v_sub_f32_e32 v19, v28, v19
	v_add_f32_e32 v17, v17, v27
	s_waitcnt lgkmcnt(1)
	v_fmac_f32_e32 v2, v21, v25
	s_waitcnt vmcnt(0)
	v_mul_f32_e32 v19, v20, v19
	v_add_f32_e32 v17, v17, v20
	s_waitcnt lgkmcnt(0)
	v_fmac_f32_e32 v2, v19, v18
	s_cbranch_vccz .LBB54_10
.LBB54_7:                               ; =>This Inner Loop Header: Depth=1
	v_mov_b32_e32 v18, 0
	v_mov_b32_e32 v19, 0
	s_and_saveexec_b32 s1, s0
	s_cbranch_execz .LBB54_6
; %bb.8:                                ;   in Loop: Header=BB54_7 Depth=1
	v_mov_b32_e32 v19, 0
	v_mov_b32_e32 v18, 0
	s_mov_b32 s5, exec_lo
	v_cmpx_gt_i64_e64 s[20:21], v[4:5]
	s_cbranch_execz .LBB54_5
; %bb.9:                                ;   in Loop: Header=BB54_7 Depth=1
	v_add_co_u32 v18, vcc_lo, s12, v6
	v_add_co_ci_u32_e64 v19, null, s13, v7, vcc_lo
	v_add_co_u32 v20, vcc_lo, s14, v6
	v_add_co_ci_u32_e64 v21, null, s15, v7, vcc_lo
	global_load_dword v19, v[18:19], off
	global_load_dword v18, v[20:21], off
	s_branch .LBB54_5
.LBB54_10:
	v_mad_u32_u24 v3, 0x41, v1, v0
	s_mov_b32 s0, exec_lo
	v_lshl_add_u32 v4, v3, 2, 0
	v_sub_nc_u32_e32 v3, v3, v1
	ds_write_b32 v4, v2
	ds_write_b32 v4, v17 offset:2080
	s_waitcnt lgkmcnt(0)
	s_barrier
	buffer_gl0_inv
	v_cmpx_gt_u32_e32 0x800, v3
	s_cbranch_execz .LBB54_42
; %bb.11:
	v_and_b32_e32 v1, 31, v0
	v_lshrrev_b32_e32 v2, 5, v3
                                        ; implicit-def: $vgpr7
	v_cmp_gt_u32_e64 s0, 8, v1
	v_mul_u32_u24_e32 v4, 0x41, v1
                                        ; implicit-def: $vgpr1
	s_and_saveexec_b32 s1, s0
	s_cbranch_execz .LBB54_13
; %bb.12:
	v_add_nc_u32_e32 v1, v2, v4
	v_lshl_add_u32 v1, v1, 2, 0
	ds_read_b32 v7, v1
	ds_read_b32 v1, v1 offset:2080
.LBB54_13:
	s_or_b32 exec_lo, exec_lo, s1
	v_mbcnt_lo_u32_b32 v8, -1, 0
	s_mov_b32 s7, 0
	v_cmp_eq_u32_e64 s1, 0, v0
	s_lshl_b64 s[2:3], s[6:7], 6
	s_cmp_lg_u64 s[16:17], 0
	v_xor_b32_e32 v5, 4, v8
	v_xor_b32_e32 v6, 2, v8
	s_cselect_b32 s5, -1, 0
	s_cmp_lg_u64 s[18:19], 0
	s_cselect_b32 s4, -1, 0
	v_cmp_gt_i32_e32 vcc_lo, 32, v5
	v_cndmask_b32_e32 v5, v8, v5, vcc_lo
	v_cmp_gt_i32_e32 vcc_lo, 32, v6
	v_lshlrev_b32_e32 v5, 2, v5
	v_cndmask_b32_e32 v6, v8, v6, vcc_lo
	s_waitcnt lgkmcnt(1)
	ds_bpermute_b32 v9, v5, v7
	s_waitcnt lgkmcnt(1)
	ds_bpermute_b32 v10, v5, v1
	v_lshlrev_b32_e32 v6, 2, v6
	s_waitcnt lgkmcnt(1)
	v_add_f32_e32 v9, v7, v9
	s_waitcnt lgkmcnt(0)
	v_add_f32_e32 v1, v1, v10
	v_xor_b32_e32 v7, 1, v8
	ds_bpermute_b32 v10, v6, v9
	ds_bpermute_b32 v11, v6, v1
	v_cmp_gt_i32_e32 vcc_lo, 32, v7
	v_cndmask_b32_e32 v7, v8, v7, vcc_lo
	v_lshlrev_b32_e32 v7, 2, v7
	s_waitcnt lgkmcnt(1)
	v_add_f32_e32 v8, v9, v10
	s_waitcnt lgkmcnt(0)
	v_add_f32_e32 v1, v1, v11
	ds_bpermute_b32 v9, v7, v8
	ds_bpermute_b32 v10, v7, v1
	s_waitcnt lgkmcnt(1)
	v_add_f32_e32 v8, v8, v9
	s_waitcnt lgkmcnt(0)
	v_add_f32_e32 v9, v1, v10
	s_and_saveexec_b32 s6, s1
	s_cbranch_execz .LBB54_18
; %bb.14:
	v_mov_b32_e32 v1, s3
	v_or_b32_e32 v0, s2, v2
	s_andn2_b32 vcc_lo, exec_lo, s5
	v_lshlrev_b64 v[0:1], 2, v[0:1]
	s_cbranch_vccnz .LBB54_16
; %bb.15:
	v_add_co_u32 v10, vcc_lo, s16, v0
	v_add_co_ci_u32_e64 v11, null, s17, v1, vcc_lo
	global_store_dword v[10:11], v8, off
.LBB54_16:
	s_andn2_b32 vcc_lo, exec_lo, s4
	s_cbranch_vccnz .LBB54_18
; %bb.17:
	v_add_co_u32 v0, vcc_lo, s18, v0
	v_add_co_ci_u32_e64 v1, null, s19, v1, vcc_lo
	global_store_dword v[0:1], v9, off
.LBB54_18:
	s_or_b32 exec_lo, exec_lo, s6
	v_cmp_gt_u32_e32 vcc_lo, 0x600, v3
	s_and_b32 exec_lo, exec_lo, vcc_lo
	s_cbranch_execz .LBB54_42
; %bb.19:
	s_and_saveexec_b32 s6, s0
	s_cbranch_execz .LBB54_21
; %bb.20:
	v_add_nc_u32_e32 v0, v2, v4
	v_lshl_add_u32 v0, v0, 2, 0
	ds_read_b32 v8, v0 offset:64
	ds_read_b32 v9, v0 offset:2144
.LBB54_21:
	s_or_b32 exec_lo, exec_lo, s6
	s_waitcnt lgkmcnt(1)
	ds_bpermute_b32 v0, v5, v8
	s_waitcnt lgkmcnt(1)
	ds_bpermute_b32 v1, v5, v9
	s_waitcnt lgkmcnt(1)
	v_add_f32_e32 v0, v8, v0
	s_waitcnt lgkmcnt(0)
	v_add_f32_e32 v1, v9, v1
	ds_bpermute_b32 v8, v6, v0
	ds_bpermute_b32 v9, v6, v1
	s_waitcnt lgkmcnt(1)
	v_add_f32_e32 v0, v0, v8
	s_waitcnt lgkmcnt(0)
	v_add_f32_e32 v1, v1, v9
	ds_bpermute_b32 v8, v7, v0
	ds_bpermute_b32 v9, v7, v1
	s_waitcnt lgkmcnt(1)
	v_add_f32_e32 v0, v0, v8
	s_waitcnt lgkmcnt(0)
	v_add_f32_e32 v1, v1, v9
	s_and_saveexec_b32 s6, s1
	s_cbranch_execz .LBB54_26
; %bb.22:
	s_andn2_b32 vcc_lo, exec_lo, s5
	s_cbranch_vccnz .LBB54_24
; %bb.23:
	v_add_co_u32 v8, s7, s2, v2
	v_add_co_ci_u32_e64 v9, null, s3, 0, s7
	v_lshlrev_b64 v[8:9], 2, v[8:9]
	v_add_co_u32 v8, vcc_lo, s16, v8
	v_add_co_ci_u32_e64 v9, null, s17, v9, vcc_lo
	global_store_dword v[8:9], v0, off offset:64
.LBB54_24:
	s_andn2_b32 vcc_lo, exec_lo, s4
	s_cbranch_vccnz .LBB54_26
; %bb.25:
	v_add_co_u32 v8, s7, s2, v2
	v_add_co_ci_u32_e64 v9, null, s3, 0, s7
	v_lshlrev_b64 v[8:9], 2, v[8:9]
	v_add_co_u32 v8, vcc_lo, s18, v8
	v_add_co_ci_u32_e64 v9, null, s19, v9, vcc_lo
	global_store_dword v[8:9], v1, off offset:64
.LBB54_26:
	s_or_b32 exec_lo, exec_lo, s6
	v_cmp_gt_u32_e32 vcc_lo, 0x400, v3
	s_and_b32 exec_lo, exec_lo, vcc_lo
	s_cbranch_execz .LBB54_42
; %bb.27:
	s_and_saveexec_b32 s6, s0
	s_cbranch_execz .LBB54_29
; %bb.28:
	v_add_nc_u32_e32 v0, v2, v4
	v_lshl_add_u32 v1, v0, 2, 0
	ds_read_b32 v0, v1 offset:128
	ds_read_b32 v1, v1 offset:2208
.LBB54_29:
	s_or_b32 exec_lo, exec_lo, s6
	s_waitcnt lgkmcnt(1)
	ds_bpermute_b32 v8, v5, v0
	s_waitcnt lgkmcnt(1)
	ds_bpermute_b32 v9, v5, v1
	s_waitcnt lgkmcnt(1)
	v_add_f32_e32 v0, v0, v8
	s_waitcnt lgkmcnt(0)
	v_add_f32_e32 v1, v1, v9
	ds_bpermute_b32 v8, v6, v0
	ds_bpermute_b32 v9, v6, v1
	s_waitcnt lgkmcnt(1)
	v_add_f32_e32 v0, v0, v8
	s_waitcnt lgkmcnt(0)
	v_add_f32_e32 v1, v1, v9
	ds_bpermute_b32 v8, v7, v0
	ds_bpermute_b32 v9, v7, v1
	s_waitcnt lgkmcnt(1)
	v_add_f32_e32 v0, v0, v8
	s_waitcnt lgkmcnt(0)
	v_add_f32_e32 v1, v1, v9
	s_and_saveexec_b32 s6, s1
	s_cbranch_execz .LBB54_34
; %bb.30:
	s_andn2_b32 vcc_lo, exec_lo, s5
	s_cbranch_vccnz .LBB54_32
; %bb.31:
	v_add_co_u32 v8, s7, s2, v2
	v_add_co_ci_u32_e64 v9, null, s3, 0, s7
	v_lshlrev_b64 v[8:9], 2, v[8:9]
	v_add_co_u32 v8, vcc_lo, s16, v8
	v_add_co_ci_u32_e64 v9, null, s17, v9, vcc_lo
	global_store_dword v[8:9], v0, off offset:128
.LBB54_32:
	s_andn2_b32 vcc_lo, exec_lo, s4
	s_cbranch_vccnz .LBB54_34
; %bb.33:
	v_add_co_u32 v8, s7, s2, v2
	v_add_co_ci_u32_e64 v9, null, s3, 0, s7
	v_lshlrev_b64 v[8:9], 2, v[8:9]
	v_add_co_u32 v8, vcc_lo, s18, v8
	v_add_co_ci_u32_e64 v9, null, s19, v9, vcc_lo
	global_store_dword v[8:9], v1, off offset:128
.LBB54_34:
	s_or_b32 exec_lo, exec_lo, s6
	v_cmp_gt_u32_e32 vcc_lo, 0x200, v3
	s_and_b32 exec_lo, exec_lo, vcc_lo
	s_cbranch_execz .LBB54_42
; %bb.35:
	s_and_saveexec_b32 s6, s0
	s_cbranch_execz .LBB54_37
; %bb.36:
	v_add_nc_u32_e32 v0, v2, v4
	v_lshl_add_u32 v1, v0, 2, 0
	ds_read_b32 v0, v1 offset:192
	ds_read_b32 v1, v1 offset:2272
.LBB54_37:
	s_or_b32 exec_lo, exec_lo, s6
	s_waitcnt lgkmcnt(1)
	ds_bpermute_b32 v3, v5, v0
	s_waitcnt lgkmcnt(1)
	ds_bpermute_b32 v4, v5, v1
	s_waitcnt lgkmcnt(1)
	v_add_f32_e32 v0, v0, v3
	s_waitcnt lgkmcnt(0)
	v_add_f32_e32 v1, v1, v4
	ds_bpermute_b32 v3, v6, v0
	ds_bpermute_b32 v4, v6, v1
	s_waitcnt lgkmcnt(1)
	v_add_f32_e32 v3, v0, v3
	s_waitcnt lgkmcnt(0)
	v_add_f32_e32 v0, v1, v4
	ds_bpermute_b32 v4, v7, v3
	ds_bpermute_b32 v1, v7, v0
	s_and_b32 exec_lo, exec_lo, s1
	s_cbranch_execz .LBB54_42
; %bb.38:
	s_andn2_b32 vcc_lo, exec_lo, s5
	s_cbranch_vccnz .LBB54_40
; %bb.39:
	v_add_co_u32 v5, s0, s2, v2
	v_add_co_ci_u32_e64 v6, null, s3, 0, s0
	s_waitcnt lgkmcnt(1)
	v_add_f32_e32 v7, v3, v4
	v_lshlrev_b64 v[5:6], 2, v[5:6]
	v_add_co_u32 v3, vcc_lo, s16, v5
	v_add_co_ci_u32_e64 v4, null, s17, v6, vcc_lo
	global_store_dword v[3:4], v7, off offset:192
.LBB54_40:
	s_andn2_b32 vcc_lo, exec_lo, s4
	s_cbranch_vccnz .LBB54_42
; %bb.41:
	v_add_co_u32 v2, s0, s2, v2
	v_add_co_ci_u32_e64 v3, null, s3, 0, s0
	s_waitcnt lgkmcnt(0)
	v_add_f32_e32 v4, v0, v1
	v_lshlrev_b64 v[2:3], 2, v[2:3]
	v_add_co_u32 v0, vcc_lo, s18, v2
	v_add_co_ci_u32_e64 v1, null, s19, v3, vcc_lo
	global_store_dword v[0:1], v4, off offset:192
.LBB54_42:
	s_endpgm
	.section	.rodata,"a",@progbits
	.p2align	6, 0x0
	.amdhsa_kernel _ZN2at6native12_GLOBAL__N_135GammaBetaBackwardCUDAKernelTemplateIffLj64ELj8ELj64ELb0ELb1ELb0EEEvllPKT_S5_PKT0_S8_PS3_S9_
		.amdhsa_group_segment_fixed_size 0
		.amdhsa_private_segment_fixed_size 0
		.amdhsa_kernarg_size 320
		.amdhsa_user_sgpr_count 6
		.amdhsa_user_sgpr_private_segment_buffer 1
		.amdhsa_user_sgpr_dispatch_ptr 0
		.amdhsa_user_sgpr_queue_ptr 0
		.amdhsa_user_sgpr_kernarg_segment_ptr 1
		.amdhsa_user_sgpr_dispatch_id 0
		.amdhsa_user_sgpr_flat_scratch_init 0
		.amdhsa_user_sgpr_private_segment_size 0
		.amdhsa_wavefront_size32 1
		.amdhsa_uses_dynamic_stack 0
		.amdhsa_system_sgpr_private_segment_wavefront_offset 0
		.amdhsa_system_sgpr_workgroup_id_x 1
		.amdhsa_system_sgpr_workgroup_id_y 1
		.amdhsa_system_sgpr_workgroup_id_z 0
		.amdhsa_system_sgpr_workgroup_info 0
		.amdhsa_system_vgpr_workitem_id 1
		.amdhsa_next_free_vgpr 44
		.amdhsa_next_free_sgpr 28
		.amdhsa_reserve_vcc 1
		.amdhsa_reserve_flat_scratch 0
		.amdhsa_float_round_mode_32 0
		.amdhsa_float_round_mode_16_64 0
		.amdhsa_float_denorm_mode_32 3
		.amdhsa_float_denorm_mode_16_64 3
		.amdhsa_dx10_clamp 1
		.amdhsa_ieee_mode 1
		.amdhsa_fp16_overflow 0
		.amdhsa_workgroup_processor_mode 1
		.amdhsa_memory_ordered 1
		.amdhsa_forward_progress 1
		.amdhsa_shared_vgpr_count 0
		.amdhsa_exception_fp_ieee_invalid_op 0
		.amdhsa_exception_fp_denorm_src 0
		.amdhsa_exception_fp_ieee_div_zero 0
		.amdhsa_exception_fp_ieee_overflow 0
		.amdhsa_exception_fp_ieee_underflow 0
		.amdhsa_exception_fp_ieee_inexact 0
		.amdhsa_exception_int_div_zero 0
	.end_amdhsa_kernel
	.section	.text._ZN2at6native12_GLOBAL__N_135GammaBetaBackwardCUDAKernelTemplateIffLj64ELj8ELj64ELb0ELb1ELb0EEEvllPKT_S5_PKT0_S8_PS3_S9_,"axG",@progbits,_ZN2at6native12_GLOBAL__N_135GammaBetaBackwardCUDAKernelTemplateIffLj64ELj8ELj64ELb0ELb1ELb0EEEvllPKT_S5_PKT0_S8_PS3_S9_,comdat
.Lfunc_end54:
	.size	_ZN2at6native12_GLOBAL__N_135GammaBetaBackwardCUDAKernelTemplateIffLj64ELj8ELj64ELb0ELb1ELb0EEEvllPKT_S5_PKT0_S8_PS3_S9_, .Lfunc_end54-_ZN2at6native12_GLOBAL__N_135GammaBetaBackwardCUDAKernelTemplateIffLj64ELj8ELj64ELb0ELb1ELb0EEEvllPKT_S5_PKT0_S8_PS3_S9_
                                        ; -- End function
	.set _ZN2at6native12_GLOBAL__N_135GammaBetaBackwardCUDAKernelTemplateIffLj64ELj8ELj64ELb0ELb1ELb0EEEvllPKT_S5_PKT0_S8_PS3_S9_.num_vgpr, 44
	.set _ZN2at6native12_GLOBAL__N_135GammaBetaBackwardCUDAKernelTemplateIffLj64ELj8ELj64ELb0ELb1ELb0EEEvllPKT_S5_PKT0_S8_PS3_S9_.num_agpr, 0
	.set _ZN2at6native12_GLOBAL__N_135GammaBetaBackwardCUDAKernelTemplateIffLj64ELj8ELj64ELb0ELb1ELb0EEEvllPKT_S5_PKT0_S8_PS3_S9_.numbered_sgpr, 28
	.set _ZN2at6native12_GLOBAL__N_135GammaBetaBackwardCUDAKernelTemplateIffLj64ELj8ELj64ELb0ELb1ELb0EEEvllPKT_S5_PKT0_S8_PS3_S9_.num_named_barrier, 0
	.set _ZN2at6native12_GLOBAL__N_135GammaBetaBackwardCUDAKernelTemplateIffLj64ELj8ELj64ELb0ELb1ELb0EEEvllPKT_S5_PKT0_S8_PS3_S9_.private_seg_size, 0
	.set _ZN2at6native12_GLOBAL__N_135GammaBetaBackwardCUDAKernelTemplateIffLj64ELj8ELj64ELb0ELb1ELb0EEEvllPKT_S5_PKT0_S8_PS3_S9_.uses_vcc, 1
	.set _ZN2at6native12_GLOBAL__N_135GammaBetaBackwardCUDAKernelTemplateIffLj64ELj8ELj64ELb0ELb1ELb0EEEvllPKT_S5_PKT0_S8_PS3_S9_.uses_flat_scratch, 0
	.set _ZN2at6native12_GLOBAL__N_135GammaBetaBackwardCUDAKernelTemplateIffLj64ELj8ELj64ELb0ELb1ELb0EEEvllPKT_S5_PKT0_S8_PS3_S9_.has_dyn_sized_stack, 0
	.set _ZN2at6native12_GLOBAL__N_135GammaBetaBackwardCUDAKernelTemplateIffLj64ELj8ELj64ELb0ELb1ELb0EEEvllPKT_S5_PKT0_S8_PS3_S9_.has_recursion, 0
	.set _ZN2at6native12_GLOBAL__N_135GammaBetaBackwardCUDAKernelTemplateIffLj64ELj8ELj64ELb0ELb1ELb0EEEvllPKT_S5_PKT0_S8_PS3_S9_.has_indirect_call, 0
	.section	.AMDGPU.csdata,"",@progbits
; Kernel info:
; codeLenInByte = 2500
; TotalNumSgprs: 30
; NumVgprs: 44
; ScratchSize: 0
; MemoryBound: 0
; FloatMode: 240
; IeeeMode: 1
; LDSByteSize: 0 bytes/workgroup (compile time only)
; SGPRBlocks: 0
; VGPRBlocks: 5
; NumSGPRsForWavesPerEU: 30
; NumVGPRsForWavesPerEU: 44
; Occupancy: 16
; WaveLimiterHint : 0
; COMPUTE_PGM_RSRC2:SCRATCH_EN: 0
; COMPUTE_PGM_RSRC2:USER_SGPR: 6
; COMPUTE_PGM_RSRC2:TRAP_HANDLER: 0
; COMPUTE_PGM_RSRC2:TGID_X_EN: 1
; COMPUTE_PGM_RSRC2:TGID_Y_EN: 1
; COMPUTE_PGM_RSRC2:TGID_Z_EN: 0
; COMPUTE_PGM_RSRC2:TIDIG_COMP_CNT: 1
	.section	.text._ZN2at6native12_GLOBAL__N_135GammaBetaBackwardCUDAKernelTemplateIffLj64ELj8ELj64ELb0ELb0ELb0EEEvllPKT_S5_PKT0_S8_PS3_S9_,"axG",@progbits,_ZN2at6native12_GLOBAL__N_135GammaBetaBackwardCUDAKernelTemplateIffLj64ELj8ELj64ELb0ELb0ELb0EEEvllPKT_S5_PKT0_S8_PS3_S9_,comdat
	.globl	_ZN2at6native12_GLOBAL__N_135GammaBetaBackwardCUDAKernelTemplateIffLj64ELj8ELj64ELb0ELb0ELb0EEEvllPKT_S5_PKT0_S8_PS3_S9_ ; -- Begin function _ZN2at6native12_GLOBAL__N_135GammaBetaBackwardCUDAKernelTemplateIffLj64ELj8ELj64ELb0ELb0ELb0EEEvllPKT_S5_PKT0_S8_PS3_S9_
	.p2align	8
	.type	_ZN2at6native12_GLOBAL__N_135GammaBetaBackwardCUDAKernelTemplateIffLj64ELj8ELj64ELb0ELb0ELb0EEEvllPKT_S5_PKT0_S8_PS3_S9_,@function
_ZN2at6native12_GLOBAL__N_135GammaBetaBackwardCUDAKernelTemplateIffLj64ELj8ELj64ELb0ELb0ELb0EEEvllPKT_S5_PKT0_S8_PS3_S9_: ; @_ZN2at6native12_GLOBAL__N_135GammaBetaBackwardCUDAKernelTemplateIffLj64ELj8ELj64ELb0ELb0ELb0EEEvllPKT_S5_PKT0_S8_PS3_S9_
; %bb.0:
	s_clause 0x1
	s_load_dwordx8 s[12:19], s[4:5], 0x0
	s_load_dwordx4 s[20:23], s[4:5], 0x20
	s_lshl_b32 s30, s6, 6
	s_mov_b32 s11, 0
	s_or_b32 s10, s30, 63
	s_waitcnt lgkmcnt(0)
	v_cmp_le_i64_e64 s0, s[14:15], s[10:11]
	s_lshl_b32 s10, s7, 6
	v_cmp_gt_i64_e64 s7, s[12:13], s[10:11]
	s_and_b32 vcc_lo, exec_lo, s0
	v_cndmask_b32_e64 v2, 0, 1, s7
	v_cmp_ne_u32_e64 s0, 1, v2
	s_cbranch_vccz .LBB55_49
; %bb.1:
	v_mov_b32_e32 v49, 0
	v_mov_b32_e32 v55, 0
	s_and_b32 vcc_lo, exec_lo, s0
	s_cbranch_vccnz .LBB55_50
; %bb.2:
	v_lshlrev_b32_e32 v21, 3, v1
	v_mov_b32_e32 v2, 0
	v_add_nc_u32_e32 v5, s30, v0
	s_load_dword s1, s[4:5], 0x44
	s_add_u32 s2, s4, 64
	v_add_co_u32 v11, s0, v21, s10
	v_add_co_ci_u32_e64 v12, null, 0, 0, s0
	v_mov_b32_e32 v6, v2
	v_mul_lo_u32 v7, s15, v11
	v_mad_u64_u32 v[3:4], null, s14, v11, 0
	v_mul_lo_u32 v8, s14, v12
	v_cmp_gt_i64_e64 s0, s[14:15], v[5:6]
	v_lshlrev_b64 v[19:20], 2, v[5:6]
	s_addc_u32 s3, s5, 0
	v_mov_b32_e32 v56, 0
	v_mov_b32_e32 v49, 0
	s_mov_b64 s[26:27], s[10:11]
	v_add3_u32 v4, v4, v8, v7
	v_add_co_u32 v7, vcc_lo, v11, 7
	v_add_co_ci_u32_e64 v8, null, 0, v12, vcc_lo
	v_lshlrev_b64 v[5:6], 2, v[3:4]
	v_mul_lo_u32 v13, s15, v7
	s_waitcnt lgkmcnt(0)
	s_lshl_b32 s28, s1, 6
	v_mul_lo_u32 v14, s14, v8
	v_mad_u64_u32 v[7:8], null, s14, v7, 0
	v_add_co_u32 v22, vcc_lo, s16, v5
	v_add_co_ci_u32_e64 v23, null, s17, v6, vcc_lo
	v_add_co_u32 v9, vcc_lo, v11, 6
	v_add_co_ci_u32_e64 v10, null, 0, v12, vcc_lo
	v_add_co_u32 v24, vcc_lo, s18, v5
	v_mul_lo_u32 v15, s15, v9
	v_mul_lo_u32 v16, s14, v10
	v_mad_u64_u32 v[9:10], null, s14, v9, 0
	v_add3_u32 v8, v8, v14, v13
	v_add_co_ci_u32_e64 v25, null, s19, v6, vcc_lo
	v_add_co_u32 v13, vcc_lo, v11, 5
	v_add_co_ci_u32_e64 v14, null, 0, v12, vcc_lo
	v_add3_u32 v10, v10, v16, v15
	v_lshlrev_b64 v[5:6], 2, v[7:8]
	v_mul_lo_u32 v15, s15, v13
	v_mul_lo_u32 v14, s14, v14
	s_mul_i32 s1, s15, s28
	v_lshlrev_b64 v[7:8], 2, v[9:10]
	v_mad_u64_u32 v[9:10], null, s14, v13, 0
	v_add_co_u32 v26, vcc_lo, s16, v5
	v_add_co_ci_u32_e64 v27, null, s17, v6, vcc_lo
	v_add_co_u32 v28, vcc_lo, s18, v5
	v_add_co_ci_u32_e64 v29, null, s19, v6, vcc_lo
	v_add_co_u32 v30, vcc_lo, s16, v7
	v_add3_u32 v10, v10, v14, v15
	s_mul_hi_u32 s8, s14, s28
	v_add_co_ci_u32_e64 v31, null, s17, v8, vcc_lo
	v_add_co_u32 v13, vcc_lo, v11, 4
	s_add_i32 s9, s8, s1
	v_add_co_u32 v32, s1, s18, v7
	v_add_co_ci_u32_e64 v7, null, 0, v12, vcc_lo
	v_lshlrev_b64 v[5:6], 2, v[9:10]
	v_add_co_u32 v9, vcc_lo, v11, 3
	v_add_co_ci_u32_e64 v10, null, 0, v12, vcc_lo
	v_add_co_ci_u32_e64 v33, null, s19, v8, s1
	v_mul_lo_u32 v14, s15, v13
	v_mul_lo_u32 v15, s14, v7
	v_mad_u64_u32 v[7:8], null, s14, v13, 0
	v_mul_lo_u32 v13, s15, v9
	v_mul_lo_u32 v16, s14, v10
	v_mad_u64_u32 v[9:10], null, s14, v9, 0
	v_add_co_u32 v34, vcc_lo, s16, v5
	v_add_co_ci_u32_e64 v35, null, s17, v6, vcc_lo
	v_add3_u32 v8, v8, v15, v14
	v_add_co_u32 v36, vcc_lo, s18, v5
	v_add_co_ci_u32_e64 v37, null, s19, v6, vcc_lo
	v_add_co_u32 v11, vcc_lo, v11, 2
	v_add3_u32 v10, v10, v16, v13
	v_add_co_ci_u32_e64 v12, null, 0, v12, vcc_lo
	v_lshlrev_b64 v[5:6], 2, v[7:8]
	v_mul_lo_u32 v13, s15, v11
	v_lshlrev_b64 v[7:8], 2, v[9:10]
	v_mul_lo_u32 v12, s14, v12
	v_mad_u64_u32 v[9:10], null, s14, v11, 0
	v_add_co_u32 v38, vcc_lo, s16, v5
	v_add_co_ci_u32_e64 v39, null, s17, v6, vcc_lo
	v_add_co_u32 v40, vcc_lo, s18, v5
	v_add_co_ci_u32_e64 v41, null, s19, v6, vcc_lo
	;; [unrolled: 2-line block ×3, first 2 shown]
	v_add3_u32 v10, v10, v12, v13
	v_add_co_u32 v44, vcc_lo, s18, v7
	v_add_co_ci_u32_e64 v45, null, s19, v8, vcc_lo
	v_add_co_u32 v3, vcc_lo, v3, s14
	v_add_co_ci_u32_e64 v4, null, s15, v4, vcc_lo
	v_lshlrev_b64 v[5:6], 2, v[9:10]
	s_mul_i32 s8, s14, s28
	v_lshlrev_b64 v[3:4], 2, v[3:4]
	s_lshl_b64 s[8:9], s[8:9], 2
	s_add_u32 s24, s10, 63
	v_add_co_u32 v46, vcc_lo, s16, v5
	v_add_co_ci_u32_e64 v47, null, s17, v6, vcc_lo
	v_add_co_u32 v48, vcc_lo, s18, v5
	v_add_co_ci_u32_e64 v50, null, s19, v6, vcc_lo
	;; [unrolled: 2-line block ×4, first 2 shown]
	s_addc_u32 s25, 0, 0
.LBB55_3:                               ; =>This Inner Loop Header: Depth=1
	v_cmp_ge_i64_e64 s1, s[24:25], s[12:13]
	v_add_co_u32 v57, s29, v21, s24
	v_add_co_ci_u32_e64 v58, null, 0, s25, s29
                                        ; implicit-def: $vgpr3_vgpr4_vgpr5_vgpr6_vgpr7_vgpr8_vgpr9_vgpr10
                                        ; implicit-def: $vgpr60
                                        ; implicit-def: $vgpr11_vgpr12_vgpr13_vgpr14_vgpr15_vgpr16_vgpr17_vgpr18
                                        ; implicit-def: $vgpr3
	s_and_b32 vcc_lo, exec_lo, s1
	s_mov_b32 s1, -1
                                        ; implicit-def: $vgpr4
                                        ; implicit-def: $vgpr55
	s_cbranch_vccz .LBB55_25
; %bb.4:                                ;   in Loop: Header=BB55_3 Depth=1
	s_load_dword s1, s[2:3], 0xc
	v_mov_b32_e32 v60, 0
	v_mov_b32_e32 v59, 0
	s_waitcnt lgkmcnt(0)
	s_and_b32 s1, s1, 0xffff
	v_mad_u32_u24 v3, v1, s1, v0
	s_mov_b32 s1, exec_lo
	v_and_b32_e32 v3, 31, v3
	v_cmpx_gt_u32_e32 8, v3
	s_cbranch_execz .LBB55_8
; %bb.5:                                ;   in Loop: Header=BB55_3 Depth=1
	v_add_co_u32 v3, vcc_lo, v57, v3
	v_add_co_ci_u32_e64 v4, null, 0, v58, vcc_lo
	v_mov_b32_e32 v59, 0
	v_add_co_u32 v3, vcc_lo, 0xffffffc1, v3
	v_add_co_ci_u32_e64 v4, null, -1, v4, vcc_lo
	v_mov_b32_e32 v60, 0
	s_mov_b32 s29, exec_lo
	v_cmpx_gt_i64_e64 s[12:13], v[3:4]
	s_cbranch_execz .LBB55_7
; %bb.6:                                ;   in Loop: Header=BB55_3 Depth=1
	v_lshlrev_b64 v[3:4], 2, v[3:4]
	v_add_co_u32 v5, vcc_lo, s20, v3
	v_add_co_ci_u32_e64 v6, null, s21, v4, vcc_lo
	v_add_co_u32 v3, vcc_lo, s22, v3
	v_add_co_ci_u32_e64 v4, null, s23, v4, vcc_lo
	global_load_dword v59, v[5:6], off
	global_load_dword v60, v[3:4], off
.LBB55_7:                               ;   in Loop: Header=BB55_3 Depth=1
	s_or_b32 exec_lo, exec_lo, s29
.LBB55_8:                               ;   in Loop: Header=BB55_3 Depth=1
	s_or_b32 exec_lo, exec_lo, s1
	v_add_co_u32 v10, vcc_lo, 0xffffffc1, v57
	v_add_co_ci_u32_e64 v11, null, -1, v58, vcc_lo
	v_mov_b32_e32 v9, v2
	v_mov_b32_e32 v3, v2
	;; [unrolled: 1-line block ×7, first 2 shown]
	v_cmp_gt_i64_e32 vcc_lo, s[12:13], v[10:11]
	v_mov_b32_e32 v18, v9
	v_mov_b32_e32 v15, v6
	;; [unrolled: 1-line block ×16, first 2 shown]
	s_and_b32 s29, s0, vcc_lo
	s_and_saveexec_b32 s1, s29
	s_cbranch_execz .LBB55_10
; %bb.9:                                ;   in Loop: Header=BB55_3 Depth=1
	v_add_co_u32 v3, vcc_lo, v22, v19
	v_add_co_ci_u32_e64 v4, null, v23, v20, vcc_lo
	v_add_co_u32 v5, vcc_lo, v24, v19
	v_add_co_ci_u32_e64 v6, null, v25, v20, vcc_lo
	global_load_dword v3, v[3:4], off
	global_load_dword v11, v[5:6], off
	v_mov_b32_e32 v4, v2
	v_mov_b32_e32 v5, v2
	v_mov_b32_e32 v6, v2
	v_mov_b32_e32 v7, v2
	v_mov_b32_e32 v8, v2
	v_mov_b32_e32 v9, v2
	v_mov_b32_e32 v10, v2
	v_mov_b32_e32 v12, v2
	v_mov_b32_e32 v13, v2
	v_mov_b32_e32 v14, v2
	v_mov_b32_e32 v15, v2
	v_mov_b32_e32 v16, v2
	v_mov_b32_e32 v17, v2
	v_mov_b32_e32 v18, v2
.LBB55_10:                              ;   in Loop: Header=BB55_3 Depth=1
	s_or_b32 exec_lo, exec_lo, s1
	v_add_co_u32 v61, vcc_lo, 0xffffffc2, v57
	v_add_co_ci_u32_e64 v62, null, -1, v58, vcc_lo
	v_cmp_gt_i64_e32 vcc_lo, s[12:13], v[61:62]
	s_and_b32 s29, s0, vcc_lo
	s_and_saveexec_b32 s1, s29
	s_cbranch_execz .LBB55_12
; %bb.11:                               ;   in Loop: Header=BB55_3 Depth=1
	v_add_co_u32 v61, vcc_lo, v51, v19
	v_add_co_ci_u32_e64 v62, null, v52, v20, vcc_lo
	v_add_co_u32 v63, vcc_lo, v53, v19
	v_add_co_ci_u32_e64 v64, null, v54, v20, vcc_lo
	global_load_dword v4, v[61:62], off
	global_load_dword v12, v[63:64], off
.LBB55_12:                              ;   in Loop: Header=BB55_3 Depth=1
	s_or_b32 exec_lo, exec_lo, s1
	v_add_co_u32 v61, vcc_lo, 0xffffffc3, v57
	v_add_co_ci_u32_e64 v62, null, -1, v58, vcc_lo
	v_cmp_gt_i64_e32 vcc_lo, s[12:13], v[61:62]
	s_and_b32 s29, s0, vcc_lo
	s_and_saveexec_b32 s1, s29
	s_cbranch_execz .LBB55_14
; %bb.13:                               ;   in Loop: Header=BB55_3 Depth=1
	v_add_co_u32 v61, vcc_lo, v46, v19
	v_add_co_ci_u32_e64 v62, null, v47, v20, vcc_lo
	v_add_co_u32 v63, vcc_lo, v48, v19
	v_add_co_ci_u32_e64 v64, null, v50, v20, vcc_lo
	global_load_dword v5, v[61:62], off
	global_load_dword v13, v[63:64], off
.LBB55_14:                              ;   in Loop: Header=BB55_3 Depth=1
	;; [unrolled: 15-line block ×7, first 2 shown]
	s_or_b32 exec_lo, exec_lo, s1
	s_waitcnt vmcnt(1)
	ds_bpermute_b32 v55, v2, v59
	ds_bpermute_b32 v61, v2, v59 offset:4
	ds_bpermute_b32 v62, v2, v59 offset:8
	s_waitcnt vmcnt(0)
	ds_bpermute_b32 v63, v2, v60
	ds_bpermute_b32 v64, v2, v59 offset:12
	ds_bpermute_b32 v65, v2, v60 offset:4
	;; [unrolled: 1-line block ×4, first 2 shown]
	v_add_f32_e32 v68, v49, v3
	ds_bpermute_b32 v69, v2, v60 offset:12
	ds_bpermute_b32 v70, v2, v59 offset:20
	s_mov_b32 s1, 0
	s_waitcnt lgkmcnt(9)
	v_sub_f32_e32 v11, v11, v55
	s_waitcnt lgkmcnt(8)
	v_sub_f32_e32 v12, v12, v61
	ds_bpermute_b32 v61, v2, v59 offset:24
	s_waitcnt lgkmcnt(8)
	v_sub_f32_e32 v13, v13, v62
	ds_bpermute_b32 v62, v2, v60 offset:20
	v_mul_f32_e32 v3, v3, v11
	ds_bpermute_b32 v11, v2, v60 offset:16
	v_mul_f32_e32 v12, v4, v12
	v_mul_f32_e32 v13, v5, v13
	v_add_f32_e32 v4, v4, v68
	s_waitcnt lgkmcnt(9)
	v_fma_f32 v55, v3, v63, v56
	s_waitcnt lgkmcnt(8)
	v_sub_f32_e32 v3, v14, v64
	ds_bpermute_b32 v63, v2, v60 offset:24
	ds_bpermute_b32 v60, v2, v60 offset:28
	v_add_f32_e32 v4, v5, v4
	s_waitcnt lgkmcnt(9)
	v_fmac_f32_e32 v55, v12, v65
	s_waitcnt lgkmcnt(8)
	v_sub_f32_e32 v12, v15, v66
	v_mul_f32_e32 v14, v6, v3
	ds_bpermute_b32 v3, v2, v59 offset:28
	s_waitcnt lgkmcnt(6)
	v_sub_f32_e32 v5, v16, v70
	v_fmac_f32_e32 v55, v13, v67
	v_mul_f32_e32 v12, v7, v12
	v_add_f32_e32 v4, v6, v4
	s_waitcnt lgkmcnt(5)
	v_sub_f32_e32 v6, v17, v61
	v_mul_f32_e32 v5, v8, v5
	v_fmac_f32_e32 v55, v14, v69
	v_add_f32_e32 v4, v7, v4
	v_mul_f32_e32 v6, v9, v6
	s_waitcnt lgkmcnt(3)
	v_fmac_f32_e32 v55, v12, v11
	v_add_f32_e32 v4, v8, v4
	v_fmac_f32_e32 v55, v5, v62
	v_add_f32_e32 v4, v9, v4
	s_waitcnt lgkmcnt(2)
	v_fmac_f32_e32 v55, v6, v63
.LBB55_25:                              ;   in Loop: Header=BB55_3 Depth=1
	s_and_b32 vcc_lo, exec_lo, s1
	s_cbranch_vccz .LBB55_40
; %bb.26:                               ;   in Loop: Header=BB55_3 Depth=1
	s_load_dword s1, s[2:3], 0x0
	v_mov_b32_e32 v59, 0
	v_mov_b32_e32 v55, 0
	s_waitcnt lgkmcnt(0)
	s_cmp_lt_u32 s6, s1
	s_cselect_b32 s1, 12, 18
	s_add_u32 s34, s2, s1
	s_addc_u32 s35, s3, 0
	s_mov_b32 s1, exec_lo
	global_load_ushort v3, v2, s[34:35]
	s_waitcnt vmcnt(0)
	v_mad_u32_u24 v3, v1, v3, v0
	v_and_b32_e32 v3, 31, v3
	v_cmpx_gt_u32_e32 8, v3
	s_cbranch_execz .LBB55_30
; %bb.27:                               ;   in Loop: Header=BB55_3 Depth=1
	v_add_co_u32 v3, vcc_lo, v57, v3
	v_add_co_ci_u32_e64 v4, null, 0, v58, vcc_lo
	v_mov_b32_e32 v55, 0
	v_add_co_u32 v3, vcc_lo, 0xffffffc1, v3
	v_add_co_ci_u32_e64 v4, null, -1, v4, vcc_lo
	v_mov_b32_e32 v59, 0
	s_mov_b32 s29, exec_lo
	v_cmpx_gt_i64_e64 s[12:13], v[3:4]
	s_cbranch_execz .LBB55_29
; %bb.28:                               ;   in Loop: Header=BB55_3 Depth=1
	v_lshlrev_b64 v[3:4], 2, v[3:4]
	v_add_co_u32 v5, vcc_lo, s20, v3
	v_add_co_ci_u32_e64 v6, null, s21, v4, vcc_lo
	v_add_co_u32 v3, vcc_lo, s22, v3
	v_add_co_ci_u32_e64 v4, null, s23, v4, vcc_lo
	global_load_dword v55, v[5:6], off
	global_load_dword v59, v[3:4], off
.LBB55_29:                              ;   in Loop: Header=BB55_3 Depth=1
	s_or_b32 exec_lo, exec_lo, s29
.LBB55_30:                              ;   in Loop: Header=BB55_3 Depth=1
	s_or_b32 exec_lo, exec_lo, s1
	v_mov_b32_e32 v9, v2
	v_mov_b32_e32 v3, v2
	;; [unrolled: 1-line block ×23, first 2 shown]
	s_and_saveexec_b32 s1, s0
	s_cbranch_execnz .LBB55_42
; %bb.31:                               ;   in Loop: Header=BB55_3 Depth=1
	s_or_b32 exec_lo, exec_lo, s1
	s_and_saveexec_b32 s1, s0
	s_cbranch_execnz .LBB55_43
.LBB55_32:                              ;   in Loop: Header=BB55_3 Depth=1
	s_or_b32 exec_lo, exec_lo, s1
	s_and_saveexec_b32 s1, s0
	s_cbranch_execnz .LBB55_44
.LBB55_33:                              ;   in Loop: Header=BB55_3 Depth=1
	s_or_b32 exec_lo, exec_lo, s1
	s_and_saveexec_b32 s1, s0
	s_cbranch_execnz .LBB55_45
.LBB55_34:                              ;   in Loop: Header=BB55_3 Depth=1
	s_or_b32 exec_lo, exec_lo, s1
	s_and_saveexec_b32 s1, s0
	s_cbranch_execnz .LBB55_46
.LBB55_35:                              ;   in Loop: Header=BB55_3 Depth=1
	s_or_b32 exec_lo, exec_lo, s1
	s_and_saveexec_b32 s1, s0
	s_cbranch_execnz .LBB55_47
.LBB55_36:                              ;   in Loop: Header=BB55_3 Depth=1
	s_or_b32 exec_lo, exec_lo, s1
	s_and_saveexec_b32 s1, s0
	s_cbranch_execnz .LBB55_48
.LBB55_37:                              ;   in Loop: Header=BB55_3 Depth=1
	s_or_b32 exec_lo, exec_lo, s1
	s_and_saveexec_b32 s1, s0
	s_cbranch_execz .LBB55_39
.LBB55_38:                              ;   in Loop: Header=BB55_3 Depth=1
	v_add_co_u32 v57, vcc_lo, v26, v19
	v_add_co_ci_u32_e64 v58, null, v27, v20, vcc_lo
	v_add_co_u32 v60, vcc_lo, v28, v19
	v_add_co_ci_u32_e64 v61, null, v29, v20, vcc_lo
	global_load_dword v10, v[57:58], off
	global_load_dword v18, v[60:61], off
.LBB55_39:                              ;   in Loop: Header=BB55_3 Depth=1
	s_or_b32 exec_lo, exec_lo, s1
	s_waitcnt vmcnt(1)
	ds_bpermute_b32 v57, v2, v55
	ds_bpermute_b32 v58, v2, v55 offset:4
	ds_bpermute_b32 v60, v2, v55 offset:8
	s_waitcnt vmcnt(0)
	ds_bpermute_b32 v61, v2, v59
	ds_bpermute_b32 v62, v2, v55 offset:12
	ds_bpermute_b32 v63, v2, v59 offset:4
	;; [unrolled: 1-line block ×5, first 2 shown]
	s_waitcnt lgkmcnt(8)
	v_sub_f32_e32 v11, v11, v57
	ds_bpermute_b32 v57, v2, v59 offset:12
	s_waitcnt lgkmcnt(8)
	v_sub_f32_e32 v12, v12, v58
	s_waitcnt lgkmcnt(7)
	v_sub_f32_e32 v13, v13, v60
	ds_bpermute_b32 v58, v2, v59 offset:20
	v_mul_f32_e32 v11, v3, v11
	v_add_f32_e32 v3, v49, v3
	ds_bpermute_b32 v49, v2, v59 offset:16
	v_mul_f32_e32 v12, v4, v12
	s_waitcnt lgkmcnt(7)
	v_sub_f32_e32 v14, v14, v62
	v_fmac_f32_e32 v56, v11, v61
	ds_bpermute_b32 v11, v2, v55 offset:24
	v_mul_f32_e32 v13, v5, v13
	v_add_f32_e32 v3, v4, v3
	s_waitcnt lgkmcnt(6)
	v_sub_f32_e32 v4, v15, v64
	v_fmac_f32_e32 v56, v12, v63
	v_mul_f32_e32 v12, v6, v14
	s_waitcnt lgkmcnt(4)
	v_sub_f32_e32 v14, v16, v66
	v_add_f32_e32 v5, v5, v3
	v_mul_f32_e32 v4, v7, v4
	v_fmac_f32_e32 v56, v13, v65
	ds_bpermute_b32 v13, v2, v59 offset:24
	ds_bpermute_b32 v60, v2, v59 offset:28
	ds_bpermute_b32 v3, v2, v55 offset:28
	v_add_f32_e32 v5, v6, v5
	s_waitcnt lgkmcnt(6)
	v_fmac_f32_e32 v56, v12, v57
	v_mul_f32_e32 v6, v8, v14
	v_add_f32_e32 v5, v7, v5
	s_waitcnt lgkmcnt(4)
	v_fmac_f32_e32 v56, v4, v49
	s_waitcnt lgkmcnt(3)
	v_sub_f32_e32 v4, v17, v11
	v_add_f32_e32 v5, v8, v5
	v_fmac_f32_e32 v56, v6, v58
	v_mul_f32_e32 v4, v9, v4
	s_waitcnt lgkmcnt(2)
	v_fmac_f32_e32 v56, v4, v13
	v_add_f32_e32 v4, v9, v5
	v_mov_b32_e32 v55, v56
.LBB55_40:                              ;   in Loop: Header=BB55_3 Depth=1
	v_add_co_u32 v22, vcc_lo, v22, s8
	v_add_co_ci_u32_e64 v23, null, s9, v23, vcc_lo
	v_add_co_u32 v24, vcc_lo, v24, s8
	v_add_co_ci_u32_e64 v25, null, s9, v25, vcc_lo
	;; [unrolled: 2-line block ×10, first 2 shown]
	v_add_co_u32 v42, vcc_lo, v42, s8
	s_waitcnt lgkmcnt(0)
	v_sub_f32_e32 v3, v18, v3
	v_add_co_ci_u32_e64 v43, null, s9, v43, vcc_lo
	v_add_co_u32 v44, vcc_lo, v44, s8
	v_add_co_ci_u32_e64 v45, null, s9, v45, vcc_lo
	v_add_co_u32 v46, vcc_lo, v46, s8
	s_add_u32 s26, s26, s28
	v_add_co_ci_u32_e64 v47, null, s9, v47, vcc_lo
	v_add_co_u32 v48, vcc_lo, v48, s8
	v_mul_f32_e32 v3, v10, v3
	s_addc_u32 s27, s27, 0
	v_add_co_ci_u32_e64 v50, null, s9, v50, vcc_lo
	v_add_co_u32 v51, vcc_lo, v51, s8
	v_cmp_lt_i64_e64 s1, s[26:27], s[12:13]
	v_add_co_ci_u32_e64 v52, null, s9, v52, vcc_lo
	v_add_co_u32 v53, vcc_lo, v53, s8
	v_add_f32_e32 v49, v4, v10
	v_fmac_f32_e32 v55, v3, v60
	v_add_co_ci_u32_e64 v54, null, s9, v54, vcc_lo
	s_add_u32 s24, s24, s28
	s_addc_u32 s25, s25, 0
	s_and_b32 vcc_lo, exec_lo, s1
	s_cbranch_vccz .LBB55_50
; %bb.41:                               ;   in Loop: Header=BB55_3 Depth=1
	v_mov_b32_e32 v56, v55
	s_branch .LBB55_3
.LBB55_42:                              ;   in Loop: Header=BB55_3 Depth=1
	v_add_co_u32 v3, vcc_lo, v22, v19
	v_add_co_ci_u32_e64 v4, null, v23, v20, vcc_lo
	v_add_co_u32 v5, vcc_lo, v24, v19
	v_add_co_ci_u32_e64 v6, null, v25, v20, vcc_lo
	global_load_dword v3, v[3:4], off
	global_load_dword v11, v[5:6], off
	v_mov_b32_e32 v4, v2
	v_mov_b32_e32 v5, v2
	;; [unrolled: 1-line block ×14, first 2 shown]
	s_or_b32 exec_lo, exec_lo, s1
	s_and_saveexec_b32 s1, s0
	s_cbranch_execz .LBB55_32
.LBB55_43:                              ;   in Loop: Header=BB55_3 Depth=1
	v_add_co_u32 v57, vcc_lo, v51, v19
	v_add_co_ci_u32_e64 v58, null, v52, v20, vcc_lo
	v_add_co_u32 v60, vcc_lo, v53, v19
	v_add_co_ci_u32_e64 v61, null, v54, v20, vcc_lo
	global_load_dword v4, v[57:58], off
	global_load_dword v12, v[60:61], off
	s_or_b32 exec_lo, exec_lo, s1
	s_and_saveexec_b32 s1, s0
	s_cbranch_execz .LBB55_33
.LBB55_44:                              ;   in Loop: Header=BB55_3 Depth=1
	v_add_co_u32 v57, vcc_lo, v46, v19
	v_add_co_ci_u32_e64 v58, null, v47, v20, vcc_lo
	v_add_co_u32 v60, vcc_lo, v48, v19
	v_add_co_ci_u32_e64 v61, null, v50, v20, vcc_lo
	global_load_dword v5, v[57:58], off
	global_load_dword v13, v[60:61], off
	s_or_b32 exec_lo, exec_lo, s1
	s_and_saveexec_b32 s1, s0
	s_cbranch_execz .LBB55_34
.LBB55_45:                              ;   in Loop: Header=BB55_3 Depth=1
	v_add_co_u32 v57, vcc_lo, v42, v19
	v_add_co_ci_u32_e64 v58, null, v43, v20, vcc_lo
	v_add_co_u32 v60, vcc_lo, v44, v19
	v_add_co_ci_u32_e64 v61, null, v45, v20, vcc_lo
	global_load_dword v6, v[57:58], off
	global_load_dword v14, v[60:61], off
	s_or_b32 exec_lo, exec_lo, s1
	s_and_saveexec_b32 s1, s0
	s_cbranch_execz .LBB55_35
.LBB55_46:                              ;   in Loop: Header=BB55_3 Depth=1
	v_add_co_u32 v57, vcc_lo, v38, v19
	v_add_co_ci_u32_e64 v58, null, v39, v20, vcc_lo
	v_add_co_u32 v60, vcc_lo, v40, v19
	v_add_co_ci_u32_e64 v61, null, v41, v20, vcc_lo
	global_load_dword v7, v[57:58], off
	global_load_dword v15, v[60:61], off
	s_or_b32 exec_lo, exec_lo, s1
	s_and_saveexec_b32 s1, s0
	s_cbranch_execz .LBB55_36
.LBB55_47:                              ;   in Loop: Header=BB55_3 Depth=1
	v_add_co_u32 v57, vcc_lo, v34, v19
	v_add_co_ci_u32_e64 v58, null, v35, v20, vcc_lo
	v_add_co_u32 v60, vcc_lo, v36, v19
	v_add_co_ci_u32_e64 v61, null, v37, v20, vcc_lo
	global_load_dword v8, v[57:58], off
	global_load_dword v16, v[60:61], off
	s_or_b32 exec_lo, exec_lo, s1
	s_and_saveexec_b32 s1, s0
	s_cbranch_execz .LBB55_37
.LBB55_48:                              ;   in Loop: Header=BB55_3 Depth=1
	v_add_co_u32 v57, vcc_lo, v30, v19
	v_add_co_ci_u32_e64 v58, null, v31, v20, vcc_lo
	v_add_co_u32 v60, vcc_lo, v32, v19
	v_add_co_ci_u32_e64 v61, null, v33, v20, vcc_lo
	global_load_dword v9, v[57:58], off
	global_load_dword v17, v[60:61], off
	s_or_b32 exec_lo, exec_lo, s1
	s_and_saveexec_b32 s1, s0
	s_cbranch_execnz .LBB55_38
	s_branch .LBB55_39
.LBB55_49:
                                        ; implicit-def: $vgpr49
                                        ; implicit-def: $vgpr55
	s_branch .LBB55_51
.LBB55_50:
	s_cbranch_execnz .LBB55_82
.LBB55_51:
	v_mov_b32_e32 v49, 0
	v_mov_b32_e32 v55, 0
	s_andn2_b32 vcc_lo, exec_lo, s7
	s_cbranch_vccnz .LBB55_82
; %bb.52:
	s_load_dword s0, s[4:5], 0x44
	v_lshlrev_b32_e32 v50, 3, v1
	s_add_u32 s24, s4, 64
	s_addc_u32 s25, s5, 0
	v_lshlrev_b32_e32 v6, 5, v1
	v_add_co_u32 v10, s1, v50, s10
	v_add_co_ci_u32_e64 v11, null, 0, 0, s1
	v_mul_lo_u32 v4, s15, v10
	v_mad_u64_u32 v[2:3], null, s14, v10, 0
	v_mul_lo_u32 v5, s14, v11
	s_waitcnt lgkmcnt(0)
	s_lshl_b32 s31, s0, 6
	v_add3_u32 v3, v3, v5, v4
	s_mul_i32 s1, s15, s31
	s_mul_hi_u32 s2, s14, s31
	s_mul_i32 s0, s14, s31
	s_add_i32 s1, s2, s1
	v_lshlrev_b64 v[4:5], 2, v[2:3]
	s_lshl_b64 s[26:27], s[0:1], 2
	s_add_u32 s28, s10, 63
	s_addc_u32 s29, 0, 0
	s_lshl_b64 s[0:1], s[10:11], 2
	v_add_co_u32 v6, s0, v6, s0
	v_add_co_ci_u32_e64 v7, null, 0, s1, s0
	v_add_co_u32 v8, vcc_lo, v6, 4
	v_add_co_ci_u32_e64 v9, null, 0, v7, vcc_lo
	v_add_co_u32 v51, vcc_lo, s16, v4
	v_add_co_ci_u32_e64 v52, null, s17, v5, vcc_lo
	;; [unrolled: 2-line block ×6, first 2 shown]
	v_add_co_u32 v41, vcc_lo, v6, 20
	v_mad_u64_u32 v[21:22], null, s14, v4, s[16:17]
	v_mul_lo_u32 v5, s14, v5
	v_mul_lo_u32 v15, s15, v4
	v_mad_u64_u32 v[35:36], null, s14, v4, s[18:19]
	v_add_co_ci_u32_e64 v29, null, 0, v7, vcc_lo
	v_add_co_u32 v43, vcc_lo, v6, 24
	v_add_co_ci_u32_e64 v31, null, 0, v7, vcc_lo
	v_add_co_u32 v6, vcc_lo, v6, 28
	v_mad_u64_u32 v[19:20], null, s14, v8, s[16:17]
	v_mul_lo_u32 v9, s14, v9
	v_mul_lo_u32 v12, s15, v8
	v_mad_u64_u32 v[33:34], null, s14, v8, s[18:19]
	v_add_co_ci_u32_e64 v7, null, 0, v7, vcc_lo
	v_add_co_u32 v4, vcc_lo, v10, 7
	v_add3_u32 v22, v15, v22, v5
	v_add3_u32 v36, v15, v36, v5
	v_add_co_ci_u32_e64 v5, null, 0, v11, vcc_lo
	v_mul_lo_u32 v57, s14, v7
	v_add_co_u32 v7, vcc_lo, v10, 6
	v_add3_u32 v20, v12, v20, v9
	v_add3_u32 v34, v12, v34, v9
	v_add_co_ci_u32_e64 v12, null, 0, v11, vcc_lo
	v_mul_lo_u32 v8, s15, v4
	v_mul_lo_u32 v9, s14, v5
	v_mad_u64_u32 v[4:5], null, s14, v4, 0
	v_mad_u64_u32 v[23:24], null, s14, v13, s[16:17]
	v_mul_lo_u32 v17, s15, v13
	v_mul_lo_u32 v55, s14, v31
	v_mad_u64_u32 v[31:32], null, s14, v6, s[16:17]
	v_mul_lo_u32 v58, s15, v6
	v_mad_u64_u32 v[37:38], null, s14, v13, s[18:19]
	v_mad_u64_u32 v[45:46], null, s14, v6, s[18:19]
	v_mul_lo_u32 v13, s15, v7
	v_mul_lo_u32 v12, s14, v12
	v_mad_u64_u32 v[6:7], null, s14, v7, 0
	v_add3_u32 v5, v5, v9, v8
	v_add_co_u32 v8, vcc_lo, v10, 5
	v_mul_lo_u32 v48, s14, v29
	v_mad_u64_u32 v[29:30], null, s14, v43, s[16:17]
	v_mul_lo_u32 v56, s15, v43
	v_mad_u64_u32 v[43:44], null, s14, v43, s[18:19]
	v_add3_u32 v7, v7, v12, v13
	v_add_co_ci_u32_e64 v9, null, 0, v11, vcc_lo
	v_lshlrev_b64 v[4:5], 2, v[4:5]
	v_mul_lo_u32 v12, s15, v8
	v_lshlrev_b64 v[6:7], 2, v[6:7]
	v_mul_lo_u32 v13, s14, v9
	v_mad_u64_u32 v[8:9], null, s14, v8, 0
	v_add3_u32 v30, v56, v30, v55
	v_add3_u32 v44, v56, v44, v55
	v_add_co_u32 v56, vcc_lo, s16, v4
	v_add3_u32 v32, v58, v32, v57
	v_add3_u32 v46, v58, v46, v57
	v_add_co_ci_u32_e64 v57, null, s17, v5, vcc_lo
	v_add_co_u32 v58, vcc_lo, s18, v4
	v_add_co_ci_u32_e64 v59, null, s19, v5, vcc_lo
	v_add_co_u32 v60, vcc_lo, s16, v6
	v_add_co_ci_u32_e64 v61, null, s17, v7, vcc_lo
	v_add3_u32 v9, v9, v13, v12
	v_add_co_u32 v12, vcc_lo, v10, 4
	v_add_co_ci_u32_e64 v13, null, 0, v11, vcc_lo
	v_add_co_u32 v62, vcc_lo, s18, v6
	v_add_co_ci_u32_e64 v63, null, s19, v7, vcc_lo
	v_lshlrev_b64 v[4:5], 2, v[8:9]
	v_mul_lo_u32 v8, s15, v12
	v_mul_lo_u32 v9, s14, v13
	v_mad_u64_u32 v[6:7], null, s14, v12, 0
	v_mul_lo_u32 v14, s14, v14
	v_add_co_u32 v12, vcc_lo, v10, 3
	v_add_co_ci_u32_e64 v13, null, 0, v11, vcc_lo
	v_add_co_u32 v64, vcc_lo, s16, v4
	v_add_co_ci_u32_e64 v65, null, s17, v5, vcc_lo
	v_add3_u32 v7, v7, v9, v8
	v_add_co_u32 v10, vcc_lo, v10, 2
	v_add3_u32 v24, v17, v24, v14
	v_add3_u32 v38, v17, v38, v14
	v_mul_lo_u32 v14, s15, v12
	v_mul_lo_u32 v13, s14, v13
	v_mad_u64_u32 v[8:9], null, s14, v12, 0
	v_add_co_ci_u32_e64 v11, null, 0, v11, vcc_lo
	v_add_co_u32 v66, vcc_lo, s18, v4
	v_add_co_ci_u32_e64 v67, null, s19, v5, vcc_lo
	v_lshlrev_b64 v[4:5], 2, v[6:7]
	v_mul_lo_u32 v12, s15, v10
	v_mul_lo_u32 v11, s14, v11
	v_mad_u64_u32 v[6:7], null, s14, v10, 0
	v_add3_u32 v9, v9, v13, v14
	v_add_co_u32 v68, vcc_lo, s16, v4
	v_add_co_ci_u32_e64 v69, null, s17, v5, vcc_lo
	v_add_co_u32 v70, vcc_lo, s18, v4
	v_add_co_ci_u32_e64 v71, null, s19, v5, vcc_lo
	v_lshlrev_b64 v[4:5], 2, v[8:9]
	v_add3_u32 v7, v7, v11, v12
	v_add_co_u32 v2, vcc_lo, v2, s14
	v_add_co_ci_u32_e64 v3, null, s15, v3, vcc_lo
	v_lshlrev_b64 v[6:7], 2, v[6:7]
	v_add_co_u32 v72, vcc_lo, s16, v4
	v_add_co_ci_u32_e64 v73, null, s17, v5, vcc_lo
	v_add_co_u32 v74, vcc_lo, s18, v4
	v_lshlrev_b64 v[3:4], 2, v[2:3]
	v_mov_b32_e32 v2, 0
	v_mad_u64_u32 v[25:26], null, s14, v16, s[16:17]
	v_mul_lo_u32 v18, s14, v18
	v_mul_lo_u32 v47, s15, v16
	v_mad_u64_u32 v[27:28], null, s14, v41, s[16:17]
	v_mul_lo_u32 v49, s15, v41
	v_mad_u64_u32 v[39:40], null, s14, v16, s[18:19]
	v_mad_u64_u32 v[41:42], null, s14, v41, s[18:19]
	v_add_co_ci_u32_e64 v75, null, s19, v5, vcc_lo
	v_add_co_u32 v76, vcc_lo, s16, v6
	v_add_co_ci_u32_e64 v77, null, s17, v7, vcc_lo
	v_add_co_u32 v78, vcc_lo, s18, v6
	v_add_nc_u32_e32 v5, s30, v0
	v_mov_b32_e32 v6, v2
	v_add_co_ci_u32_e64 v79, null, s19, v7, vcc_lo
	v_add_co_u32 v80, vcc_lo, s16, v3
	v_add_co_ci_u32_e64 v81, null, s17, v4, vcc_lo
	v_add_co_u32 v82, vcc_lo, s18, v3
	v_add3_u32 v26, v47, v26, v18
	v_add3_u32 v28, v49, v28, v48
	;; [unrolled: 1-line block ×4, first 2 shown]
	v_lshlrev_b64 v[47:48], 2, v[5:6]
	v_add_co_ci_u32_e64 v83, null, s19, v4, vcc_lo
	v_mov_b32_e32 v55, 0
	v_mov_b32_e32 v49, 0
	s_branch .LBB55_56
.LBB55_53:                              ;   in Loop: Header=BB55_56 Depth=1
	s_or_b32 exec_lo, exec_lo, s1
.LBB55_54:                              ;   in Loop: Header=BB55_56 Depth=1
	s_or_b32 exec_lo, exec_lo, s0
	v_add_co_u32 v3, vcc_lo, v53, v47
	v_add_co_ci_u32_e64 v4, null, v54, v48, vcc_lo
	v_add_co_u32 v7, vcc_lo, v51, v47
	v_add_co_ci_u32_e64 v8, null, v52, v48, vcc_lo
	global_load_dword v84, v[3:4], off
	global_load_dword v85, v[7:8], off
	v_add_co_u32 v3, vcc_lo, v33, v47
	v_add_co_ci_u32_e64 v4, null, v34, v48, vcc_lo
	v_add_co_u32 v10, s2, v39, v47
	v_add_co_ci_u32_e64 v11, null, v40, v48, s2
	global_load_dword v86, v[3:4], off
	v_add_co_u32 v3, vcc_lo, v19, v47
	v_add_co_ci_u32_e64 v4, null, v20, v48, vcc_lo
	v_add_co_u32 v13, s7, v41, v47
	s_waitcnt vmcnt(4)
	ds_bpermute_b32 v90, v2, v6
	global_load_dword v87, v[3:4], off
	v_add_co_u32 v3, vcc_lo, v35, v47
	v_add_co_ci_u32_e64 v4, null, v36, v48, vcc_lo
	v_add_co_u32 v7, vcc_lo, v21, v47
	v_add_co_ci_u32_e64 v8, null, v22, v48, vcc_lo
	global_load_dword v88, v[3:4], off
	global_load_dword v89, v[7:8], off
	v_add_co_u32 v7, s0, v37, v47
	v_add_co_ci_u32_e64 v8, null, v38, v48, s0
	v_add_co_ci_u32_e64 v14, null, v42, v48, s7
	global_load_dword v11, v[10:11], off
	v_add_co_u32 v3, vcc_lo, v23, v47
	v_add_co_u32 v9, s1, v25, v47
	global_load_dword v91, v[7:8], off
	global_load_dword v14, v[13:14], off
	v_add_co_ci_u32_e64 v4, null, v24, v48, vcc_lo
	v_add_co_ci_u32_e64 v10, null, v26, v48, s1
	s_waitcnt vmcnt(9)
	ds_bpermute_b32 v92, v2, v5
	global_load_dword v93, v[3:4], off
	global_load_dword v9, v[9:10], off
	v_add_co_u32 v12, s3, v27, v47
	v_add_co_u32 v15, s8, v43, v47
	;; [unrolled: 1-line block ×3, first 2 shown]
	v_add_co_ci_u32_e64 v13, null, v28, v48, s3
	v_add_co_ci_u32_e64 v16, null, v44, v48, s8
	v_add_co_ci_u32_e64 v18, null, v46, v48, s9
	v_add_co_u32 v7, vcc_lo, v29, v47
	global_load_dword v12, v[12:13], off
	v_add_co_ci_u32_e64 v8, null, v30, v48, vcc_lo
	global_load_dword v13, v[15:16], off
	global_load_dword v15, v[17:18], off
	v_add_co_u32 v3, s0, v31, v47
	global_load_dword v7, v[7:8], off
	ds_bpermute_b32 v8, v2, v6 offset:12
	ds_bpermute_b32 v17, v2, v5 offset:12
	;; [unrolled: 1-line block ×3, first 2 shown]
	s_waitcnt vmcnt(14) lgkmcnt(4)
	v_sub_f32_e32 v4, v84, v90
	s_waitcnt vmcnt(13)
	v_add_f32_e32 v16, v49, v85
	ds_bpermute_b32 v49, v2, v5 offset:24
	v_mul_f32_e32 v10, v85, v4
	v_add_co_ci_u32_e64 v4, null, v32, v48, s0
	s_waitcnt lgkmcnt(4)
	v_fmac_f32_e32 v55, v10, v92
	global_load_dword v10, v[3:4], off
	ds_bpermute_b32 v3, v2, v6 offset:4
	ds_bpermute_b32 v4, v2, v5 offset:4
	s_waitcnt vmcnt(12)
	v_add_f32_e32 v16, v16, v87
	s_waitcnt vmcnt(10)
	v_add_f32_e32 v16, v16, v89
	s_waitcnt lgkmcnt(1)
	v_sub_f32_e32 v3, v86, v3
	v_mul_f32_e32 v3, v87, v3
	s_waitcnt vmcnt(8)
	v_sub_f32_e32 v8, v91, v8
	s_waitcnt lgkmcnt(0)
	v_fmac_f32_e32 v55, v3, v4
	ds_bpermute_b32 v3, v2, v6 offset:8
	ds_bpermute_b32 v4, v2, v5 offset:8
	s_waitcnt vmcnt(6)
	v_mul_f32_e32 v8, v93, v8
	s_waitcnt lgkmcnt(1)
	v_sub_f32_e32 v3, v88, v3
	v_mul_f32_e32 v3, v89, v3
	s_waitcnt lgkmcnt(0)
	v_fmac_f32_e32 v55, v3, v4
	ds_bpermute_b32 v3, v2, v6 offset:16
	ds_bpermute_b32 v4, v2, v6 offset:20
	v_fmac_f32_e32 v55, v8, v17
	v_add_f32_e32 v8, v16, v93
	s_waitcnt vmcnt(5)
	v_add_f32_e32 v8, v8, v9
	s_waitcnt lgkmcnt(1)
	v_sub_f32_e32 v3, v11, v3
	ds_bpermute_b32 v11, v2, v6 offset:24
	ds_bpermute_b32 v6, v2, v6 offset:28
	s_waitcnt lgkmcnt(2)
	v_sub_f32_e32 v4, v14, v4
	ds_bpermute_b32 v14, v2, v5 offset:20
	ds_bpermute_b32 v5, v2, v5 offset:28
	v_mul_f32_e32 v3, v9, v3
	s_waitcnt vmcnt(4)
	v_mul_f32_e32 v4, v12, v4
	v_fmac_f32_e32 v55, v3, v18
	s_waitcnt vmcnt(3) lgkmcnt(3)
	v_sub_f32_e32 v3, v13, v11
	s_waitcnt vmcnt(2) lgkmcnt(2)
	v_sub_f32_e32 v6, v15, v6
	s_waitcnt lgkmcnt(1)
	v_fmac_f32_e32 v55, v4, v14
	v_add_f32_e32 v4, v8, v12
	s_waitcnt vmcnt(1)
	v_mul_f32_e32 v3, v7, v3
	v_fmac_f32_e32 v55, v3, v49
	v_add_f32_e32 v3, v4, v7
	v_mov_b32_e32 v11, v55
	s_waitcnt vmcnt(0)
	v_mul_f32_e32 v6, v10, v6
	s_waitcnt lgkmcnt(0)
	v_mul_f32_e32 v4, v6, v5
.LBB55_55:                              ;   in Loop: Header=BB55_56 Depth=1
	v_add_co_u32 v51, vcc_lo, v51, s26
	v_add_co_ci_u32_e64 v52, null, s27, v52, vcc_lo
	v_add_co_u32 v53, vcc_lo, v53, s26
	v_add_co_ci_u32_e64 v54, null, s27, v54, vcc_lo
	;; [unrolled: 2-line block ×26, first 2 shown]
	v_add_co_u32 v76, vcc_lo, v76, s26
	s_add_u32 s10, s10, s31
	v_add_co_ci_u32_e64 v77, null, s27, v77, vcc_lo
	v_add_co_u32 v78, vcc_lo, v78, s26
	s_addc_u32 s11, s11, 0
	v_add_co_ci_u32_e64 v79, null, s27, v79, vcc_lo
	v_add_co_u32 v80, vcc_lo, v80, s26
	v_cmp_ge_i64_e64 s0, s[10:11], s[12:13]
	v_add_co_ci_u32_e64 v81, null, s27, v81, vcc_lo
	v_add_co_u32 v82, vcc_lo, v82, s26
	v_add_f32_e32 v55, v11, v4
	v_add_f32_e32 v49, v3, v10
	v_add_co_ci_u32_e64 v83, null, s27, v83, vcc_lo
	s_add_u32 s28, s28, s31
	s_addc_u32 s29, s29, 0
	s_and_b32 vcc_lo, exec_lo, s0
	s_cbranch_vccnz .LBB55_82
.LBB55_56:                              ; =>This Inner Loop Header: Depth=1
	v_cmp_ge_i64_e64 s0, s[28:29], s[12:13]
	v_add_co_u32 v84, s1, v50, s28
	v_add_co_ci_u32_e64 v85, null, 0, s29, s1
                                        ; implicit-def: $vgpr10
                                        ; implicit-def: $vgpr4
                                        ; implicit-def: $vgpr3
                                        ; implicit-def: $vgpr11
	s_and_b32 vcc_lo, exec_lo, s0
	s_mov_b32 s0, -1
	s_cbranch_vccz .LBB55_78
; %bb.57:                               ;   in Loop: Header=BB55_56 Depth=1
	s_load_dword s0, s[24:25], 0xc
	v_mov_b32_e32 v87, 0
	v_mov_b32_e32 v86, 0
	s_waitcnt lgkmcnt(0)
	s_and_b32 s0, s0, 0xffff
	v_mad_u32_u24 v3, v1, s0, v0
	s_mov_b32 s0, exec_lo
	v_and_b32_e32 v3, 31, v3
	v_cmpx_gt_u32_e32 8, v3
	s_cbranch_execz .LBB55_61
; %bb.58:                               ;   in Loop: Header=BB55_56 Depth=1
	v_add_co_u32 v3, vcc_lo, v84, v3
	v_add_co_ci_u32_e64 v4, null, 0, v85, vcc_lo
	v_mov_b32_e32 v86, 0
	v_add_co_u32 v3, vcc_lo, 0xffffffc1, v3
	v_add_co_ci_u32_e64 v4, null, -1, v4, vcc_lo
	v_mov_b32_e32 v87, 0
	s_mov_b32 s1, exec_lo
	v_cmpx_gt_i64_e64 s[12:13], v[3:4]
	s_cbranch_execz .LBB55_60
; %bb.59:                               ;   in Loop: Header=BB55_56 Depth=1
	v_lshlrev_b64 v[3:4], 2, v[3:4]
	v_add_co_u32 v5, vcc_lo, s20, v3
	v_add_co_ci_u32_e64 v6, null, s21, v4, vcc_lo
	v_add_co_u32 v3, vcc_lo, s22, v3
	v_add_co_ci_u32_e64 v4, null, s23, v4, vcc_lo
	global_load_dword v86, v[5:6], off
	global_load_dword v87, v[3:4], off
.LBB55_60:                              ;   in Loop: Header=BB55_56 Depth=1
	s_or_b32 exec_lo, exec_lo, s1
.LBB55_61:                              ;   in Loop: Header=BB55_56 Depth=1
	s_or_b32 exec_lo, exec_lo, s0
	v_add_co_u32 v10, vcc_lo, 0xffffffc1, v84
	v_add_co_ci_u32_e64 v11, null, -1, v85, vcc_lo
	v_mov_b32_e32 v9, v2
	v_mov_b32_e32 v3, v2
	;; [unrolled: 1-line block ×7, first 2 shown]
	v_cmp_gt_i64_e32 vcc_lo, s[12:13], v[10:11]
	v_mov_b32_e32 v18, v9
	v_mov_b32_e32 v15, v6
	v_mov_b32_e32 v16, v7
	v_mov_b32_e32 v17, v8
	v_mov_b32_e32 v14, v5
	v_mov_b32_e32 v13, v4
	v_mov_b32_e32 v12, v3
	v_mov_b32_e32 v11, v2
	v_mov_b32_e32 v10, v9
	v_mov_b32_e32 v9, v8
	v_mov_b32_e32 v8, v7
	v_mov_b32_e32 v7, v6
	v_mov_b32_e32 v6, v5
	v_mov_b32_e32 v5, v4
	v_mov_b32_e32 v4, v3
	v_mov_b32_e32 v3, v2
	s_and_saveexec_b32 s0, vcc_lo
	s_cbranch_execz .LBB55_63
; %bb.62:                               ;   in Loop: Header=BB55_56 Depth=1
	v_add_co_u32 v3, vcc_lo, v51, v47
	v_add_co_ci_u32_e64 v4, null, v52, v48, vcc_lo
	v_add_co_u32 v5, vcc_lo, v53, v47
	v_add_co_ci_u32_e64 v6, null, v54, v48, vcc_lo
	global_load_dword v3, v[3:4], off
	global_load_dword v11, v[5:6], off
	v_mov_b32_e32 v4, v2
	v_mov_b32_e32 v5, v2
	;; [unrolled: 1-line block ×14, first 2 shown]
.LBB55_63:                              ;   in Loop: Header=BB55_56 Depth=1
	s_or_b32 exec_lo, exec_lo, s0
	v_add_co_u32 v88, vcc_lo, 0xffffffc2, v84
	v_add_co_ci_u32_e64 v89, null, -1, v85, vcc_lo
	s_mov_b32 s0, exec_lo
	v_cmpx_gt_i64_e64 s[12:13], v[88:89]
	s_cbranch_execz .LBB55_65
; %bb.64:                               ;   in Loop: Header=BB55_56 Depth=1
	v_add_co_u32 v88, vcc_lo, v80, v47
	v_add_co_ci_u32_e64 v89, null, v81, v48, vcc_lo
	v_add_co_u32 v90, vcc_lo, v82, v47
	v_add_co_ci_u32_e64 v91, null, v83, v48, vcc_lo
	global_load_dword v4, v[88:89], off
	global_load_dword v12, v[90:91], off
.LBB55_65:                              ;   in Loop: Header=BB55_56 Depth=1
	s_or_b32 exec_lo, exec_lo, s0
	v_add_co_u32 v88, vcc_lo, 0xffffffc3, v84
	v_add_co_ci_u32_e64 v89, null, -1, v85, vcc_lo
	s_mov_b32 s0, exec_lo
	v_cmpx_gt_i64_e64 s[12:13], v[88:89]
	s_cbranch_execz .LBB55_67
; %bb.66:                               ;   in Loop: Header=BB55_56 Depth=1
	v_add_co_u32 v88, vcc_lo, v76, v47
	v_add_co_ci_u32_e64 v89, null, v77, v48, vcc_lo
	v_add_co_u32 v90, vcc_lo, v78, v47
	v_add_co_ci_u32_e64 v91, null, v79, v48, vcc_lo
	global_load_dword v5, v[88:89], off
	global_load_dword v13, v[90:91], off
.LBB55_67:                              ;   in Loop: Header=BB55_56 Depth=1
	;; [unrolled: 14-line block ×7, first 2 shown]
	s_or_b32 exec_lo, exec_lo, s0
	s_waitcnt vmcnt(1)
	ds_bpermute_b32 v89, v2, v86
	s_waitcnt vmcnt(0)
	ds_bpermute_b32 v88, v2, v87
	s_mov_b32 s0, 0
	s_waitcnt lgkmcnt(1)
	v_sub_f32_e32 v11, v11, v89
	ds_bpermute_b32 v89, v2, v86 offset:4
	v_mul_f32_e32 v11, v3, v11
	v_add_f32_e32 v3, v49, v3
	s_waitcnt lgkmcnt(1)
	v_fma_f32 v11, v11, v88, v55
	ds_bpermute_b32 v88, v2, v87 offset:4
	v_add_f32_e32 v3, v4, v3
	v_add_f32_e32 v3, v5, v3
	s_waitcnt lgkmcnt(1)
	v_sub_f32_e32 v12, v12, v89
	v_add_f32_e32 v3, v6, v3
	v_mul_f32_e32 v12, v4, v12
	ds_bpermute_b32 v4, v2, v87 offset:8
	v_add_f32_e32 v3, v7, v3
	s_waitcnt lgkmcnt(1)
	v_fmac_f32_e32 v11, v12, v88
	ds_bpermute_b32 v12, v2, v86 offset:8
	v_add_f32_e32 v3, v8, v3
	v_add_f32_e32 v3, v9, v3
	s_waitcnt lgkmcnt(0)
	v_sub_f32_e32 v12, v13, v12
	v_mul_f32_e32 v12, v5, v12
	ds_bpermute_b32 v5, v2, v86 offset:12
	v_fmac_f32_e32 v11, v12, v4
	ds_bpermute_b32 v4, v2, v87 offset:12
	s_waitcnt lgkmcnt(1)
	v_sub_f32_e32 v5, v14, v5
	v_mul_f32_e32 v5, v6, v5
	s_waitcnt lgkmcnt(0)
	v_fmac_f32_e32 v11, v5, v4
	ds_bpermute_b32 v5, v2, v86 offset:16
	ds_bpermute_b32 v4, v2, v87 offset:16
	s_waitcnt lgkmcnt(1)
	v_sub_f32_e32 v5, v15, v5
	v_mul_f32_e32 v5, v7, v5
	s_waitcnt lgkmcnt(0)
	v_fmac_f32_e32 v11, v5, v4
	ds_bpermute_b32 v5, v2, v86 offset:20
	;; [unrolled: 7-line block ×4, first 2 shown]
	ds_bpermute_b32 v4, v2, v87 offset:28
	s_waitcnt lgkmcnt(1)
	v_sub_f32_e32 v5, v18, v5
	v_mul_f32_e32 v5, v10, v5
	s_waitcnt lgkmcnt(0)
	v_mul_f32_e32 v4, v5, v4
.LBB55_78:                              ;   in Loop: Header=BB55_56 Depth=1
	s_and_b32 vcc_lo, exec_lo, s0
	s_cbranch_vccz .LBB55_55
; %bb.79:                               ;   in Loop: Header=BB55_56 Depth=1
	s_load_dword s0, s[24:25], 0x0
	v_mov_b32_e32 v5, 0
	v_mov_b32_e32 v6, 0
	s_waitcnt lgkmcnt(0)
	s_cmp_lt_u32 s6, s0
	s_cselect_b32 s0, 12, 18
	s_add_u32 s0, s24, s0
	s_addc_u32 s1, s25, 0
	global_load_ushort v3, v2, s[0:1]
	s_mov_b32 s0, exec_lo
	s_waitcnt vmcnt(0)
	v_mad_u32_u24 v3, v1, v3, v0
	v_and_b32_e32 v3, 31, v3
	v_cmpx_gt_u32_e32 8, v3
	s_cbranch_execz .LBB55_54
; %bb.80:                               ;   in Loop: Header=BB55_56 Depth=1
	v_add_co_u32 v3, vcc_lo, v84, v3
	v_add_co_ci_u32_e64 v4, null, 0, v85, vcc_lo
	v_mov_b32_e32 v6, 0
	v_add_co_u32 v3, vcc_lo, 0xffffffc1, v3
	v_add_co_ci_u32_e64 v4, null, -1, v4, vcc_lo
	v_mov_b32_e32 v5, 0
	s_mov_b32 s1, exec_lo
	v_cmpx_gt_i64_e64 s[12:13], v[3:4]
	s_cbranch_execz .LBB55_53
; %bb.81:                               ;   in Loop: Header=BB55_56 Depth=1
	v_lshlrev_b64 v[3:4], 2, v[3:4]
	v_add_co_u32 v5, vcc_lo, s20, v3
	v_add_co_ci_u32_e64 v6, null, s21, v4, vcc_lo
	v_add_co_u32 v3, vcc_lo, s22, v3
	v_add_co_ci_u32_e64 v4, null, s23, v4, vcc_lo
	global_load_dword v6, v[5:6], off
	global_load_dword v5, v[3:4], off
	s_branch .LBB55_53
.LBB55_82:
	v_mad_u32_u24 v2, 0x41, v1, v0
	s_mov_b32 s0, exec_lo
	v_lshl_add_u32 v3, v2, 2, 0
	v_sub_nc_u32_e32 v4, v2, v1
	ds_write_b32 v3, v55
	ds_write_b32 v3, v49 offset:2080
	s_waitcnt lgkmcnt(0)
	s_barrier
	buffer_gl0_inv
	v_cmpx_gt_u32_e32 0x800, v4
	s_cbranch_execz .LBB55_114
; %bb.83:
	s_load_dwordx4 s[8:11], s[4:5], 0x30
	v_and_b32_e32 v1, 31, v0
	v_lshrrev_b32_e32 v3, 5, v4
                                        ; implicit-def: $vgpr2
	v_cmp_gt_u32_e64 s0, 8, v1
	v_mul_u32_u24_e32 v5, 0x41, v1
                                        ; implicit-def: $vgpr1
	s_and_saveexec_b32 s1, s0
	s_cbranch_execz .LBB55_85
; %bb.84:
	v_add_nc_u32_e32 v1, v3, v5
	v_lshl_add_u32 v1, v1, 2, 0
	ds_read_b32 v2, v1
	ds_read_b32 v1, v1 offset:2080
.LBB55_85:
	s_or_b32 exec_lo, exec_lo, s1
	v_mbcnt_lo_u32_b32 v8, -1, 0
	s_mov_b32 s7, 0
	v_cmp_eq_u32_e64 s1, 0, v0
	s_lshl_b64 s[2:3], s[6:7], 6
	s_waitcnt lgkmcnt(0)
	s_cmp_lg_u64 s[8:9], 0
	v_xor_b32_e32 v6, 4, v8
	v_xor_b32_e32 v7, 2, v8
	;; [unrolled: 1-line block ×3, first 2 shown]
	s_cselect_b32 s5, -1, 0
	s_cmp_lg_u64 s[10:11], 0
	v_cmp_gt_i32_e32 vcc_lo, 32, v6
	s_cselect_b32 s4, -1, 0
	v_cndmask_b32_e32 v6, v8, v6, vcc_lo
	v_cmp_gt_i32_e32 vcc_lo, 32, v7
	v_lshlrev_b32_e32 v6, 2, v6
	v_cndmask_b32_e32 v7, v8, v7, vcc_lo
	v_cmp_gt_i32_e32 vcc_lo, 32, v11
	ds_bpermute_b32 v9, v6, v2
	ds_bpermute_b32 v10, v6, v1
	v_lshlrev_b32_e32 v7, 2, v7
	v_cndmask_b32_e32 v8, v8, v11, vcc_lo
	v_lshlrev_b32_e32 v8, 2, v8
	s_waitcnt lgkmcnt(1)
	v_add_f32_e32 v2, v2, v9
	s_waitcnt lgkmcnt(0)
	v_add_f32_e32 v1, v1, v10
	ds_bpermute_b32 v9, v7, v2
	ds_bpermute_b32 v10, v7, v1
	s_waitcnt lgkmcnt(1)
	v_add_f32_e32 v9, v2, v9
	s_waitcnt lgkmcnt(0)
	v_add_f32_e32 v10, v1, v10
	v_or_b32_e32 v1, s2, v3
	v_mov_b32_e32 v2, s3
	ds_bpermute_b32 v11, v8, v9
	ds_bpermute_b32 v12, v8, v10
	v_cmp_gt_i64_e32 vcc_lo, s[14:15], v[1:2]
	s_and_b32 s7, s1, vcc_lo
	s_waitcnt lgkmcnt(1)
	v_add_f32_e32 v9, v9, v11
	s_waitcnt lgkmcnt(0)
	v_add_f32_e32 v10, v10, v12
	s_and_saveexec_b32 s6, s7
	s_cbranch_execz .LBB55_90
; %bb.86:
	v_lshlrev_b64 v[0:1], 2, v[1:2]
	s_andn2_b32 vcc_lo, exec_lo, s5
	s_cbranch_vccnz .LBB55_88
; %bb.87:
	v_add_co_u32 v11, vcc_lo, s8, v0
	v_add_co_ci_u32_e64 v12, null, s9, v1, vcc_lo
	global_store_dword v[11:12], v9, off
.LBB55_88:
	s_andn2_b32 vcc_lo, exec_lo, s4
	s_cbranch_vccnz .LBB55_90
; %bb.89:
	v_add_co_u32 v0, vcc_lo, s10, v0
	v_add_co_ci_u32_e64 v1, null, s11, v1, vcc_lo
	global_store_dword v[0:1], v10, off
.LBB55_90:
	s_or_b32 exec_lo, exec_lo, s6
	v_cmp_gt_u32_e32 vcc_lo, 0x600, v4
	s_and_b32 exec_lo, exec_lo, vcc_lo
	s_cbranch_execz .LBB55_114
; %bb.91:
	s_and_saveexec_b32 s6, s0
	s_cbranch_execz .LBB55_93
; %bb.92:
	v_add_nc_u32_e32 v0, v3, v5
	v_lshl_add_u32 v0, v0, 2, 0
	ds_read_b32 v9, v0 offset:64
	ds_read_b32 v10, v0 offset:2144
.LBB55_93:
	s_or_b32 exec_lo, exec_lo, s6
	s_waitcnt lgkmcnt(1)
	ds_bpermute_b32 v0, v6, v9
	s_waitcnt lgkmcnt(1)
	ds_bpermute_b32 v1, v6, v10
	s_waitcnt lgkmcnt(1)
	v_add_f32_e32 v0, v9, v0
	s_waitcnt lgkmcnt(0)
	v_add_f32_e32 v1, v10, v1
	ds_bpermute_b32 v2, v7, v0
	ds_bpermute_b32 v9, v7, v1
	s_waitcnt lgkmcnt(1)
	v_add_f32_e32 v2, v0, v2
	s_waitcnt lgkmcnt(0)
	v_add_f32_e32 v9, v1, v9
	v_add_nc_u32_e32 v0, 16, v3
	ds_bpermute_b32 v10, v8, v2
	ds_bpermute_b32 v11, v8, v9
	v_add_co_u32 v0, s6, s2, v0
	v_add_co_ci_u32_e64 v1, null, s3, 0, s6
	v_cmp_gt_i64_e32 vcc_lo, s[14:15], v[0:1]
	s_and_b32 s7, s1, vcc_lo
	s_waitcnt lgkmcnt(1)
	v_add_f32_e32 v0, v2, v10
	s_waitcnt lgkmcnt(0)
	v_add_f32_e32 v1, v9, v11
	s_and_saveexec_b32 s6, s7
	s_cbranch_execz .LBB55_98
; %bb.94:
	s_andn2_b32 vcc_lo, exec_lo, s5
	s_cbranch_vccnz .LBB55_96
; %bb.95:
	v_add_co_u32 v9, s7, s2, v3
	v_add_co_ci_u32_e64 v10, null, s3, 0, s7
	v_lshlrev_b64 v[9:10], 2, v[9:10]
	v_add_co_u32 v9, vcc_lo, s8, v9
	v_add_co_ci_u32_e64 v10, null, s9, v10, vcc_lo
	global_store_dword v[9:10], v0, off offset:64
.LBB55_96:
	s_andn2_b32 vcc_lo, exec_lo, s4
	s_cbranch_vccnz .LBB55_98
; %bb.97:
	v_add_co_u32 v9, s7, s2, v3
	v_add_co_ci_u32_e64 v10, null, s3, 0, s7
	v_lshlrev_b64 v[9:10], 2, v[9:10]
	v_add_co_u32 v9, vcc_lo, s10, v9
	v_add_co_ci_u32_e64 v10, null, s11, v10, vcc_lo
	global_store_dword v[9:10], v1, off offset:64
.LBB55_98:
	s_or_b32 exec_lo, exec_lo, s6
	v_cmp_gt_u32_e32 vcc_lo, 0x400, v4
	s_and_b32 exec_lo, exec_lo, vcc_lo
	s_cbranch_execz .LBB55_114
; %bb.99:
	s_and_saveexec_b32 s6, s0
	s_cbranch_execz .LBB55_101
; %bb.100:
	v_add_nc_u32_e32 v0, v3, v5
	v_lshl_add_u32 v1, v0, 2, 0
	ds_read_b32 v0, v1 offset:128
	ds_read_b32 v1, v1 offset:2208
.LBB55_101:
	s_or_b32 exec_lo, exec_lo, s6
	s_waitcnt lgkmcnt(1)
	ds_bpermute_b32 v2, v6, v0
	s_waitcnt lgkmcnt(1)
	ds_bpermute_b32 v9, v6, v1
	s_waitcnt lgkmcnt(1)
	v_add_f32_e32 v0, v0, v2
	s_waitcnt lgkmcnt(0)
	v_add_f32_e32 v1, v1, v9
	ds_bpermute_b32 v2, v7, v0
	ds_bpermute_b32 v9, v7, v1
	s_waitcnt lgkmcnt(1)
	v_add_f32_e32 v2, v0, v2
	s_waitcnt lgkmcnt(0)
	v_add_f32_e32 v9, v1, v9
	v_add_nc_u32_e32 v0, 32, v3
	v_mov_b32_e32 v1, s3
	ds_bpermute_b32 v10, v8, v2
	ds_bpermute_b32 v11, v8, v9
	v_or_b32_e32 v0, s2, v0
	v_cmp_gt_i64_e32 vcc_lo, s[14:15], v[0:1]
	s_and_b32 s7, s1, vcc_lo
	s_waitcnt lgkmcnt(1)
	v_add_f32_e32 v0, v2, v10
	s_waitcnt lgkmcnt(0)
	v_add_f32_e32 v1, v9, v11
	s_and_saveexec_b32 s6, s7
	s_cbranch_execz .LBB55_106
; %bb.102:
	s_andn2_b32 vcc_lo, exec_lo, s5
	s_cbranch_vccnz .LBB55_104
; %bb.103:
	v_add_co_u32 v9, s7, s2, v3
	v_add_co_ci_u32_e64 v10, null, s3, 0, s7
	v_lshlrev_b64 v[9:10], 2, v[9:10]
	v_add_co_u32 v9, vcc_lo, s8, v9
	v_add_co_ci_u32_e64 v10, null, s9, v10, vcc_lo
	global_store_dword v[9:10], v0, off offset:128
.LBB55_104:
	s_andn2_b32 vcc_lo, exec_lo, s4
	s_cbranch_vccnz .LBB55_106
; %bb.105:
	v_add_co_u32 v9, s7, s2, v3
	v_add_co_ci_u32_e64 v10, null, s3, 0, s7
	v_lshlrev_b64 v[9:10], 2, v[9:10]
	v_add_co_u32 v9, vcc_lo, s10, v9
	v_add_co_ci_u32_e64 v10, null, s11, v10, vcc_lo
	global_store_dword v[9:10], v1, off offset:128
.LBB55_106:
	s_or_b32 exec_lo, exec_lo, s6
	v_cmp_gt_u32_e32 vcc_lo, 0x200, v4
	s_and_b32 exec_lo, exec_lo, vcc_lo
	s_cbranch_execz .LBB55_114
; %bb.107:
	s_and_saveexec_b32 s6, s0
	s_cbranch_execz .LBB55_109
; %bb.108:
	v_add_nc_u32_e32 v0, v3, v5
	v_lshl_add_u32 v1, v0, 2, 0
	ds_read_b32 v0, v1 offset:192
	ds_read_b32 v1, v1 offset:2272
.LBB55_109:
	s_or_b32 exec_lo, exec_lo, s6
	s_waitcnt lgkmcnt(1)
	ds_bpermute_b32 v2, v6, v0
	s_waitcnt lgkmcnt(1)
	ds_bpermute_b32 v4, v6, v1
	v_add_nc_u32_e32 v5, 48, v3
	v_mov_b32_e32 v6, s3
	v_or_b32_e32 v5, s2, v5
	v_cmp_gt_i64_e32 vcc_lo, s[14:15], v[5:6]
	s_and_b32 s0, s1, vcc_lo
	s_waitcnt lgkmcnt(1)
	v_add_f32_e32 v0, v0, v2
	s_waitcnt lgkmcnt(0)
	v_add_f32_e32 v1, v1, v4
	ds_bpermute_b32 v2, v7, v0
	ds_bpermute_b32 v4, v7, v1
	s_waitcnt lgkmcnt(1)
	v_add_f32_e32 v2, v0, v2
	s_waitcnt lgkmcnt(0)
	v_add_f32_e32 v0, v1, v4
	ds_bpermute_b32 v4, v8, v2
	ds_bpermute_b32 v1, v8, v0
	s_and_b32 exec_lo, exec_lo, s0
	s_cbranch_execz .LBB55_114
; %bb.110:
	s_andn2_b32 vcc_lo, exec_lo, s5
	s_cbranch_vccnz .LBB55_112
; %bb.111:
	v_add_co_u32 v5, s0, s2, v3
	v_add_co_ci_u32_e64 v6, null, s3, 0, s0
	s_waitcnt lgkmcnt(1)
	v_add_f32_e32 v2, v2, v4
	v_lshlrev_b64 v[5:6], 2, v[5:6]
	v_add_co_u32 v4, vcc_lo, s8, v5
	v_add_co_ci_u32_e64 v5, null, s9, v6, vcc_lo
	global_store_dword v[4:5], v2, off offset:192
.LBB55_112:
	s_andn2_b32 vcc_lo, exec_lo, s4
	s_cbranch_vccnz .LBB55_114
; %bb.113:
	v_add_co_u32 v2, s0, s2, v3
	v_add_co_ci_u32_e64 v3, null, s3, 0, s0
	s_waitcnt lgkmcnt(0)
	v_add_f32_e32 v4, v0, v1
	v_lshlrev_b64 v[2:3], 2, v[2:3]
	v_add_co_u32 v0, vcc_lo, s10, v2
	v_add_co_ci_u32_e64 v1, null, s11, v3, vcc_lo
	global_store_dword v[0:1], v4, off offset:192
.LBB55_114:
	s_endpgm
	.section	.rodata,"a",@progbits
	.p2align	6, 0x0
	.amdhsa_kernel _ZN2at6native12_GLOBAL__N_135GammaBetaBackwardCUDAKernelTemplateIffLj64ELj8ELj64ELb0ELb0ELb0EEEvllPKT_S5_PKT0_S8_PS3_S9_
		.amdhsa_group_segment_fixed_size 0
		.amdhsa_private_segment_fixed_size 0
		.amdhsa_kernarg_size 320
		.amdhsa_user_sgpr_count 6
		.amdhsa_user_sgpr_private_segment_buffer 1
		.amdhsa_user_sgpr_dispatch_ptr 0
		.amdhsa_user_sgpr_queue_ptr 0
		.amdhsa_user_sgpr_kernarg_segment_ptr 1
		.amdhsa_user_sgpr_dispatch_id 0
		.amdhsa_user_sgpr_flat_scratch_init 0
		.amdhsa_user_sgpr_private_segment_size 0
		.amdhsa_wavefront_size32 1
		.amdhsa_uses_dynamic_stack 0
		.amdhsa_system_sgpr_private_segment_wavefront_offset 0
		.amdhsa_system_sgpr_workgroup_id_x 1
		.amdhsa_system_sgpr_workgroup_id_y 1
		.amdhsa_system_sgpr_workgroup_id_z 0
		.amdhsa_system_sgpr_workgroup_info 0
		.amdhsa_system_vgpr_workitem_id 1
		.amdhsa_next_free_vgpr 94
		.amdhsa_next_free_sgpr 36
		.amdhsa_reserve_vcc 1
		.amdhsa_reserve_flat_scratch 0
		.amdhsa_float_round_mode_32 0
		.amdhsa_float_round_mode_16_64 0
		.amdhsa_float_denorm_mode_32 3
		.amdhsa_float_denorm_mode_16_64 3
		.amdhsa_dx10_clamp 1
		.amdhsa_ieee_mode 1
		.amdhsa_fp16_overflow 0
		.amdhsa_workgroup_processor_mode 1
		.amdhsa_memory_ordered 1
		.amdhsa_forward_progress 1
		.amdhsa_shared_vgpr_count 0
		.amdhsa_exception_fp_ieee_invalid_op 0
		.amdhsa_exception_fp_denorm_src 0
		.amdhsa_exception_fp_ieee_div_zero 0
		.amdhsa_exception_fp_ieee_overflow 0
		.amdhsa_exception_fp_ieee_underflow 0
		.amdhsa_exception_fp_ieee_inexact 0
		.amdhsa_exception_int_div_zero 0
	.end_amdhsa_kernel
	.section	.text._ZN2at6native12_GLOBAL__N_135GammaBetaBackwardCUDAKernelTemplateIffLj64ELj8ELj64ELb0ELb0ELb0EEEvllPKT_S5_PKT0_S8_PS3_S9_,"axG",@progbits,_ZN2at6native12_GLOBAL__N_135GammaBetaBackwardCUDAKernelTemplateIffLj64ELj8ELj64ELb0ELb0ELb0EEEvllPKT_S5_PKT0_S8_PS3_S9_,comdat
.Lfunc_end55:
	.size	_ZN2at6native12_GLOBAL__N_135GammaBetaBackwardCUDAKernelTemplateIffLj64ELj8ELj64ELb0ELb0ELb0EEEvllPKT_S5_PKT0_S8_PS3_S9_, .Lfunc_end55-_ZN2at6native12_GLOBAL__N_135GammaBetaBackwardCUDAKernelTemplateIffLj64ELj8ELj64ELb0ELb0ELb0EEEvllPKT_S5_PKT0_S8_PS3_S9_
                                        ; -- End function
	.set _ZN2at6native12_GLOBAL__N_135GammaBetaBackwardCUDAKernelTemplateIffLj64ELj8ELj64ELb0ELb0ELb0EEEvllPKT_S5_PKT0_S8_PS3_S9_.num_vgpr, 94
	.set _ZN2at6native12_GLOBAL__N_135GammaBetaBackwardCUDAKernelTemplateIffLj64ELj8ELj64ELb0ELb0ELb0EEEvllPKT_S5_PKT0_S8_PS3_S9_.num_agpr, 0
	.set _ZN2at6native12_GLOBAL__N_135GammaBetaBackwardCUDAKernelTemplateIffLj64ELj8ELj64ELb0ELb0ELb0EEEvllPKT_S5_PKT0_S8_PS3_S9_.numbered_sgpr, 36
	.set _ZN2at6native12_GLOBAL__N_135GammaBetaBackwardCUDAKernelTemplateIffLj64ELj8ELj64ELb0ELb0ELb0EEEvllPKT_S5_PKT0_S8_PS3_S9_.num_named_barrier, 0
	.set _ZN2at6native12_GLOBAL__N_135GammaBetaBackwardCUDAKernelTemplateIffLj64ELj8ELj64ELb0ELb0ELb0EEEvllPKT_S5_PKT0_S8_PS3_S9_.private_seg_size, 0
	.set _ZN2at6native12_GLOBAL__N_135GammaBetaBackwardCUDAKernelTemplateIffLj64ELj8ELj64ELb0ELb0ELb0EEEvllPKT_S5_PKT0_S8_PS3_S9_.uses_vcc, 1
	.set _ZN2at6native12_GLOBAL__N_135GammaBetaBackwardCUDAKernelTemplateIffLj64ELj8ELj64ELb0ELb0ELb0EEEvllPKT_S5_PKT0_S8_PS3_S9_.uses_flat_scratch, 0
	.set _ZN2at6native12_GLOBAL__N_135GammaBetaBackwardCUDAKernelTemplateIffLj64ELj8ELj64ELb0ELb0ELb0EEEvllPKT_S5_PKT0_S8_PS3_S9_.has_dyn_sized_stack, 0
	.set _ZN2at6native12_GLOBAL__N_135GammaBetaBackwardCUDAKernelTemplateIffLj64ELj8ELj64ELb0ELb0ELb0EEEvllPKT_S5_PKT0_S8_PS3_S9_.has_recursion, 0
	.set _ZN2at6native12_GLOBAL__N_135GammaBetaBackwardCUDAKernelTemplateIffLj64ELj8ELj64ELb0ELb0ELb0EEEvllPKT_S5_PKT0_S8_PS3_S9_.has_indirect_call, 0
	.section	.AMDGPU.csdata,"",@progbits
; Kernel info:
; codeLenInByte = 9212
; TotalNumSgprs: 38
; NumVgprs: 94
; ScratchSize: 0
; MemoryBound: 0
; FloatMode: 240
; IeeeMode: 1
; LDSByteSize: 0 bytes/workgroup (compile time only)
; SGPRBlocks: 0
; VGPRBlocks: 11
; NumSGPRsForWavesPerEU: 38
; NumVGPRsForWavesPerEU: 94
; Occupancy: 10
; WaveLimiterHint : 0
; COMPUTE_PGM_RSRC2:SCRATCH_EN: 0
; COMPUTE_PGM_RSRC2:USER_SGPR: 6
; COMPUTE_PGM_RSRC2:TRAP_HANDLER: 0
; COMPUTE_PGM_RSRC2:TGID_X_EN: 1
; COMPUTE_PGM_RSRC2:TGID_Y_EN: 1
; COMPUTE_PGM_RSRC2:TGID_Z_EN: 0
; COMPUTE_PGM_RSRC2:TIDIG_COMP_CNT: 1
	.section	.text._ZN2at6native12_GLOBAL__N_135GammaBetaBackwardCUDAKernelTemplateIffLj64ELj16ELj128ELb0ELb1ELb0EEEvllPKT_S5_PKT0_S8_PS3_S9_,"axG",@progbits,_ZN2at6native12_GLOBAL__N_135GammaBetaBackwardCUDAKernelTemplateIffLj64ELj16ELj128ELb0ELb1ELb0EEEvllPKT_S5_PKT0_S8_PS3_S9_,comdat
	.globl	_ZN2at6native12_GLOBAL__N_135GammaBetaBackwardCUDAKernelTemplateIffLj64ELj16ELj128ELb0ELb1ELb0EEEvllPKT_S5_PKT0_S8_PS3_S9_ ; -- Begin function _ZN2at6native12_GLOBAL__N_135GammaBetaBackwardCUDAKernelTemplateIffLj64ELj16ELj128ELb0ELb1ELb0EEEvllPKT_S5_PKT0_S8_PS3_S9_
	.p2align	8
	.type	_ZN2at6native12_GLOBAL__N_135GammaBetaBackwardCUDAKernelTemplateIffLj64ELj16ELj128ELb0ELb1ELb0EEEvllPKT_S5_PKT0_S8_PS3_S9_,@function
_ZN2at6native12_GLOBAL__N_135GammaBetaBackwardCUDAKernelTemplateIffLj64ELj16ELj128ELb0ELb1ELb0EEEvllPKT_S5_PKT0_S8_PS3_S9_: ; @_ZN2at6native12_GLOBAL__N_135GammaBetaBackwardCUDAKernelTemplateIffLj64ELj16ELj128ELb0ELb1ELb0EEEvllPKT_S5_PKT0_S8_PS3_S9_
; %bb.0:
	s_load_dwordx4 s[20:23], s[4:5], 0x0
	s_lshl_b32 s2, s7, 7
	s_mov_b32 s3, 0
	s_waitcnt lgkmcnt(0)
	v_cmp_gt_i64_e64 s0, s[20:21], s[2:3]
	s_and_b32 vcc_lo, exec_lo, s0
	s_cbranch_vccnz .LBB56_2
; %bb.1:
	s_mov_b32 s0, s3
	s_branch .LBB56_3
.LBB56_2:
	s_mov_b32 s0, -1
.LBB56_3:
	s_load_dwordx4 s[16:19], s[4:5], 0x30
	v_mov_b32_e32 v17, 0
	v_mov_b32_e32 v2, 0
	s_andn2_b32 vcc_lo, exec_lo, s0
	s_cbranch_vccnz .LBB56_10
; %bb.4:
	s_clause 0x2
	s_load_dword s0, s[4:5], 0x4c
	s_load_dword s1, s[4:5], 0x44
	s_load_dwordx8 s[8:15], s[4:5], 0x10
	v_lshlrev_b32_e32 v2, 3, v1
	v_mov_b32_e32 v3, 0
	v_mov_b32_e32 v8, 8
	;; [unrolled: 1-line block ×4, first 2 shown]
	v_add_co_u32 v4, s4, v2, s2
	v_add_co_ci_u32_e64 v5, null, 0, 0, s4
	v_lshl_add_u32 v2, s6, 6, v0
	v_mul_lo_u32 v17, s23, v4
	v_mad_u64_u32 v[6:7], null, s22, v4, 0
	v_mul_lo_u32 v18, s22, v5
	v_mov_b32_e32 v11, 16
	v_mov_b32_e32 v12, 20
	;; [unrolled: 1-line block ×3, first 2 shown]
	s_waitcnt lgkmcnt(0)
	s_and_b32 s0, s0, 0xffff
	s_lshl_b32 s4, s1, 7
	v_mad_u32_u24 v15, v1, s0, v0
	s_mul_i32 s1, s23, s4
	v_add3_u32 v7, v7, v18, v17
	s_mul_hi_u32 s7, s22, s4
	v_mov_b32_e32 v14, 28
	v_and_b32_e32 v19, 31, v15
	v_lshlrev_b64 v[15:16], 2, v[2:3]
	v_lshlrev_b64 v[17:18], 2, v[6:7]
	v_mov_b32_e32 v2, 0
	s_mov_b32 s5, 0
	v_add_co_u32 v4, vcc_lo, v4, v19
	v_add_co_ci_u32_e64 v5, null, 0, v5, vcc_lo
	v_add_co_u32 v15, vcc_lo, v17, v15
	v_cmp_gt_u32_e64 s0, 8, v19
	v_lshlrev_b64 v[6:7], 2, v[4:5]
	v_add_co_ci_u32_e64 v16, null, v18, v16, vcc_lo
	v_mov_b32_e32 v17, 0
	s_add_i32 s27, s7, s1
	s_mul_i32 s26, s22, s4
	s_lshl_b64 s[24:25], s[4:5], 2
	s_lshl_b64 s[26:27], s[26:27], 2
	;; [unrolled: 1-line block ×3, first 2 shown]
	s_branch .LBB56_7
.LBB56_5:                               ;   in Loop: Header=BB56_7 Depth=1
	s_or_b32 exec_lo, exec_lo, s5
.LBB56_6:                               ;   in Loop: Header=BB56_7 Depth=1
	s_or_b32 exec_lo, exec_lo, s1
	v_add_co_u32 v20, vcc_lo, s8, v15
	v_add_co_ci_u32_e64 v21, null, s9, v16, vcc_lo
	v_add_co_u32 v22, vcc_lo, s10, v15
	v_add_co_ci_u32_e64 v23, null, s11, v16, vcc_lo
	global_load_dword v30, v[20:21], off
	v_add_co_u32 v20, vcc_lo, v20, s22
	v_add_co_ci_u32_e64 v21, null, s23, v21, vcc_lo
	v_add_co_u32 v24, vcc_lo, v22, s22
	v_add_co_ci_u32_e64 v25, null, s23, v23, vcc_lo
	;; [unrolled: 2-line block ×4, first 2 shown]
	global_load_dword v31, v[22:23], off
	global_load_dword v32, v[20:21], off
	;; [unrolled: 1-line block ×5, first 2 shown]
	v_add_co_u32 v20, vcc_lo, v28, s22
	v_add_co_ci_u32_e64 v21, null, s23, v29, vcc_lo
	v_add_co_u32 v22, vcc_lo, v26, s22
	v_add_co_ci_u32_e64 v23, null, s23, v27, vcc_lo
	global_load_dword v36, v[20:21], off
	v_add_co_u32 v24, vcc_lo, v22, s22
	v_add_co_ci_u32_e64 v25, null, s23, v23, vcc_lo
	v_add_co_u32 v20, vcc_lo, v20, s22
	v_add_co_ci_u32_e64 v21, null, s23, v21, vcc_lo
	;; [unrolled: 2-line block ×4, first 2 shown]
	s_clause 0x1
	global_load_dword v37, v[22:23], off
	global_load_dword v24, v[24:25], off
	;; [unrolled: 1-line block ×5, first 2 shown]
	v_add_co_u32 v20, vcc_lo, v28, s22
	v_add_co_ci_u32_e64 v21, null, s23, v29, vcc_lo
	v_add_co_u32 v22, vcc_lo, v26, s22
	v_add_co_ci_u32_e64 v23, null, s23, v27, vcc_lo
	global_load_dword v26, v[20:21], off
	v_add_co_u32 v20, vcc_lo, v20, s22
	v_add_co_ci_u32_e64 v21, null, s23, v21, vcc_lo
	global_load_dword v27, v[22:23], off
	global_load_dword v28, v[20:21], off
	v_add_co_u32 v20, vcc_lo, v22, s22
	v_add_co_ci_u32_e64 v21, null, s23, v23, vcc_lo
	s_waitcnt vmcnt(16)
	ds_bpermute_b32 v22, v9, v19
	s_waitcnt vmcnt(15)
	ds_bpermute_b32 v23, v3, v18
	ds_bpermute_b32 v29, v8, v19
	global_load_dword v20, v[20:21], off
	ds_bpermute_b32 v21, v3, v19
	ds_bpermute_b32 v40, v9, v18
	;; [unrolled: 1-line block ×5, first 2 shown]
	s_add_u32 s2, s2, s4
	v_add_co_u32 v6, vcc_lo, v6, s24
	s_addc_u32 s3, s3, 0
	v_add_co_ci_u32_e64 v7, null, s25, v7, vcc_lo
	v_add_co_u32 v4, vcc_lo, v4, s4
	v_cmp_lt_i64_e64 s1, s[2:3], s[20:21]
	v_add_co_ci_u32_e64 v5, null, 0, v5, vcc_lo
	v_add_co_u32 v15, vcc_lo, v15, s26
	v_add_co_ci_u32_e64 v16, null, s27, v16, vcc_lo
	s_and_b32 vcc_lo, exec_lo, s1
	s_waitcnt vmcnt(15)
	v_add_f32_e32 v17, v17, v30
	s_waitcnt vmcnt(14) lgkmcnt(4)
	v_sub_f32_e32 v21, v31, v21
	ds_bpermute_b32 v31, v8, v18
	s_waitcnt vmcnt(12)
	v_sub_f32_e32 v22, v33, v22
	ds_bpermute_b32 v33, v10, v18
	v_add_f32_e32 v17, v17, v32
	v_mul_f32_e32 v21, v30, v21
	ds_bpermute_b32 v30, v12, v18
	s_waitcnt vmcnt(11)
	v_add_f32_e32 v17, v17, v34
	v_fmac_f32_e32 v2, v21, v23
	v_mul_f32_e32 v21, v32, v22
	s_waitcnt vmcnt(10)
	v_sub_f32_e32 v22, v35, v29
	ds_bpermute_b32 v23, v11, v18
	ds_bpermute_b32 v29, v13, v19
	;; [unrolled: 1-line block ×3, first 2 shown]
	s_waitcnt lgkmcnt(9)
	v_fmac_f32_e32 v2, v21, v40
	v_mul_f32_e32 v21, v34, v22
	s_waitcnt vmcnt(9) lgkmcnt(8)
	v_sub_f32_e32 v22, v36, v41
	s_waitcnt lgkmcnt(5)
	v_fmac_f32_e32 v2, v21, v31
	s_waitcnt vmcnt(8)
	v_mul_f32_e32 v21, v37, v22
	v_add_f32_e32 v17, v17, v37
	s_waitcnt vmcnt(6)
	v_sub_f32_e32 v22, v25, v42
	ds_bpermute_b32 v25, v13, v18
	ds_bpermute_b32 v18, v14, v18
	s_waitcnt lgkmcnt(6)
	v_fmac_f32_e32 v2, v21, v33
	v_add_f32_e32 v17, v17, v24
	v_mul_f32_e32 v21, v24, v22
	s_waitcnt vmcnt(4)
	v_sub_f32_e32 v22, v39, v43
	v_add_f32_e32 v17, v17, v38
	s_waitcnt lgkmcnt(4)
	v_fmac_f32_e32 v2, v21, v23
	v_mul_f32_e32 v21, v38, v22
	s_waitcnt vmcnt(3) lgkmcnt(3)
	v_sub_f32_e32 v22, v26, v29
	v_fmac_f32_e32 v2, v21, v30
	s_waitcnt vmcnt(2)
	v_mul_f32_e32 v21, v27, v22
	s_waitcnt vmcnt(1) lgkmcnt(2)
	v_sub_f32_e32 v19, v28, v19
	v_add_f32_e32 v17, v17, v27
	s_waitcnt lgkmcnt(1)
	v_fmac_f32_e32 v2, v21, v25
	s_waitcnt vmcnt(0)
	v_mul_f32_e32 v19, v20, v19
	v_add_f32_e32 v17, v17, v20
	s_waitcnt lgkmcnt(0)
	v_fmac_f32_e32 v2, v19, v18
	s_cbranch_vccz .LBB56_10
.LBB56_7:                               ; =>This Inner Loop Header: Depth=1
	v_mov_b32_e32 v18, 0
	v_mov_b32_e32 v19, 0
	s_and_saveexec_b32 s1, s0
	s_cbranch_execz .LBB56_6
; %bb.8:                                ;   in Loop: Header=BB56_7 Depth=1
	v_mov_b32_e32 v19, 0
	v_mov_b32_e32 v18, 0
	s_mov_b32 s5, exec_lo
	v_cmpx_gt_i64_e64 s[20:21], v[4:5]
	s_cbranch_execz .LBB56_5
; %bb.9:                                ;   in Loop: Header=BB56_7 Depth=1
	v_add_co_u32 v18, vcc_lo, s12, v6
	v_add_co_ci_u32_e64 v19, null, s13, v7, vcc_lo
	v_add_co_u32 v20, vcc_lo, s14, v6
	v_add_co_ci_u32_e64 v21, null, s15, v7, vcc_lo
	global_load_dword v19, v[18:19], off
	global_load_dword v18, v[20:21], off
	s_branch .LBB56_5
.LBB56_10:
	v_mad_u32_u24 v3, 0x41, v1, v0
	s_mov_b32 s0, exec_lo
	v_lshl_add_u32 v4, v3, 2, 0
	v_sub_nc_u32_e32 v3, v3, v1
	ds_write_b32 v4, v2
	ds_write_b32 v4, v17 offset:4160
	s_waitcnt lgkmcnt(0)
	s_barrier
	buffer_gl0_inv
	v_cmpx_gt_u32_e32 0x800, v3
	s_cbranch_execz .LBB56_26
; %bb.11:
	v_and_b32_e32 v1, 31, v0
	v_lshrrev_b32_e32 v2, 5, v3
                                        ; implicit-def: $vgpr7
	v_cmp_gt_u32_e64 s0, 16, v1
	v_mul_u32_u24_e32 v4, 0x41, v1
                                        ; implicit-def: $vgpr1
	s_and_saveexec_b32 s1, s0
	s_cbranch_execz .LBB56_13
; %bb.12:
	v_add_nc_u32_e32 v1, v2, v4
	v_lshl_add_u32 v1, v1, 2, 0
	ds_read_b32 v7, v1
	ds_read_b32 v1, v1 offset:4160
.LBB56_13:
	s_or_b32 exec_lo, exec_lo, s1
	v_mbcnt_lo_u32_b32 v8, -1, 0
	s_mov_b32 s7, 0
	v_cmp_eq_u32_e64 s1, 0, v0
	s_lshl_b64 s[2:3], s[6:7], 6
	s_cmp_lg_u64 s[16:17], 0
	v_xor_b32_e32 v5, 8, v8
	v_xor_b32_e32 v6, 4, v8
	;; [unrolled: 1-line block ×3, first 2 shown]
	s_cselect_b32 s5, -1, 0
	s_cmp_lg_u64 s[18:19], 0
	v_cmp_gt_i32_e32 vcc_lo, 32, v5
	s_cselect_b32 s4, -1, 0
	v_cndmask_b32_e32 v5, v8, v5, vcc_lo
	v_cmp_gt_i32_e32 vcc_lo, 32, v6
	v_lshlrev_b32_e32 v5, 2, v5
	v_cndmask_b32_e32 v6, v8, v6, vcc_lo
	s_waitcnt lgkmcnt(1)
	ds_bpermute_b32 v9, v5, v7
	s_waitcnt lgkmcnt(1)
	ds_bpermute_b32 v10, v5, v1
	v_lshlrev_b32_e32 v6, 2, v6
	s_waitcnt lgkmcnt(1)
	v_add_f32_e32 v9, v7, v9
	s_waitcnt lgkmcnt(0)
	v_add_f32_e32 v1, v1, v10
	v_xor_b32_e32 v7, 2, v8
	ds_bpermute_b32 v10, v6, v9
	ds_bpermute_b32 v11, v6, v1
	v_cmp_gt_i32_e32 vcc_lo, 32, v7
	v_cndmask_b32_e32 v7, v8, v7, vcc_lo
	v_cmp_gt_i32_e32 vcc_lo, 32, v12
	v_lshlrev_b32_e32 v7, 2, v7
	v_cndmask_b32_e32 v8, v8, v12, vcc_lo
	v_lshlrev_b32_e32 v8, 2, v8
	s_waitcnt lgkmcnt(1)
	v_add_f32_e32 v9, v9, v10
	s_waitcnt lgkmcnt(0)
	v_add_f32_e32 v1, v1, v11
	ds_bpermute_b32 v10, v7, v9
	ds_bpermute_b32 v11, v7, v1
	s_waitcnt lgkmcnt(1)
	v_add_f32_e32 v9, v9, v10
	s_waitcnt lgkmcnt(0)
	v_add_f32_e32 v1, v1, v11
	ds_bpermute_b32 v10, v8, v9
	ds_bpermute_b32 v11, v8, v1
	s_waitcnt lgkmcnt(1)
	v_add_f32_e32 v9, v9, v10
	s_waitcnt lgkmcnt(0)
	v_add_f32_e32 v10, v1, v11
	s_and_saveexec_b32 s6, s1
	s_cbranch_execz .LBB56_18
; %bb.14:
	v_mov_b32_e32 v1, s3
	v_or_b32_e32 v0, s2, v2
	s_andn2_b32 vcc_lo, exec_lo, s5
	v_lshlrev_b64 v[0:1], 2, v[0:1]
	s_cbranch_vccnz .LBB56_16
; %bb.15:
	v_add_co_u32 v11, vcc_lo, s16, v0
	v_add_co_ci_u32_e64 v12, null, s17, v1, vcc_lo
	global_store_dword v[11:12], v9, off
.LBB56_16:
	s_andn2_b32 vcc_lo, exec_lo, s4
	s_cbranch_vccnz .LBB56_18
; %bb.17:
	v_add_co_u32 v0, vcc_lo, s18, v0
	v_add_co_ci_u32_e64 v1, null, s19, v1, vcc_lo
	global_store_dword v[0:1], v10, off
.LBB56_18:
	s_or_b32 exec_lo, exec_lo, s6
	v_cmp_gt_u32_e32 vcc_lo, 0x400, v3
	s_and_b32 exec_lo, exec_lo, vcc_lo
	s_cbranch_execz .LBB56_26
; %bb.19:
	s_and_saveexec_b32 s6, s0
	s_cbranch_execz .LBB56_21
; %bb.20:
	v_add_nc_u32_e32 v0, v2, v4
	v_lshl_add_u32 v0, v0, 2, 0
	ds_read_b32 v9, v0 offset:128
	ds_read_b32 v10, v0 offset:4288
.LBB56_21:
	s_or_b32 exec_lo, exec_lo, s6
	s_waitcnt lgkmcnt(1)
	ds_bpermute_b32 v0, v5, v9
	s_waitcnt lgkmcnt(1)
	ds_bpermute_b32 v1, v5, v10
	s_waitcnt lgkmcnt(1)
	v_add_f32_e32 v0, v9, v0
	s_waitcnt lgkmcnt(0)
	v_add_f32_e32 v1, v10, v1
	ds_bpermute_b32 v3, v6, v0
	ds_bpermute_b32 v4, v6, v1
	s_waitcnt lgkmcnt(1)
	v_add_f32_e32 v0, v0, v3
	s_waitcnt lgkmcnt(0)
	v_add_f32_e32 v1, v1, v4
	ds_bpermute_b32 v3, v7, v0
	;; [unrolled: 6-line block ×3, first 2 shown]
	ds_bpermute_b32 v1, v8, v0
	s_and_b32 exec_lo, exec_lo, s1
	s_cbranch_execz .LBB56_26
; %bb.22:
	s_andn2_b32 vcc_lo, exec_lo, s5
	s_cbranch_vccnz .LBB56_24
; %bb.23:
	v_add_co_u32 v5, s0, s2, v2
	v_add_co_ci_u32_e64 v6, null, s3, 0, s0
	s_waitcnt lgkmcnt(1)
	v_add_f32_e32 v7, v3, v4
	v_lshlrev_b64 v[5:6], 2, v[5:6]
	v_add_co_u32 v3, vcc_lo, s16, v5
	v_add_co_ci_u32_e64 v4, null, s17, v6, vcc_lo
	global_store_dword v[3:4], v7, off offset:128
.LBB56_24:
	s_andn2_b32 vcc_lo, exec_lo, s4
	s_cbranch_vccnz .LBB56_26
; %bb.25:
	v_add_co_u32 v2, s0, s2, v2
	v_add_co_ci_u32_e64 v3, null, s3, 0, s0
	s_waitcnt lgkmcnt(0)
	v_add_f32_e32 v4, v0, v1
	v_lshlrev_b64 v[2:3], 2, v[2:3]
	v_add_co_u32 v0, vcc_lo, s18, v2
	v_add_co_ci_u32_e64 v1, null, s19, v3, vcc_lo
	global_store_dword v[0:1], v4, off offset:128
.LBB56_26:
	s_endpgm
	.section	.rodata,"a",@progbits
	.p2align	6, 0x0
	.amdhsa_kernel _ZN2at6native12_GLOBAL__N_135GammaBetaBackwardCUDAKernelTemplateIffLj64ELj16ELj128ELb0ELb1ELb0EEEvllPKT_S5_PKT0_S8_PS3_S9_
		.amdhsa_group_segment_fixed_size 0
		.amdhsa_private_segment_fixed_size 0
		.amdhsa_kernarg_size 320
		.amdhsa_user_sgpr_count 6
		.amdhsa_user_sgpr_private_segment_buffer 1
		.amdhsa_user_sgpr_dispatch_ptr 0
		.amdhsa_user_sgpr_queue_ptr 0
		.amdhsa_user_sgpr_kernarg_segment_ptr 1
		.amdhsa_user_sgpr_dispatch_id 0
		.amdhsa_user_sgpr_flat_scratch_init 0
		.amdhsa_user_sgpr_private_segment_size 0
		.amdhsa_wavefront_size32 1
		.amdhsa_uses_dynamic_stack 0
		.amdhsa_system_sgpr_private_segment_wavefront_offset 0
		.amdhsa_system_sgpr_workgroup_id_x 1
		.amdhsa_system_sgpr_workgroup_id_y 1
		.amdhsa_system_sgpr_workgroup_id_z 0
		.amdhsa_system_sgpr_workgroup_info 0
		.amdhsa_system_vgpr_workitem_id 1
		.amdhsa_next_free_vgpr 44
		.amdhsa_next_free_sgpr 28
		.amdhsa_reserve_vcc 1
		.amdhsa_reserve_flat_scratch 0
		.amdhsa_float_round_mode_32 0
		.amdhsa_float_round_mode_16_64 0
		.amdhsa_float_denorm_mode_32 3
		.amdhsa_float_denorm_mode_16_64 3
		.amdhsa_dx10_clamp 1
		.amdhsa_ieee_mode 1
		.amdhsa_fp16_overflow 0
		.amdhsa_workgroup_processor_mode 1
		.amdhsa_memory_ordered 1
		.amdhsa_forward_progress 1
		.amdhsa_shared_vgpr_count 0
		.amdhsa_exception_fp_ieee_invalid_op 0
		.amdhsa_exception_fp_denorm_src 0
		.amdhsa_exception_fp_ieee_div_zero 0
		.amdhsa_exception_fp_ieee_overflow 0
		.amdhsa_exception_fp_ieee_underflow 0
		.amdhsa_exception_fp_ieee_inexact 0
		.amdhsa_exception_int_div_zero 0
	.end_amdhsa_kernel
	.section	.text._ZN2at6native12_GLOBAL__N_135GammaBetaBackwardCUDAKernelTemplateIffLj64ELj16ELj128ELb0ELb1ELb0EEEvllPKT_S5_PKT0_S8_PS3_S9_,"axG",@progbits,_ZN2at6native12_GLOBAL__N_135GammaBetaBackwardCUDAKernelTemplateIffLj64ELj16ELj128ELb0ELb1ELb0EEEvllPKT_S5_PKT0_S8_PS3_S9_,comdat
.Lfunc_end56:
	.size	_ZN2at6native12_GLOBAL__N_135GammaBetaBackwardCUDAKernelTemplateIffLj64ELj16ELj128ELb0ELb1ELb0EEEvllPKT_S5_PKT0_S8_PS3_S9_, .Lfunc_end56-_ZN2at6native12_GLOBAL__N_135GammaBetaBackwardCUDAKernelTemplateIffLj64ELj16ELj128ELb0ELb1ELb0EEEvllPKT_S5_PKT0_S8_PS3_S9_
                                        ; -- End function
	.set _ZN2at6native12_GLOBAL__N_135GammaBetaBackwardCUDAKernelTemplateIffLj64ELj16ELj128ELb0ELb1ELb0EEEvllPKT_S5_PKT0_S8_PS3_S9_.num_vgpr, 44
	.set _ZN2at6native12_GLOBAL__N_135GammaBetaBackwardCUDAKernelTemplateIffLj64ELj16ELj128ELb0ELb1ELb0EEEvllPKT_S5_PKT0_S8_PS3_S9_.num_agpr, 0
	.set _ZN2at6native12_GLOBAL__N_135GammaBetaBackwardCUDAKernelTemplateIffLj64ELj16ELj128ELb0ELb1ELb0EEEvllPKT_S5_PKT0_S8_PS3_S9_.numbered_sgpr, 28
	.set _ZN2at6native12_GLOBAL__N_135GammaBetaBackwardCUDAKernelTemplateIffLj64ELj16ELj128ELb0ELb1ELb0EEEvllPKT_S5_PKT0_S8_PS3_S9_.num_named_barrier, 0
	.set _ZN2at6native12_GLOBAL__N_135GammaBetaBackwardCUDAKernelTemplateIffLj64ELj16ELj128ELb0ELb1ELb0EEEvllPKT_S5_PKT0_S8_PS3_S9_.private_seg_size, 0
	.set _ZN2at6native12_GLOBAL__N_135GammaBetaBackwardCUDAKernelTemplateIffLj64ELj16ELj128ELb0ELb1ELb0EEEvllPKT_S5_PKT0_S8_PS3_S9_.uses_vcc, 1
	.set _ZN2at6native12_GLOBAL__N_135GammaBetaBackwardCUDAKernelTemplateIffLj64ELj16ELj128ELb0ELb1ELb0EEEvllPKT_S5_PKT0_S8_PS3_S9_.uses_flat_scratch, 0
	.set _ZN2at6native12_GLOBAL__N_135GammaBetaBackwardCUDAKernelTemplateIffLj64ELj16ELj128ELb0ELb1ELb0EEEvllPKT_S5_PKT0_S8_PS3_S9_.has_dyn_sized_stack, 0
	.set _ZN2at6native12_GLOBAL__N_135GammaBetaBackwardCUDAKernelTemplateIffLj64ELj16ELj128ELb0ELb1ELb0EEEvllPKT_S5_PKT0_S8_PS3_S9_.has_recursion, 0
	.set _ZN2at6native12_GLOBAL__N_135GammaBetaBackwardCUDAKernelTemplateIffLj64ELj16ELj128ELb0ELb1ELb0EEEvllPKT_S5_PKT0_S8_PS3_S9_.has_indirect_call, 0
	.section	.AMDGPU.csdata,"",@progbits
; Kernel info:
; codeLenInByte = 2012
; TotalNumSgprs: 30
; NumVgprs: 44
; ScratchSize: 0
; MemoryBound: 0
; FloatMode: 240
; IeeeMode: 1
; LDSByteSize: 0 bytes/workgroup (compile time only)
; SGPRBlocks: 0
; VGPRBlocks: 5
; NumSGPRsForWavesPerEU: 30
; NumVGPRsForWavesPerEU: 44
; Occupancy: 16
; WaveLimiterHint : 0
; COMPUTE_PGM_RSRC2:SCRATCH_EN: 0
; COMPUTE_PGM_RSRC2:USER_SGPR: 6
; COMPUTE_PGM_RSRC2:TRAP_HANDLER: 0
; COMPUTE_PGM_RSRC2:TGID_X_EN: 1
; COMPUTE_PGM_RSRC2:TGID_Y_EN: 1
; COMPUTE_PGM_RSRC2:TGID_Z_EN: 0
; COMPUTE_PGM_RSRC2:TIDIG_COMP_CNT: 1
	.section	.text._ZN2at6native12_GLOBAL__N_135GammaBetaBackwardCUDAKernelTemplateIffLj64ELj16ELj128ELb0ELb0ELb0EEEvllPKT_S5_PKT0_S8_PS3_S9_,"axG",@progbits,_ZN2at6native12_GLOBAL__N_135GammaBetaBackwardCUDAKernelTemplateIffLj64ELj16ELj128ELb0ELb0ELb0EEEvllPKT_S5_PKT0_S8_PS3_S9_,comdat
	.globl	_ZN2at6native12_GLOBAL__N_135GammaBetaBackwardCUDAKernelTemplateIffLj64ELj16ELj128ELb0ELb0ELb0EEEvllPKT_S5_PKT0_S8_PS3_S9_ ; -- Begin function _ZN2at6native12_GLOBAL__N_135GammaBetaBackwardCUDAKernelTemplateIffLj64ELj16ELj128ELb0ELb0ELb0EEEvllPKT_S5_PKT0_S8_PS3_S9_
	.p2align	8
	.type	_ZN2at6native12_GLOBAL__N_135GammaBetaBackwardCUDAKernelTemplateIffLj64ELj16ELj128ELb0ELb0ELb0EEEvllPKT_S5_PKT0_S8_PS3_S9_,@function
_ZN2at6native12_GLOBAL__N_135GammaBetaBackwardCUDAKernelTemplateIffLj64ELj16ELj128ELb0ELb0ELb0EEEvllPKT_S5_PKT0_S8_PS3_S9_: ; @_ZN2at6native12_GLOBAL__N_135GammaBetaBackwardCUDAKernelTemplateIffLj64ELj16ELj128ELb0ELb0ELb0EEEvllPKT_S5_PKT0_S8_PS3_S9_
; %bb.0:
	s_clause 0x1
	s_load_dwordx8 s[12:19], s[4:5], 0x0
	s_load_dwordx4 s[20:23], s[4:5], 0x20
	s_lshl_b32 s30, s6, 6
	s_mov_b32 s11, 0
	s_or_b32 s10, s30, 63
	s_waitcnt lgkmcnt(0)
	v_cmp_le_i64_e64 s0, s[14:15], s[10:11]
	s_lshl_b32 s10, s7, 7
	v_cmp_gt_i64_e64 s7, s[12:13], s[10:11]
	s_and_b32 vcc_lo, exec_lo, s0
	v_cndmask_b32_e64 v2, 0, 1, s7
	v_cmp_ne_u32_e64 s0, 1, v2
	s_cbranch_vccz .LBB57_49
; %bb.1:
	v_mov_b32_e32 v49, 0
	v_mov_b32_e32 v55, 0
	s_and_b32 vcc_lo, exec_lo, s0
	s_cbranch_vccnz .LBB57_50
; %bb.2:
	v_lshlrev_b32_e32 v21, 3, v1
	v_mov_b32_e32 v2, 0
	v_add_nc_u32_e32 v5, s30, v0
	s_load_dword s1, s[4:5], 0x44
	s_add_u32 s2, s4, 64
	v_add_co_u32 v11, s0, v21, s10
	v_add_co_ci_u32_e64 v12, null, 0, 0, s0
	v_mov_b32_e32 v6, v2
	v_mul_lo_u32 v7, s15, v11
	v_mad_u64_u32 v[3:4], null, s14, v11, 0
	v_mul_lo_u32 v8, s14, v12
	v_cmp_gt_i64_e64 s0, s[14:15], v[5:6]
	v_lshlrev_b64 v[19:20], 2, v[5:6]
	s_addc_u32 s3, s5, 0
	v_mov_b32_e32 v56, 0
	v_mov_b32_e32 v49, 0
	s_mov_b64 s[26:27], s[10:11]
	v_add3_u32 v4, v4, v8, v7
	v_add_co_u32 v7, vcc_lo, v11, 7
	v_add_co_ci_u32_e64 v8, null, 0, v12, vcc_lo
	v_lshlrev_b64 v[5:6], 2, v[3:4]
	v_mul_lo_u32 v13, s15, v7
	s_waitcnt lgkmcnt(0)
	s_lshl_b32 s28, s1, 7
	v_mul_lo_u32 v14, s14, v8
	v_mad_u64_u32 v[7:8], null, s14, v7, 0
	v_add_co_u32 v22, vcc_lo, s16, v5
	v_add_co_ci_u32_e64 v23, null, s17, v6, vcc_lo
	v_add_co_u32 v9, vcc_lo, v11, 6
	v_add_co_ci_u32_e64 v10, null, 0, v12, vcc_lo
	v_add_co_u32 v24, vcc_lo, s18, v5
	v_mul_lo_u32 v15, s15, v9
	v_mul_lo_u32 v16, s14, v10
	v_mad_u64_u32 v[9:10], null, s14, v9, 0
	v_add3_u32 v8, v8, v14, v13
	v_add_co_ci_u32_e64 v25, null, s19, v6, vcc_lo
	v_add_co_u32 v13, vcc_lo, v11, 5
	v_add_co_ci_u32_e64 v14, null, 0, v12, vcc_lo
	v_add3_u32 v10, v10, v16, v15
	v_lshlrev_b64 v[5:6], 2, v[7:8]
	v_mul_lo_u32 v15, s15, v13
	v_mul_lo_u32 v14, s14, v14
	s_mul_i32 s1, s15, s28
	v_lshlrev_b64 v[7:8], 2, v[9:10]
	v_mad_u64_u32 v[9:10], null, s14, v13, 0
	v_add_co_u32 v26, vcc_lo, s16, v5
	v_add_co_ci_u32_e64 v27, null, s17, v6, vcc_lo
	v_add_co_u32 v28, vcc_lo, s18, v5
	v_add_co_ci_u32_e64 v29, null, s19, v6, vcc_lo
	v_add_co_u32 v30, vcc_lo, s16, v7
	v_add3_u32 v10, v10, v14, v15
	s_mul_hi_u32 s8, s14, s28
	v_add_co_ci_u32_e64 v31, null, s17, v8, vcc_lo
	v_add_co_u32 v13, vcc_lo, v11, 4
	s_add_i32 s9, s8, s1
	v_add_co_u32 v32, s1, s18, v7
	v_add_co_ci_u32_e64 v7, null, 0, v12, vcc_lo
	v_lshlrev_b64 v[5:6], 2, v[9:10]
	v_add_co_u32 v9, vcc_lo, v11, 3
	v_add_co_ci_u32_e64 v10, null, 0, v12, vcc_lo
	v_add_co_ci_u32_e64 v33, null, s19, v8, s1
	v_mul_lo_u32 v14, s15, v13
	v_mul_lo_u32 v15, s14, v7
	v_mad_u64_u32 v[7:8], null, s14, v13, 0
	v_mul_lo_u32 v13, s15, v9
	v_mul_lo_u32 v16, s14, v10
	v_mad_u64_u32 v[9:10], null, s14, v9, 0
	v_add_co_u32 v34, vcc_lo, s16, v5
	v_add_co_ci_u32_e64 v35, null, s17, v6, vcc_lo
	v_add3_u32 v8, v8, v15, v14
	v_add_co_u32 v36, vcc_lo, s18, v5
	v_add_co_ci_u32_e64 v37, null, s19, v6, vcc_lo
	v_add_co_u32 v11, vcc_lo, v11, 2
	v_add3_u32 v10, v10, v16, v13
	v_add_co_ci_u32_e64 v12, null, 0, v12, vcc_lo
	v_lshlrev_b64 v[5:6], 2, v[7:8]
	v_mul_lo_u32 v13, s15, v11
	v_lshlrev_b64 v[7:8], 2, v[9:10]
	v_mul_lo_u32 v12, s14, v12
	v_mad_u64_u32 v[9:10], null, s14, v11, 0
	v_add_co_u32 v38, vcc_lo, s16, v5
	v_add_co_ci_u32_e64 v39, null, s17, v6, vcc_lo
	v_add_co_u32 v40, vcc_lo, s18, v5
	v_add_co_ci_u32_e64 v41, null, s19, v6, vcc_lo
	;; [unrolled: 2-line block ×3, first 2 shown]
	v_add3_u32 v10, v10, v12, v13
	v_add_co_u32 v44, vcc_lo, s18, v7
	v_add_co_ci_u32_e64 v45, null, s19, v8, vcc_lo
	v_add_co_u32 v3, vcc_lo, v3, s14
	v_add_co_ci_u32_e64 v4, null, s15, v4, vcc_lo
	v_lshlrev_b64 v[5:6], 2, v[9:10]
	s_mul_i32 s8, s14, s28
	v_lshlrev_b64 v[3:4], 2, v[3:4]
	s_lshl_b64 s[8:9], s[8:9], 2
	s_add_u32 s24, s10, 0x7f
	v_add_co_u32 v46, vcc_lo, s16, v5
	v_add_co_ci_u32_e64 v47, null, s17, v6, vcc_lo
	v_add_co_u32 v48, vcc_lo, s18, v5
	v_add_co_ci_u32_e64 v50, null, s19, v6, vcc_lo
	;; [unrolled: 2-line block ×4, first 2 shown]
	s_addc_u32 s25, 0, 0
.LBB57_3:                               ; =>This Inner Loop Header: Depth=1
	v_cmp_ge_i64_e64 s1, s[24:25], s[12:13]
	v_add_co_u32 v57, s29, v21, s24
	v_add_co_ci_u32_e64 v58, null, 0, s25, s29
                                        ; implicit-def: $vgpr3_vgpr4_vgpr5_vgpr6_vgpr7_vgpr8_vgpr9_vgpr10
                                        ; implicit-def: $vgpr60
                                        ; implicit-def: $vgpr11_vgpr12_vgpr13_vgpr14_vgpr15_vgpr16_vgpr17_vgpr18
                                        ; implicit-def: $vgpr3
	s_and_b32 vcc_lo, exec_lo, s1
	s_mov_b32 s1, -1
                                        ; implicit-def: $vgpr4
                                        ; implicit-def: $vgpr55
	s_cbranch_vccz .LBB57_25
; %bb.4:                                ;   in Loop: Header=BB57_3 Depth=1
	s_load_dword s1, s[2:3], 0xc
	v_mov_b32_e32 v60, 0
	v_mov_b32_e32 v59, 0
	s_waitcnt lgkmcnt(0)
	s_and_b32 s1, s1, 0xffff
	v_mad_u32_u24 v3, v1, s1, v0
	s_mov_b32 s1, exec_lo
	v_and_b32_e32 v3, 31, v3
	v_cmpx_gt_u32_e32 8, v3
	s_cbranch_execz .LBB57_8
; %bb.5:                                ;   in Loop: Header=BB57_3 Depth=1
	v_add_co_u32 v3, vcc_lo, v57, v3
	v_add_co_ci_u32_e64 v4, null, 0, v58, vcc_lo
	v_mov_b32_e32 v59, 0
	v_add_co_u32 v3, vcc_lo, 0xffffff81, v3
	v_add_co_ci_u32_e64 v4, null, -1, v4, vcc_lo
	v_mov_b32_e32 v60, 0
	s_mov_b32 s29, exec_lo
	v_cmpx_gt_i64_e64 s[12:13], v[3:4]
	s_cbranch_execz .LBB57_7
; %bb.6:                                ;   in Loop: Header=BB57_3 Depth=1
	v_lshlrev_b64 v[3:4], 2, v[3:4]
	v_add_co_u32 v5, vcc_lo, s20, v3
	v_add_co_ci_u32_e64 v6, null, s21, v4, vcc_lo
	v_add_co_u32 v3, vcc_lo, s22, v3
	v_add_co_ci_u32_e64 v4, null, s23, v4, vcc_lo
	global_load_dword v59, v[5:6], off
	global_load_dword v60, v[3:4], off
.LBB57_7:                               ;   in Loop: Header=BB57_3 Depth=1
	s_or_b32 exec_lo, exec_lo, s29
.LBB57_8:                               ;   in Loop: Header=BB57_3 Depth=1
	s_or_b32 exec_lo, exec_lo, s1
	v_add_co_u32 v10, vcc_lo, 0xffffff81, v57
	v_add_co_ci_u32_e64 v11, null, -1, v58, vcc_lo
	v_mov_b32_e32 v9, v2
	v_mov_b32_e32 v3, v2
	v_mov_b32_e32 v4, v2
	v_mov_b32_e32 v5, v2
	v_mov_b32_e32 v6, v2
	v_mov_b32_e32 v7, v2
	v_mov_b32_e32 v8, v2
	v_cmp_gt_i64_e32 vcc_lo, s[12:13], v[10:11]
	v_mov_b32_e32 v18, v9
	v_mov_b32_e32 v15, v6
	;; [unrolled: 1-line block ×16, first 2 shown]
	s_and_b32 s29, s0, vcc_lo
	s_and_saveexec_b32 s1, s29
	s_cbranch_execz .LBB57_10
; %bb.9:                                ;   in Loop: Header=BB57_3 Depth=1
	v_add_co_u32 v3, vcc_lo, v22, v19
	v_add_co_ci_u32_e64 v4, null, v23, v20, vcc_lo
	v_add_co_u32 v5, vcc_lo, v24, v19
	v_add_co_ci_u32_e64 v6, null, v25, v20, vcc_lo
	global_load_dword v3, v[3:4], off
	global_load_dword v11, v[5:6], off
	v_mov_b32_e32 v4, v2
	v_mov_b32_e32 v5, v2
	;; [unrolled: 1-line block ×14, first 2 shown]
.LBB57_10:                              ;   in Loop: Header=BB57_3 Depth=1
	s_or_b32 exec_lo, exec_lo, s1
	v_add_co_u32 v61, vcc_lo, 0xffffff82, v57
	v_add_co_ci_u32_e64 v62, null, -1, v58, vcc_lo
	v_cmp_gt_i64_e32 vcc_lo, s[12:13], v[61:62]
	s_and_b32 s29, s0, vcc_lo
	s_and_saveexec_b32 s1, s29
	s_cbranch_execz .LBB57_12
; %bb.11:                               ;   in Loop: Header=BB57_3 Depth=1
	v_add_co_u32 v61, vcc_lo, v51, v19
	v_add_co_ci_u32_e64 v62, null, v52, v20, vcc_lo
	v_add_co_u32 v63, vcc_lo, v53, v19
	v_add_co_ci_u32_e64 v64, null, v54, v20, vcc_lo
	global_load_dword v4, v[61:62], off
	global_load_dword v12, v[63:64], off
.LBB57_12:                              ;   in Loop: Header=BB57_3 Depth=1
	s_or_b32 exec_lo, exec_lo, s1
	v_add_co_u32 v61, vcc_lo, 0xffffff83, v57
	v_add_co_ci_u32_e64 v62, null, -1, v58, vcc_lo
	v_cmp_gt_i64_e32 vcc_lo, s[12:13], v[61:62]
	s_and_b32 s29, s0, vcc_lo
	s_and_saveexec_b32 s1, s29
	s_cbranch_execz .LBB57_14
; %bb.13:                               ;   in Loop: Header=BB57_3 Depth=1
	v_add_co_u32 v61, vcc_lo, v46, v19
	v_add_co_ci_u32_e64 v62, null, v47, v20, vcc_lo
	v_add_co_u32 v63, vcc_lo, v48, v19
	v_add_co_ci_u32_e64 v64, null, v50, v20, vcc_lo
	global_load_dword v5, v[61:62], off
	global_load_dword v13, v[63:64], off
.LBB57_14:                              ;   in Loop: Header=BB57_3 Depth=1
	;; [unrolled: 15-line block ×7, first 2 shown]
	s_or_b32 exec_lo, exec_lo, s1
	s_waitcnt vmcnt(1)
	ds_bpermute_b32 v55, v2, v59
	ds_bpermute_b32 v61, v2, v59 offset:4
	ds_bpermute_b32 v62, v2, v59 offset:8
	s_waitcnt vmcnt(0)
	ds_bpermute_b32 v63, v2, v60
	ds_bpermute_b32 v64, v2, v59 offset:12
	ds_bpermute_b32 v65, v2, v60 offset:4
	;; [unrolled: 1-line block ×4, first 2 shown]
	v_add_f32_e32 v68, v49, v3
	ds_bpermute_b32 v69, v2, v60 offset:12
	ds_bpermute_b32 v70, v2, v59 offset:20
	s_mov_b32 s1, 0
	s_waitcnt lgkmcnt(9)
	v_sub_f32_e32 v11, v11, v55
	s_waitcnt lgkmcnt(8)
	v_sub_f32_e32 v12, v12, v61
	ds_bpermute_b32 v61, v2, v59 offset:24
	s_waitcnt lgkmcnt(8)
	v_sub_f32_e32 v13, v13, v62
	ds_bpermute_b32 v62, v2, v60 offset:20
	v_mul_f32_e32 v3, v3, v11
	ds_bpermute_b32 v11, v2, v60 offset:16
	v_mul_f32_e32 v12, v4, v12
	v_mul_f32_e32 v13, v5, v13
	v_add_f32_e32 v4, v4, v68
	s_waitcnt lgkmcnt(9)
	v_fma_f32 v55, v3, v63, v56
	s_waitcnt lgkmcnt(8)
	v_sub_f32_e32 v3, v14, v64
	ds_bpermute_b32 v63, v2, v60 offset:24
	ds_bpermute_b32 v60, v2, v60 offset:28
	v_add_f32_e32 v4, v5, v4
	s_waitcnt lgkmcnt(9)
	v_fmac_f32_e32 v55, v12, v65
	s_waitcnt lgkmcnt(8)
	v_sub_f32_e32 v12, v15, v66
	v_mul_f32_e32 v14, v6, v3
	ds_bpermute_b32 v3, v2, v59 offset:28
	s_waitcnt lgkmcnt(6)
	v_sub_f32_e32 v5, v16, v70
	v_fmac_f32_e32 v55, v13, v67
	v_mul_f32_e32 v12, v7, v12
	v_add_f32_e32 v4, v6, v4
	s_waitcnt lgkmcnt(5)
	v_sub_f32_e32 v6, v17, v61
	v_mul_f32_e32 v5, v8, v5
	v_fmac_f32_e32 v55, v14, v69
	v_add_f32_e32 v4, v7, v4
	v_mul_f32_e32 v6, v9, v6
	s_waitcnt lgkmcnt(3)
	v_fmac_f32_e32 v55, v12, v11
	v_add_f32_e32 v4, v8, v4
	v_fmac_f32_e32 v55, v5, v62
	v_add_f32_e32 v4, v9, v4
	s_waitcnt lgkmcnt(2)
	v_fmac_f32_e32 v55, v6, v63
.LBB57_25:                              ;   in Loop: Header=BB57_3 Depth=1
	s_and_b32 vcc_lo, exec_lo, s1
	s_cbranch_vccz .LBB57_40
; %bb.26:                               ;   in Loop: Header=BB57_3 Depth=1
	s_load_dword s1, s[2:3], 0x0
	v_mov_b32_e32 v59, 0
	v_mov_b32_e32 v55, 0
	s_waitcnt lgkmcnt(0)
	s_cmp_lt_u32 s6, s1
	s_cselect_b32 s1, 12, 18
	s_add_u32 s34, s2, s1
	s_addc_u32 s35, s3, 0
	s_mov_b32 s1, exec_lo
	global_load_ushort v3, v2, s[34:35]
	s_waitcnt vmcnt(0)
	v_mad_u32_u24 v3, v1, v3, v0
	v_and_b32_e32 v3, 31, v3
	v_cmpx_gt_u32_e32 8, v3
	s_cbranch_execz .LBB57_30
; %bb.27:                               ;   in Loop: Header=BB57_3 Depth=1
	v_add_co_u32 v3, vcc_lo, v57, v3
	v_add_co_ci_u32_e64 v4, null, 0, v58, vcc_lo
	v_mov_b32_e32 v55, 0
	v_add_co_u32 v3, vcc_lo, 0xffffff81, v3
	v_add_co_ci_u32_e64 v4, null, -1, v4, vcc_lo
	v_mov_b32_e32 v59, 0
	s_mov_b32 s29, exec_lo
	v_cmpx_gt_i64_e64 s[12:13], v[3:4]
	s_cbranch_execz .LBB57_29
; %bb.28:                               ;   in Loop: Header=BB57_3 Depth=1
	v_lshlrev_b64 v[3:4], 2, v[3:4]
	v_add_co_u32 v5, vcc_lo, s20, v3
	v_add_co_ci_u32_e64 v6, null, s21, v4, vcc_lo
	v_add_co_u32 v3, vcc_lo, s22, v3
	v_add_co_ci_u32_e64 v4, null, s23, v4, vcc_lo
	global_load_dword v55, v[5:6], off
	global_load_dword v59, v[3:4], off
.LBB57_29:                              ;   in Loop: Header=BB57_3 Depth=1
	s_or_b32 exec_lo, exec_lo, s29
.LBB57_30:                              ;   in Loop: Header=BB57_3 Depth=1
	s_or_b32 exec_lo, exec_lo, s1
	v_mov_b32_e32 v9, v2
	v_mov_b32_e32 v3, v2
	;; [unrolled: 1-line block ×23, first 2 shown]
	s_and_saveexec_b32 s1, s0
	s_cbranch_execnz .LBB57_42
; %bb.31:                               ;   in Loop: Header=BB57_3 Depth=1
	s_or_b32 exec_lo, exec_lo, s1
	s_and_saveexec_b32 s1, s0
	s_cbranch_execnz .LBB57_43
.LBB57_32:                              ;   in Loop: Header=BB57_3 Depth=1
	s_or_b32 exec_lo, exec_lo, s1
	s_and_saveexec_b32 s1, s0
	s_cbranch_execnz .LBB57_44
.LBB57_33:                              ;   in Loop: Header=BB57_3 Depth=1
	s_or_b32 exec_lo, exec_lo, s1
	s_and_saveexec_b32 s1, s0
	s_cbranch_execnz .LBB57_45
.LBB57_34:                              ;   in Loop: Header=BB57_3 Depth=1
	s_or_b32 exec_lo, exec_lo, s1
	s_and_saveexec_b32 s1, s0
	s_cbranch_execnz .LBB57_46
.LBB57_35:                              ;   in Loop: Header=BB57_3 Depth=1
	s_or_b32 exec_lo, exec_lo, s1
	s_and_saveexec_b32 s1, s0
	s_cbranch_execnz .LBB57_47
.LBB57_36:                              ;   in Loop: Header=BB57_3 Depth=1
	s_or_b32 exec_lo, exec_lo, s1
	s_and_saveexec_b32 s1, s0
	s_cbranch_execnz .LBB57_48
.LBB57_37:                              ;   in Loop: Header=BB57_3 Depth=1
	s_or_b32 exec_lo, exec_lo, s1
	s_and_saveexec_b32 s1, s0
	s_cbranch_execz .LBB57_39
.LBB57_38:                              ;   in Loop: Header=BB57_3 Depth=1
	v_add_co_u32 v57, vcc_lo, v26, v19
	v_add_co_ci_u32_e64 v58, null, v27, v20, vcc_lo
	v_add_co_u32 v60, vcc_lo, v28, v19
	v_add_co_ci_u32_e64 v61, null, v29, v20, vcc_lo
	global_load_dword v10, v[57:58], off
	global_load_dword v18, v[60:61], off
.LBB57_39:                              ;   in Loop: Header=BB57_3 Depth=1
	s_or_b32 exec_lo, exec_lo, s1
	s_waitcnt vmcnt(1)
	ds_bpermute_b32 v57, v2, v55
	ds_bpermute_b32 v58, v2, v55 offset:4
	ds_bpermute_b32 v60, v2, v55 offset:8
	s_waitcnt vmcnt(0)
	ds_bpermute_b32 v61, v2, v59
	ds_bpermute_b32 v62, v2, v55 offset:12
	ds_bpermute_b32 v63, v2, v59 offset:4
	;; [unrolled: 1-line block ×5, first 2 shown]
	s_waitcnt lgkmcnt(8)
	v_sub_f32_e32 v11, v11, v57
	ds_bpermute_b32 v57, v2, v59 offset:12
	s_waitcnt lgkmcnt(8)
	v_sub_f32_e32 v12, v12, v58
	s_waitcnt lgkmcnt(7)
	v_sub_f32_e32 v13, v13, v60
	ds_bpermute_b32 v58, v2, v59 offset:20
	v_mul_f32_e32 v11, v3, v11
	v_add_f32_e32 v3, v49, v3
	ds_bpermute_b32 v49, v2, v59 offset:16
	v_mul_f32_e32 v12, v4, v12
	s_waitcnt lgkmcnt(7)
	v_sub_f32_e32 v14, v14, v62
	v_fmac_f32_e32 v56, v11, v61
	ds_bpermute_b32 v11, v2, v55 offset:24
	v_mul_f32_e32 v13, v5, v13
	v_add_f32_e32 v3, v4, v3
	s_waitcnt lgkmcnt(6)
	v_sub_f32_e32 v4, v15, v64
	v_fmac_f32_e32 v56, v12, v63
	v_mul_f32_e32 v12, v6, v14
	s_waitcnt lgkmcnt(4)
	v_sub_f32_e32 v14, v16, v66
	v_add_f32_e32 v5, v5, v3
	v_mul_f32_e32 v4, v7, v4
	v_fmac_f32_e32 v56, v13, v65
	ds_bpermute_b32 v13, v2, v59 offset:24
	ds_bpermute_b32 v60, v2, v59 offset:28
	;; [unrolled: 1-line block ×3, first 2 shown]
	v_add_f32_e32 v5, v6, v5
	s_waitcnt lgkmcnt(6)
	v_fmac_f32_e32 v56, v12, v57
	v_mul_f32_e32 v6, v8, v14
	v_add_f32_e32 v5, v7, v5
	s_waitcnt lgkmcnt(4)
	v_fmac_f32_e32 v56, v4, v49
	s_waitcnt lgkmcnt(3)
	v_sub_f32_e32 v4, v17, v11
	v_add_f32_e32 v5, v8, v5
	v_fmac_f32_e32 v56, v6, v58
	v_mul_f32_e32 v4, v9, v4
	s_waitcnt lgkmcnt(2)
	v_fmac_f32_e32 v56, v4, v13
	v_add_f32_e32 v4, v9, v5
	v_mov_b32_e32 v55, v56
.LBB57_40:                              ;   in Loop: Header=BB57_3 Depth=1
	v_add_co_u32 v22, vcc_lo, v22, s8
	v_add_co_ci_u32_e64 v23, null, s9, v23, vcc_lo
	v_add_co_u32 v24, vcc_lo, v24, s8
	v_add_co_ci_u32_e64 v25, null, s9, v25, vcc_lo
	;; [unrolled: 2-line block ×10, first 2 shown]
	v_add_co_u32 v42, vcc_lo, v42, s8
	s_waitcnt lgkmcnt(0)
	v_sub_f32_e32 v3, v18, v3
	v_add_co_ci_u32_e64 v43, null, s9, v43, vcc_lo
	v_add_co_u32 v44, vcc_lo, v44, s8
	v_add_co_ci_u32_e64 v45, null, s9, v45, vcc_lo
	v_add_co_u32 v46, vcc_lo, v46, s8
	s_add_u32 s26, s26, s28
	v_add_co_ci_u32_e64 v47, null, s9, v47, vcc_lo
	v_add_co_u32 v48, vcc_lo, v48, s8
	v_mul_f32_e32 v3, v10, v3
	s_addc_u32 s27, s27, 0
	v_add_co_ci_u32_e64 v50, null, s9, v50, vcc_lo
	v_add_co_u32 v51, vcc_lo, v51, s8
	v_cmp_lt_i64_e64 s1, s[26:27], s[12:13]
	v_add_co_ci_u32_e64 v52, null, s9, v52, vcc_lo
	v_add_co_u32 v53, vcc_lo, v53, s8
	v_add_f32_e32 v49, v4, v10
	v_fmac_f32_e32 v55, v3, v60
	v_add_co_ci_u32_e64 v54, null, s9, v54, vcc_lo
	s_add_u32 s24, s24, s28
	s_addc_u32 s25, s25, 0
	s_and_b32 vcc_lo, exec_lo, s1
	s_cbranch_vccz .LBB57_50
; %bb.41:                               ;   in Loop: Header=BB57_3 Depth=1
	v_mov_b32_e32 v56, v55
	s_branch .LBB57_3
.LBB57_42:                              ;   in Loop: Header=BB57_3 Depth=1
	v_add_co_u32 v3, vcc_lo, v22, v19
	v_add_co_ci_u32_e64 v4, null, v23, v20, vcc_lo
	v_add_co_u32 v5, vcc_lo, v24, v19
	v_add_co_ci_u32_e64 v6, null, v25, v20, vcc_lo
	global_load_dword v3, v[3:4], off
	global_load_dword v11, v[5:6], off
	v_mov_b32_e32 v4, v2
	v_mov_b32_e32 v5, v2
	;; [unrolled: 1-line block ×14, first 2 shown]
	s_or_b32 exec_lo, exec_lo, s1
	s_and_saveexec_b32 s1, s0
	s_cbranch_execz .LBB57_32
.LBB57_43:                              ;   in Loop: Header=BB57_3 Depth=1
	v_add_co_u32 v57, vcc_lo, v51, v19
	v_add_co_ci_u32_e64 v58, null, v52, v20, vcc_lo
	v_add_co_u32 v60, vcc_lo, v53, v19
	v_add_co_ci_u32_e64 v61, null, v54, v20, vcc_lo
	global_load_dword v4, v[57:58], off
	global_load_dword v12, v[60:61], off
	s_or_b32 exec_lo, exec_lo, s1
	s_and_saveexec_b32 s1, s0
	s_cbranch_execz .LBB57_33
.LBB57_44:                              ;   in Loop: Header=BB57_3 Depth=1
	v_add_co_u32 v57, vcc_lo, v46, v19
	v_add_co_ci_u32_e64 v58, null, v47, v20, vcc_lo
	v_add_co_u32 v60, vcc_lo, v48, v19
	v_add_co_ci_u32_e64 v61, null, v50, v20, vcc_lo
	global_load_dword v5, v[57:58], off
	global_load_dword v13, v[60:61], off
	s_or_b32 exec_lo, exec_lo, s1
	s_and_saveexec_b32 s1, s0
	s_cbranch_execz .LBB57_34
.LBB57_45:                              ;   in Loop: Header=BB57_3 Depth=1
	v_add_co_u32 v57, vcc_lo, v42, v19
	v_add_co_ci_u32_e64 v58, null, v43, v20, vcc_lo
	v_add_co_u32 v60, vcc_lo, v44, v19
	v_add_co_ci_u32_e64 v61, null, v45, v20, vcc_lo
	global_load_dword v6, v[57:58], off
	global_load_dword v14, v[60:61], off
	s_or_b32 exec_lo, exec_lo, s1
	s_and_saveexec_b32 s1, s0
	s_cbranch_execz .LBB57_35
.LBB57_46:                              ;   in Loop: Header=BB57_3 Depth=1
	v_add_co_u32 v57, vcc_lo, v38, v19
	v_add_co_ci_u32_e64 v58, null, v39, v20, vcc_lo
	v_add_co_u32 v60, vcc_lo, v40, v19
	v_add_co_ci_u32_e64 v61, null, v41, v20, vcc_lo
	global_load_dword v7, v[57:58], off
	global_load_dword v15, v[60:61], off
	s_or_b32 exec_lo, exec_lo, s1
	s_and_saveexec_b32 s1, s0
	s_cbranch_execz .LBB57_36
.LBB57_47:                              ;   in Loop: Header=BB57_3 Depth=1
	v_add_co_u32 v57, vcc_lo, v34, v19
	v_add_co_ci_u32_e64 v58, null, v35, v20, vcc_lo
	v_add_co_u32 v60, vcc_lo, v36, v19
	v_add_co_ci_u32_e64 v61, null, v37, v20, vcc_lo
	global_load_dword v8, v[57:58], off
	global_load_dword v16, v[60:61], off
	s_or_b32 exec_lo, exec_lo, s1
	s_and_saveexec_b32 s1, s0
	s_cbranch_execz .LBB57_37
.LBB57_48:                              ;   in Loop: Header=BB57_3 Depth=1
	v_add_co_u32 v57, vcc_lo, v30, v19
	v_add_co_ci_u32_e64 v58, null, v31, v20, vcc_lo
	v_add_co_u32 v60, vcc_lo, v32, v19
	v_add_co_ci_u32_e64 v61, null, v33, v20, vcc_lo
	global_load_dword v9, v[57:58], off
	global_load_dword v17, v[60:61], off
	s_or_b32 exec_lo, exec_lo, s1
	s_and_saveexec_b32 s1, s0
	s_cbranch_execnz .LBB57_38
	s_branch .LBB57_39
.LBB57_49:
                                        ; implicit-def: $vgpr49
                                        ; implicit-def: $vgpr55
	s_branch .LBB57_51
.LBB57_50:
	s_cbranch_execnz .LBB57_82
.LBB57_51:
	v_mov_b32_e32 v49, 0
	v_mov_b32_e32 v55, 0
	s_andn2_b32 vcc_lo, exec_lo, s7
	s_cbranch_vccnz .LBB57_82
; %bb.52:
	s_load_dword s0, s[4:5], 0x44
	v_lshlrev_b32_e32 v50, 3, v1
	s_add_u32 s24, s4, 64
	s_addc_u32 s25, s5, 0
	v_lshlrev_b32_e32 v8, 5, v1
	v_add_co_u32 v4, s1, v50, s10
	v_add_co_ci_u32_e64 v5, null, 0, 0, s1
	v_mul_lo_u32 v6, s15, v4
	v_mad_u64_u32 v[2:3], null, s14, v4, 0
	v_mul_lo_u32 v7, s14, v5
	s_waitcnt lgkmcnt(0)
	s_lshl_b32 s31, s0, 7
	v_add3_u32 v3, v3, v7, v6
	s_mul_i32 s1, s15, s31
	s_mul_hi_u32 s2, s14, s31
	s_mul_i32 s0, s14, s31
	s_add_i32 s1, s2, s1
	v_lshlrev_b64 v[6:7], 2, v[2:3]
	s_lshl_b64 s[26:27], s[0:1], 2
	s_add_u32 s28, s10, 0x7f
	s_addc_u32 s29, 0, 0
	s_lshl_b64 s[0:1], s[10:11], 2
	v_add_co_u32 v8, s0, v8, s0
	v_add_co_ci_u32_e64 v9, null, 0, s1, s0
	v_add_co_u32 v10, vcc_lo, v8, 4
	v_add_co_ci_u32_e64 v11, null, 0, v9, vcc_lo
	v_add_co_u32 v51, vcc_lo, s16, v6
	v_add_co_ci_u32_e64 v52, null, s17, v7, vcc_lo
	;; [unrolled: 2-line block ×6, first 2 shown]
	v_add_co_u32 v41, vcc_lo, v8, 20
	v_mad_u64_u32 v[21:22], null, s14, v6, s[16:17]
	v_mul_lo_u32 v7, s14, v7
	v_mul_lo_u32 v15, s15, v6
	v_mad_u64_u32 v[35:36], null, s14, v6, s[18:19]
	v_add_co_ci_u32_e64 v29, null, 0, v9, vcc_lo
	v_add_co_u32 v43, vcc_lo, v8, 24
	v_add_co_ci_u32_e64 v31, null, 0, v9, vcc_lo
	v_add_co_u32 v8, vcc_lo, v8, 28
	v_mad_u64_u32 v[19:20], null, s14, v10, s[16:17]
	v_mul_lo_u32 v11, s14, v11
	v_mul_lo_u32 v12, s15, v10
	v_mad_u64_u32 v[33:34], null, s14, v10, s[18:19]
	v_add_co_ci_u32_e64 v9, null, 0, v9, vcc_lo
	v_add_co_u32 v6, vcc_lo, v4, 7
	v_add3_u32 v22, v15, v22, v7
	v_add3_u32 v36, v15, v36, v7
	v_add_co_ci_u32_e64 v7, null, 0, v5, vcc_lo
	v_mul_lo_u32 v57, s14, v9
	v_add_co_u32 v9, vcc_lo, v4, 6
	v_add3_u32 v20, v12, v20, v11
	v_add3_u32 v34, v12, v34, v11
	v_add_co_ci_u32_e64 v12, null, 0, v5, vcc_lo
	v_mul_lo_u32 v10, s15, v6
	v_mul_lo_u32 v11, s14, v7
	v_mad_u64_u32 v[6:7], null, s14, v6, 0
	v_mad_u64_u32 v[23:24], null, s14, v13, s[16:17]
	v_mul_lo_u32 v17, s15, v13
	v_mul_lo_u32 v55, s14, v31
	v_mad_u64_u32 v[31:32], null, s14, v8, s[16:17]
	v_mul_lo_u32 v58, s15, v8
	v_mad_u64_u32 v[37:38], null, s14, v13, s[18:19]
	v_mad_u64_u32 v[45:46], null, s14, v8, s[18:19]
	v_mul_lo_u32 v13, s15, v9
	v_mul_lo_u32 v12, s14, v12
	v_mad_u64_u32 v[8:9], null, s14, v9, 0
	v_add3_u32 v7, v7, v11, v10
	v_add_co_u32 v10, vcc_lo, v4, 5
	v_mul_lo_u32 v48, s14, v29
	v_mad_u64_u32 v[29:30], null, s14, v43, s[16:17]
	v_mul_lo_u32 v56, s15, v43
	v_mad_u64_u32 v[43:44], null, s14, v43, s[18:19]
	v_add3_u32 v9, v9, v12, v13
	v_add_co_ci_u32_e64 v11, null, 0, v5, vcc_lo
	v_lshlrev_b64 v[6:7], 2, v[6:7]
	v_mul_lo_u32 v12, s15, v10
	v_lshlrev_b64 v[8:9], 2, v[8:9]
	v_mul_lo_u32 v13, s14, v11
	v_mad_u64_u32 v[10:11], null, s14, v10, 0
	v_add3_u32 v30, v56, v30, v55
	v_add3_u32 v44, v56, v44, v55
	v_add_co_u32 v56, vcc_lo, s16, v6
	v_add3_u32 v32, v58, v32, v57
	v_add3_u32 v46, v58, v46, v57
	v_add_co_ci_u32_e64 v57, null, s17, v7, vcc_lo
	v_add_co_u32 v58, vcc_lo, s18, v6
	v_add_co_ci_u32_e64 v59, null, s19, v7, vcc_lo
	v_add_co_u32 v60, vcc_lo, s16, v8
	v_add_co_ci_u32_e64 v61, null, s17, v9, vcc_lo
	v_add3_u32 v11, v11, v13, v12
	v_add_co_u32 v12, vcc_lo, v4, 4
	v_add_co_ci_u32_e64 v13, null, 0, v5, vcc_lo
	v_add_co_u32 v62, vcc_lo, s18, v8
	v_mul_lo_u32 v14, s14, v14
	v_add_co_ci_u32_e64 v63, null, s19, v9, vcc_lo
	v_lshlrev_b64 v[6:7], 2, v[10:11]
	v_mul_lo_u32 v10, s15, v12
	v_mul_lo_u32 v11, s14, v13
	v_mad_u64_u32 v[8:9], null, s14, v12, 0
	v_add_co_u32 v12, vcc_lo, v4, 3
	v_add_co_ci_u32_e64 v13, null, 0, v5, vcc_lo
	v_add_co_u32 v64, vcc_lo, s16, v6
	v_add3_u32 v24, v17, v24, v14
	v_add3_u32 v38, v17, v38, v14
	v_add_co_ci_u32_e64 v65, null, s17, v7, vcc_lo
	v_add3_u32 v9, v9, v11, v10
	v_mul_lo_u32 v14, s15, v12
	v_mad_u64_u32 v[10:11], null, s14, v12, 0
	v_add_co_u32 v12, vcc_lo, v4, 2
	v_mul_lo_u32 v13, s14, v13
	v_add_co_ci_u32_e64 v15, null, 0, v5, vcc_lo
	v_add_co_u32 v66, vcc_lo, s18, v6
	v_lshlrev_b64 v[4:5], 2, v[8:9]
	v_add_co_ci_u32_e64 v67, null, s19, v7, vcc_lo
	v_mul_lo_u32 v8, s15, v12
	v_mul_lo_u32 v9, s14, v15
	v_mad_u64_u32 v[6:7], null, s14, v12, 0
	v_add3_u32 v11, v11, v13, v14
	v_add_co_u32 v68, vcc_lo, s16, v4
	v_add_co_ci_u32_e64 v69, null, s17, v5, vcc_lo
	v_add_co_u32 v70, vcc_lo, s18, v4
	v_add_co_ci_u32_e64 v71, null, s19, v5, vcc_lo
	v_lshlrev_b64 v[4:5], 2, v[10:11]
	v_add3_u32 v7, v7, v9, v8
	v_add_co_u32 v2, vcc_lo, v2, s14
	v_add_co_ci_u32_e64 v3, null, s15, v3, vcc_lo
	v_lshlrev_b64 v[6:7], 2, v[6:7]
	v_add_co_u32 v72, vcc_lo, s16, v4
	v_add_co_ci_u32_e64 v73, null, s17, v5, vcc_lo
	v_add_co_u32 v74, vcc_lo, s18, v4
	v_lshlrev_b64 v[3:4], 2, v[2:3]
	v_mov_b32_e32 v2, 0
	v_mad_u64_u32 v[25:26], null, s14, v16, s[16:17]
	v_mul_lo_u32 v18, s14, v18
	v_mul_lo_u32 v47, s15, v16
	v_mad_u64_u32 v[27:28], null, s14, v41, s[16:17]
	v_mul_lo_u32 v49, s15, v41
	v_mad_u64_u32 v[39:40], null, s14, v16, s[18:19]
	v_mad_u64_u32 v[41:42], null, s14, v41, s[18:19]
	v_add_co_ci_u32_e64 v75, null, s19, v5, vcc_lo
	v_add_co_u32 v76, vcc_lo, s16, v6
	v_add_co_ci_u32_e64 v77, null, s17, v7, vcc_lo
	v_add_co_u32 v78, vcc_lo, s18, v6
	v_add_nc_u32_e32 v5, s30, v0
	v_mov_b32_e32 v6, v2
	v_add_co_ci_u32_e64 v79, null, s19, v7, vcc_lo
	v_add_co_u32 v80, vcc_lo, s16, v3
	v_add_co_ci_u32_e64 v81, null, s17, v4, vcc_lo
	v_add_co_u32 v82, vcc_lo, s18, v3
	v_add3_u32 v26, v47, v26, v18
	v_add3_u32 v28, v49, v28, v48
	;; [unrolled: 1-line block ×4, first 2 shown]
	v_lshlrev_b64 v[47:48], 2, v[5:6]
	v_add_co_ci_u32_e64 v83, null, s19, v4, vcc_lo
	v_mov_b32_e32 v55, 0
	v_mov_b32_e32 v49, 0
	s_branch .LBB57_56
.LBB57_53:                              ;   in Loop: Header=BB57_56 Depth=1
	s_or_b32 exec_lo, exec_lo, s1
.LBB57_54:                              ;   in Loop: Header=BB57_56 Depth=1
	s_or_b32 exec_lo, exec_lo, s0
	v_add_co_u32 v3, vcc_lo, v53, v47
	v_add_co_ci_u32_e64 v4, null, v54, v48, vcc_lo
	v_add_co_u32 v7, vcc_lo, v51, v47
	v_add_co_ci_u32_e64 v8, null, v52, v48, vcc_lo
	global_load_dword v84, v[3:4], off
	global_load_dword v85, v[7:8], off
	v_add_co_u32 v3, vcc_lo, v33, v47
	v_add_co_ci_u32_e64 v4, null, v34, v48, vcc_lo
	v_add_co_u32 v10, s2, v39, v47
	v_add_co_ci_u32_e64 v11, null, v40, v48, s2
	global_load_dword v86, v[3:4], off
	v_add_co_u32 v3, vcc_lo, v19, v47
	v_add_co_ci_u32_e64 v4, null, v20, v48, vcc_lo
	v_add_co_u32 v13, s7, v41, v47
	s_waitcnt vmcnt(4)
	ds_bpermute_b32 v90, v2, v6
	global_load_dword v87, v[3:4], off
	v_add_co_u32 v3, vcc_lo, v35, v47
	v_add_co_ci_u32_e64 v4, null, v36, v48, vcc_lo
	v_add_co_u32 v7, vcc_lo, v21, v47
	v_add_co_ci_u32_e64 v8, null, v22, v48, vcc_lo
	global_load_dword v88, v[3:4], off
	global_load_dword v89, v[7:8], off
	v_add_co_u32 v7, s0, v37, v47
	v_add_co_ci_u32_e64 v8, null, v38, v48, s0
	v_add_co_ci_u32_e64 v14, null, v42, v48, s7
	global_load_dword v11, v[10:11], off
	v_add_co_u32 v3, vcc_lo, v23, v47
	v_add_co_u32 v9, s1, v25, v47
	global_load_dword v91, v[7:8], off
	global_load_dword v14, v[13:14], off
	v_add_co_ci_u32_e64 v4, null, v24, v48, vcc_lo
	v_add_co_ci_u32_e64 v10, null, v26, v48, s1
	s_waitcnt vmcnt(9)
	ds_bpermute_b32 v92, v2, v5
	global_load_dword v93, v[3:4], off
	global_load_dword v9, v[9:10], off
	v_add_co_u32 v12, s3, v27, v47
	v_add_co_u32 v15, s8, v43, v47
	;; [unrolled: 1-line block ×3, first 2 shown]
	v_add_co_ci_u32_e64 v13, null, v28, v48, s3
	v_add_co_ci_u32_e64 v16, null, v44, v48, s8
	;; [unrolled: 1-line block ×3, first 2 shown]
	v_add_co_u32 v7, vcc_lo, v29, v47
	global_load_dword v12, v[12:13], off
	v_add_co_ci_u32_e64 v8, null, v30, v48, vcc_lo
	global_load_dword v13, v[15:16], off
	global_load_dword v15, v[17:18], off
	v_add_co_u32 v3, s0, v31, v47
	global_load_dword v7, v[7:8], off
	ds_bpermute_b32 v8, v2, v6 offset:12
	ds_bpermute_b32 v17, v2, v5 offset:12
	;; [unrolled: 1-line block ×3, first 2 shown]
	s_waitcnt vmcnt(14) lgkmcnt(4)
	v_sub_f32_e32 v4, v84, v90
	s_waitcnt vmcnt(13)
	v_add_f32_e32 v16, v49, v85
	ds_bpermute_b32 v49, v2, v5 offset:24
	v_mul_f32_e32 v10, v85, v4
	v_add_co_ci_u32_e64 v4, null, v32, v48, s0
	s_waitcnt lgkmcnt(4)
	v_fmac_f32_e32 v55, v10, v92
	global_load_dword v10, v[3:4], off
	ds_bpermute_b32 v3, v2, v6 offset:4
	ds_bpermute_b32 v4, v2, v5 offset:4
	s_waitcnt vmcnt(12)
	v_add_f32_e32 v16, v16, v87
	s_waitcnt vmcnt(10)
	v_add_f32_e32 v16, v16, v89
	s_waitcnt lgkmcnt(1)
	v_sub_f32_e32 v3, v86, v3
	v_mul_f32_e32 v3, v87, v3
	s_waitcnt vmcnt(8)
	v_sub_f32_e32 v8, v91, v8
	s_waitcnt lgkmcnt(0)
	v_fmac_f32_e32 v55, v3, v4
	ds_bpermute_b32 v3, v2, v6 offset:8
	ds_bpermute_b32 v4, v2, v5 offset:8
	s_waitcnt vmcnt(6)
	v_mul_f32_e32 v8, v93, v8
	s_waitcnt lgkmcnt(1)
	v_sub_f32_e32 v3, v88, v3
	v_mul_f32_e32 v3, v89, v3
	s_waitcnt lgkmcnt(0)
	v_fmac_f32_e32 v55, v3, v4
	ds_bpermute_b32 v3, v2, v6 offset:16
	ds_bpermute_b32 v4, v2, v6 offset:20
	v_fmac_f32_e32 v55, v8, v17
	v_add_f32_e32 v8, v16, v93
	s_waitcnt vmcnt(5)
	v_add_f32_e32 v8, v8, v9
	s_waitcnt lgkmcnt(1)
	v_sub_f32_e32 v3, v11, v3
	ds_bpermute_b32 v11, v2, v6 offset:24
	ds_bpermute_b32 v6, v2, v6 offset:28
	s_waitcnt lgkmcnt(2)
	v_sub_f32_e32 v4, v14, v4
	ds_bpermute_b32 v14, v2, v5 offset:20
	ds_bpermute_b32 v5, v2, v5 offset:28
	v_mul_f32_e32 v3, v9, v3
	s_waitcnt vmcnt(4)
	v_mul_f32_e32 v4, v12, v4
	v_fmac_f32_e32 v55, v3, v18
	s_waitcnt vmcnt(3) lgkmcnt(3)
	v_sub_f32_e32 v3, v13, v11
	s_waitcnt vmcnt(2) lgkmcnt(2)
	v_sub_f32_e32 v6, v15, v6
	s_waitcnt lgkmcnt(1)
	v_fmac_f32_e32 v55, v4, v14
	v_add_f32_e32 v4, v8, v12
	s_waitcnt vmcnt(1)
	v_mul_f32_e32 v3, v7, v3
	v_fmac_f32_e32 v55, v3, v49
	v_add_f32_e32 v3, v4, v7
	v_mov_b32_e32 v11, v55
	s_waitcnt vmcnt(0)
	v_mul_f32_e32 v6, v10, v6
	s_waitcnt lgkmcnt(0)
	v_mul_f32_e32 v4, v6, v5
.LBB57_55:                              ;   in Loop: Header=BB57_56 Depth=1
	v_add_co_u32 v51, vcc_lo, v51, s26
	v_add_co_ci_u32_e64 v52, null, s27, v52, vcc_lo
	v_add_co_u32 v53, vcc_lo, v53, s26
	v_add_co_ci_u32_e64 v54, null, s27, v54, vcc_lo
	;; [unrolled: 2-line block ×26, first 2 shown]
	v_add_co_u32 v76, vcc_lo, v76, s26
	s_add_u32 s10, s10, s31
	v_add_co_ci_u32_e64 v77, null, s27, v77, vcc_lo
	v_add_co_u32 v78, vcc_lo, v78, s26
	s_addc_u32 s11, s11, 0
	v_add_co_ci_u32_e64 v79, null, s27, v79, vcc_lo
	v_add_co_u32 v80, vcc_lo, v80, s26
	v_cmp_ge_i64_e64 s0, s[10:11], s[12:13]
	v_add_co_ci_u32_e64 v81, null, s27, v81, vcc_lo
	v_add_co_u32 v82, vcc_lo, v82, s26
	v_add_f32_e32 v55, v11, v4
	v_add_f32_e32 v49, v3, v10
	v_add_co_ci_u32_e64 v83, null, s27, v83, vcc_lo
	s_add_u32 s28, s28, s31
	s_addc_u32 s29, s29, 0
	s_and_b32 vcc_lo, exec_lo, s0
	s_cbranch_vccnz .LBB57_82
.LBB57_56:                              ; =>This Inner Loop Header: Depth=1
	v_cmp_ge_i64_e64 s0, s[28:29], s[12:13]
	v_add_co_u32 v84, s1, v50, s28
	v_add_co_ci_u32_e64 v85, null, 0, s29, s1
                                        ; implicit-def: $vgpr10
                                        ; implicit-def: $vgpr4
                                        ; implicit-def: $vgpr3
                                        ; implicit-def: $vgpr11
	s_and_b32 vcc_lo, exec_lo, s0
	s_mov_b32 s0, -1
	s_cbranch_vccz .LBB57_78
; %bb.57:                               ;   in Loop: Header=BB57_56 Depth=1
	s_load_dword s0, s[24:25], 0xc
	v_mov_b32_e32 v87, 0
	v_mov_b32_e32 v86, 0
	s_waitcnt lgkmcnt(0)
	s_and_b32 s0, s0, 0xffff
	v_mad_u32_u24 v3, v1, s0, v0
	s_mov_b32 s0, exec_lo
	v_and_b32_e32 v3, 31, v3
	v_cmpx_gt_u32_e32 8, v3
	s_cbranch_execz .LBB57_61
; %bb.58:                               ;   in Loop: Header=BB57_56 Depth=1
	v_add_co_u32 v3, vcc_lo, v84, v3
	v_add_co_ci_u32_e64 v4, null, 0, v85, vcc_lo
	v_mov_b32_e32 v86, 0
	v_add_co_u32 v3, vcc_lo, 0xffffff81, v3
	v_add_co_ci_u32_e64 v4, null, -1, v4, vcc_lo
	v_mov_b32_e32 v87, 0
	s_mov_b32 s1, exec_lo
	v_cmpx_gt_i64_e64 s[12:13], v[3:4]
	s_cbranch_execz .LBB57_60
; %bb.59:                               ;   in Loop: Header=BB57_56 Depth=1
	v_lshlrev_b64 v[3:4], 2, v[3:4]
	v_add_co_u32 v5, vcc_lo, s20, v3
	v_add_co_ci_u32_e64 v6, null, s21, v4, vcc_lo
	v_add_co_u32 v3, vcc_lo, s22, v3
	v_add_co_ci_u32_e64 v4, null, s23, v4, vcc_lo
	global_load_dword v86, v[5:6], off
	global_load_dword v87, v[3:4], off
.LBB57_60:                              ;   in Loop: Header=BB57_56 Depth=1
	s_or_b32 exec_lo, exec_lo, s1
.LBB57_61:                              ;   in Loop: Header=BB57_56 Depth=1
	s_or_b32 exec_lo, exec_lo, s0
	v_add_co_u32 v10, vcc_lo, 0xffffff81, v84
	v_add_co_ci_u32_e64 v11, null, -1, v85, vcc_lo
	v_mov_b32_e32 v9, v2
	v_mov_b32_e32 v3, v2
	;; [unrolled: 1-line block ×7, first 2 shown]
	v_cmp_gt_i64_e32 vcc_lo, s[12:13], v[10:11]
	v_mov_b32_e32 v18, v9
	v_mov_b32_e32 v15, v6
	;; [unrolled: 1-line block ×16, first 2 shown]
	s_and_saveexec_b32 s0, vcc_lo
	s_cbranch_execz .LBB57_63
; %bb.62:                               ;   in Loop: Header=BB57_56 Depth=1
	v_add_co_u32 v3, vcc_lo, v51, v47
	v_add_co_ci_u32_e64 v4, null, v52, v48, vcc_lo
	v_add_co_u32 v5, vcc_lo, v53, v47
	v_add_co_ci_u32_e64 v6, null, v54, v48, vcc_lo
	global_load_dword v3, v[3:4], off
	global_load_dword v11, v[5:6], off
	v_mov_b32_e32 v4, v2
	v_mov_b32_e32 v5, v2
	;; [unrolled: 1-line block ×14, first 2 shown]
.LBB57_63:                              ;   in Loop: Header=BB57_56 Depth=1
	s_or_b32 exec_lo, exec_lo, s0
	v_add_co_u32 v88, vcc_lo, 0xffffff82, v84
	v_add_co_ci_u32_e64 v89, null, -1, v85, vcc_lo
	s_mov_b32 s0, exec_lo
	v_cmpx_gt_i64_e64 s[12:13], v[88:89]
	s_cbranch_execz .LBB57_65
; %bb.64:                               ;   in Loop: Header=BB57_56 Depth=1
	v_add_co_u32 v88, vcc_lo, v80, v47
	v_add_co_ci_u32_e64 v89, null, v81, v48, vcc_lo
	v_add_co_u32 v90, vcc_lo, v82, v47
	v_add_co_ci_u32_e64 v91, null, v83, v48, vcc_lo
	global_load_dword v4, v[88:89], off
	global_load_dword v12, v[90:91], off
.LBB57_65:                              ;   in Loop: Header=BB57_56 Depth=1
	s_or_b32 exec_lo, exec_lo, s0
	v_add_co_u32 v88, vcc_lo, 0xffffff83, v84
	v_add_co_ci_u32_e64 v89, null, -1, v85, vcc_lo
	s_mov_b32 s0, exec_lo
	v_cmpx_gt_i64_e64 s[12:13], v[88:89]
	s_cbranch_execz .LBB57_67
; %bb.66:                               ;   in Loop: Header=BB57_56 Depth=1
	v_add_co_u32 v88, vcc_lo, v76, v47
	v_add_co_ci_u32_e64 v89, null, v77, v48, vcc_lo
	v_add_co_u32 v90, vcc_lo, v78, v47
	v_add_co_ci_u32_e64 v91, null, v79, v48, vcc_lo
	global_load_dword v5, v[88:89], off
	global_load_dword v13, v[90:91], off
.LBB57_67:                              ;   in Loop: Header=BB57_56 Depth=1
	;; [unrolled: 14-line block ×7, first 2 shown]
	s_or_b32 exec_lo, exec_lo, s0
	s_waitcnt vmcnt(1)
	ds_bpermute_b32 v89, v2, v86
	s_waitcnt vmcnt(0)
	ds_bpermute_b32 v88, v2, v87
	s_mov_b32 s0, 0
	s_waitcnt lgkmcnt(1)
	v_sub_f32_e32 v11, v11, v89
	ds_bpermute_b32 v89, v2, v86 offset:4
	v_mul_f32_e32 v11, v3, v11
	v_add_f32_e32 v3, v49, v3
	s_waitcnt lgkmcnt(1)
	v_fma_f32 v11, v11, v88, v55
	ds_bpermute_b32 v88, v2, v87 offset:4
	v_add_f32_e32 v3, v4, v3
	v_add_f32_e32 v3, v5, v3
	s_waitcnt lgkmcnt(1)
	v_sub_f32_e32 v12, v12, v89
	v_add_f32_e32 v3, v6, v3
	v_mul_f32_e32 v12, v4, v12
	ds_bpermute_b32 v4, v2, v87 offset:8
	v_add_f32_e32 v3, v7, v3
	s_waitcnt lgkmcnt(1)
	v_fmac_f32_e32 v11, v12, v88
	ds_bpermute_b32 v12, v2, v86 offset:8
	v_add_f32_e32 v3, v8, v3
	v_add_f32_e32 v3, v9, v3
	s_waitcnt lgkmcnt(0)
	v_sub_f32_e32 v12, v13, v12
	v_mul_f32_e32 v12, v5, v12
	ds_bpermute_b32 v5, v2, v86 offset:12
	v_fmac_f32_e32 v11, v12, v4
	ds_bpermute_b32 v4, v2, v87 offset:12
	s_waitcnt lgkmcnt(1)
	v_sub_f32_e32 v5, v14, v5
	v_mul_f32_e32 v5, v6, v5
	s_waitcnt lgkmcnt(0)
	v_fmac_f32_e32 v11, v5, v4
	ds_bpermute_b32 v5, v2, v86 offset:16
	ds_bpermute_b32 v4, v2, v87 offset:16
	s_waitcnt lgkmcnt(1)
	v_sub_f32_e32 v5, v15, v5
	v_mul_f32_e32 v5, v7, v5
	s_waitcnt lgkmcnt(0)
	v_fmac_f32_e32 v11, v5, v4
	ds_bpermute_b32 v5, v2, v86 offset:20
	;; [unrolled: 7-line block ×4, first 2 shown]
	ds_bpermute_b32 v4, v2, v87 offset:28
	s_waitcnt lgkmcnt(1)
	v_sub_f32_e32 v5, v18, v5
	v_mul_f32_e32 v5, v10, v5
	s_waitcnt lgkmcnt(0)
	v_mul_f32_e32 v4, v5, v4
.LBB57_78:                              ;   in Loop: Header=BB57_56 Depth=1
	s_and_b32 vcc_lo, exec_lo, s0
	s_cbranch_vccz .LBB57_55
; %bb.79:                               ;   in Loop: Header=BB57_56 Depth=1
	s_load_dword s0, s[24:25], 0x0
	v_mov_b32_e32 v5, 0
	v_mov_b32_e32 v6, 0
	s_waitcnt lgkmcnt(0)
	s_cmp_lt_u32 s6, s0
	s_cselect_b32 s0, 12, 18
	s_add_u32 s0, s24, s0
	s_addc_u32 s1, s25, 0
	global_load_ushort v3, v2, s[0:1]
	s_mov_b32 s0, exec_lo
	s_waitcnt vmcnt(0)
	v_mad_u32_u24 v3, v1, v3, v0
	v_and_b32_e32 v3, 31, v3
	v_cmpx_gt_u32_e32 8, v3
	s_cbranch_execz .LBB57_54
; %bb.80:                               ;   in Loop: Header=BB57_56 Depth=1
	v_add_co_u32 v3, vcc_lo, v84, v3
	v_add_co_ci_u32_e64 v4, null, 0, v85, vcc_lo
	v_mov_b32_e32 v6, 0
	v_add_co_u32 v3, vcc_lo, 0xffffff81, v3
	v_add_co_ci_u32_e64 v4, null, -1, v4, vcc_lo
	v_mov_b32_e32 v5, 0
	s_mov_b32 s1, exec_lo
	v_cmpx_gt_i64_e64 s[12:13], v[3:4]
	s_cbranch_execz .LBB57_53
; %bb.81:                               ;   in Loop: Header=BB57_56 Depth=1
	v_lshlrev_b64 v[3:4], 2, v[3:4]
	v_add_co_u32 v5, vcc_lo, s20, v3
	v_add_co_ci_u32_e64 v6, null, s21, v4, vcc_lo
	v_add_co_u32 v3, vcc_lo, s22, v3
	v_add_co_ci_u32_e64 v4, null, s23, v4, vcc_lo
	global_load_dword v6, v[5:6], off
	global_load_dword v5, v[3:4], off
	s_branch .LBB57_53
.LBB57_82:
	v_mad_u32_u24 v2, 0x41, v1, v0
	s_mov_b32 s0, exec_lo
	v_lshl_add_u32 v3, v2, 2, 0
	v_sub_nc_u32_e32 v4, v2, v1
	ds_write_b32 v3, v55
	ds_write_b32 v3, v49 offset:4160
	s_waitcnt lgkmcnt(0)
	s_barrier
	buffer_gl0_inv
	v_cmpx_gt_u32_e32 0x800, v4
	s_cbranch_execz .LBB57_98
; %bb.83:
	s_load_dwordx4 s[8:11], s[4:5], 0x30
	v_and_b32_e32 v1, 31, v0
	v_lshrrev_b32_e32 v3, 5, v4
                                        ; implicit-def: $vgpr2
	v_cmp_gt_u32_e64 s0, 16, v1
	v_mul_u32_u24_e32 v5, 0x41, v1
                                        ; implicit-def: $vgpr1
	s_and_saveexec_b32 s1, s0
	s_cbranch_execz .LBB57_85
; %bb.84:
	v_add_nc_u32_e32 v1, v3, v5
	v_lshl_add_u32 v1, v1, 2, 0
	ds_read_b32 v2, v1
	ds_read_b32 v1, v1 offset:4160
.LBB57_85:
	s_or_b32 exec_lo, exec_lo, s1
	v_mbcnt_lo_u32_b32 v9, -1, 0
	s_mov_b32 s7, 0
	v_cmp_eq_u32_e64 s1, 0, v0
	s_lshl_b64 s[2:3], s[6:7], 6
	s_waitcnt lgkmcnt(0)
	s_cmp_lg_u64 s[8:9], 0
	v_xor_b32_e32 v6, 8, v9
	v_xor_b32_e32 v7, 4, v9
	;; [unrolled: 1-line block ×3, first 2 shown]
	s_cselect_b32 s5, -1, 0
	s_cmp_lg_u64 s[10:11], 0
	v_cmp_gt_i32_e32 vcc_lo, 32, v6
	s_cselect_b32 s4, -1, 0
	v_cndmask_b32_e32 v6, v9, v6, vcc_lo
	v_cmp_gt_i32_e32 vcc_lo, 32, v7
	v_lshlrev_b32_e32 v6, 2, v6
	v_cndmask_b32_e32 v7, v9, v7, vcc_lo
	ds_bpermute_b32 v8, v6, v2
	ds_bpermute_b32 v10, v6, v1
	v_lshlrev_b32_e32 v7, 2, v7
	s_waitcnt lgkmcnt(1)
	v_add_f32_e32 v2, v2, v8
	s_waitcnt lgkmcnt(0)
	v_add_f32_e32 v1, v1, v10
	v_xor_b32_e32 v8, 2, v9
	ds_bpermute_b32 v10, v7, v2
	ds_bpermute_b32 v11, v7, v1
	v_cmp_gt_i32_e32 vcc_lo, 32, v8
	v_cndmask_b32_e32 v8, v9, v8, vcc_lo
	v_cmp_gt_i32_e32 vcc_lo, 32, v12
	v_lshlrev_b32_e32 v8, 2, v8
	v_cndmask_b32_e32 v9, v9, v12, vcc_lo
	v_lshlrev_b32_e32 v9, 2, v9
	s_waitcnt lgkmcnt(1)
	v_add_f32_e32 v2, v2, v10
	s_waitcnt lgkmcnt(0)
	v_add_f32_e32 v1, v1, v11
	ds_bpermute_b32 v10, v8, v2
	ds_bpermute_b32 v11, v8, v1
	s_waitcnt lgkmcnt(1)
	v_add_f32_e32 v10, v2, v10
	s_waitcnt lgkmcnt(0)
	v_add_f32_e32 v11, v1, v11
	v_or_b32_e32 v1, s2, v3
	v_mov_b32_e32 v2, s3
	ds_bpermute_b32 v12, v9, v10
	ds_bpermute_b32 v13, v9, v11
	v_cmp_gt_i64_e32 vcc_lo, s[14:15], v[1:2]
	s_and_b32 s7, s1, vcc_lo
	s_waitcnt lgkmcnt(1)
	v_add_f32_e32 v10, v10, v12
	s_waitcnt lgkmcnt(0)
	v_add_f32_e32 v11, v11, v13
	s_and_saveexec_b32 s6, s7
	s_cbranch_execz .LBB57_90
; %bb.86:
	v_lshlrev_b64 v[0:1], 2, v[1:2]
	s_andn2_b32 vcc_lo, exec_lo, s5
	s_cbranch_vccnz .LBB57_88
; %bb.87:
	v_add_co_u32 v12, vcc_lo, s8, v0
	v_add_co_ci_u32_e64 v13, null, s9, v1, vcc_lo
	global_store_dword v[12:13], v10, off
.LBB57_88:
	s_andn2_b32 vcc_lo, exec_lo, s4
	s_cbranch_vccnz .LBB57_90
; %bb.89:
	v_add_co_u32 v0, vcc_lo, s10, v0
	v_add_co_ci_u32_e64 v1, null, s11, v1, vcc_lo
	global_store_dword v[0:1], v11, off
.LBB57_90:
	s_or_b32 exec_lo, exec_lo, s6
	v_cmp_gt_u32_e32 vcc_lo, 0x400, v4
	s_and_b32 exec_lo, exec_lo, vcc_lo
	s_cbranch_execz .LBB57_98
; %bb.91:
	s_and_saveexec_b32 s6, s0
	s_cbranch_execz .LBB57_93
; %bb.92:
	v_add_nc_u32_e32 v0, v3, v5
	v_lshl_add_u32 v0, v0, 2, 0
	ds_read_b32 v10, v0 offset:128
	ds_read_b32 v11, v0 offset:4288
.LBB57_93:
	s_or_b32 exec_lo, exec_lo, s6
	s_waitcnt lgkmcnt(1)
	ds_bpermute_b32 v0, v6, v10
	s_waitcnt lgkmcnt(1)
	ds_bpermute_b32 v1, v6, v11
	v_add_nc_u32_e32 v5, 32, v3
	v_mov_b32_e32 v6, s3
	v_or_b32_e32 v5, s2, v5
	v_cmp_gt_i64_e32 vcc_lo, s[14:15], v[5:6]
	s_and_b32 s0, s1, vcc_lo
	s_waitcnt lgkmcnt(1)
	v_add_f32_e32 v0, v10, v0
	s_waitcnt lgkmcnt(0)
	v_add_f32_e32 v1, v11, v1
	ds_bpermute_b32 v2, v7, v0
	ds_bpermute_b32 v4, v7, v1
	s_waitcnt lgkmcnt(1)
	v_add_f32_e32 v0, v0, v2
	s_waitcnt lgkmcnt(0)
	v_add_f32_e32 v1, v1, v4
	ds_bpermute_b32 v2, v8, v0
	ds_bpermute_b32 v4, v8, v1
	;; [unrolled: 6-line block ×3, first 2 shown]
	s_and_b32 exec_lo, exec_lo, s0
	s_cbranch_execz .LBB57_98
; %bb.94:
	s_andn2_b32 vcc_lo, exec_lo, s5
	s_cbranch_vccnz .LBB57_96
; %bb.95:
	v_add_co_u32 v5, s0, s2, v3
	v_add_co_ci_u32_e64 v6, null, s3, 0, s0
	s_waitcnt lgkmcnt(1)
	v_add_f32_e32 v2, v2, v4
	v_lshlrev_b64 v[5:6], 2, v[5:6]
	v_add_co_u32 v4, vcc_lo, s8, v5
	v_add_co_ci_u32_e64 v5, null, s9, v6, vcc_lo
	global_store_dword v[4:5], v2, off offset:128
.LBB57_96:
	s_andn2_b32 vcc_lo, exec_lo, s4
	s_cbranch_vccnz .LBB57_98
; %bb.97:
	v_add_co_u32 v2, s0, s2, v3
	v_add_co_ci_u32_e64 v3, null, s3, 0, s0
	s_waitcnt lgkmcnt(0)
	v_add_f32_e32 v4, v0, v1
	v_lshlrev_b64 v[2:3], 2, v[2:3]
	v_add_co_u32 v0, vcc_lo, s10, v2
	v_add_co_ci_u32_e64 v1, null, s11, v3, vcc_lo
	global_store_dword v[0:1], v4, off offset:128
.LBB57_98:
	s_endpgm
	.section	.rodata,"a",@progbits
	.p2align	6, 0x0
	.amdhsa_kernel _ZN2at6native12_GLOBAL__N_135GammaBetaBackwardCUDAKernelTemplateIffLj64ELj16ELj128ELb0ELb0ELb0EEEvllPKT_S5_PKT0_S8_PS3_S9_
		.amdhsa_group_segment_fixed_size 0
		.amdhsa_private_segment_fixed_size 0
		.amdhsa_kernarg_size 320
		.amdhsa_user_sgpr_count 6
		.amdhsa_user_sgpr_private_segment_buffer 1
		.amdhsa_user_sgpr_dispatch_ptr 0
		.amdhsa_user_sgpr_queue_ptr 0
		.amdhsa_user_sgpr_kernarg_segment_ptr 1
		.amdhsa_user_sgpr_dispatch_id 0
		.amdhsa_user_sgpr_flat_scratch_init 0
		.amdhsa_user_sgpr_private_segment_size 0
		.amdhsa_wavefront_size32 1
		.amdhsa_uses_dynamic_stack 0
		.amdhsa_system_sgpr_private_segment_wavefront_offset 0
		.amdhsa_system_sgpr_workgroup_id_x 1
		.amdhsa_system_sgpr_workgroup_id_y 1
		.amdhsa_system_sgpr_workgroup_id_z 0
		.amdhsa_system_sgpr_workgroup_info 0
		.amdhsa_system_vgpr_workitem_id 1
		.amdhsa_next_free_vgpr 94
		.amdhsa_next_free_sgpr 36
		.amdhsa_reserve_vcc 1
		.amdhsa_reserve_flat_scratch 0
		.amdhsa_float_round_mode_32 0
		.amdhsa_float_round_mode_16_64 0
		.amdhsa_float_denorm_mode_32 3
		.amdhsa_float_denorm_mode_16_64 3
		.amdhsa_dx10_clamp 1
		.amdhsa_ieee_mode 1
		.amdhsa_fp16_overflow 0
		.amdhsa_workgroup_processor_mode 1
		.amdhsa_memory_ordered 1
		.amdhsa_forward_progress 1
		.amdhsa_shared_vgpr_count 0
		.amdhsa_exception_fp_ieee_invalid_op 0
		.amdhsa_exception_fp_denorm_src 0
		.amdhsa_exception_fp_ieee_div_zero 0
		.amdhsa_exception_fp_ieee_overflow 0
		.amdhsa_exception_fp_ieee_underflow 0
		.amdhsa_exception_fp_ieee_inexact 0
		.amdhsa_exception_int_div_zero 0
	.end_amdhsa_kernel
	.section	.text._ZN2at6native12_GLOBAL__N_135GammaBetaBackwardCUDAKernelTemplateIffLj64ELj16ELj128ELb0ELb0ELb0EEEvllPKT_S5_PKT0_S8_PS3_S9_,"axG",@progbits,_ZN2at6native12_GLOBAL__N_135GammaBetaBackwardCUDAKernelTemplateIffLj64ELj16ELj128ELb0ELb0ELb0EEEvllPKT_S5_PKT0_S8_PS3_S9_,comdat
.Lfunc_end57:
	.size	_ZN2at6native12_GLOBAL__N_135GammaBetaBackwardCUDAKernelTemplateIffLj64ELj16ELj128ELb0ELb0ELb0EEEvllPKT_S5_PKT0_S8_PS3_S9_, .Lfunc_end57-_ZN2at6native12_GLOBAL__N_135GammaBetaBackwardCUDAKernelTemplateIffLj64ELj16ELj128ELb0ELb0ELb0EEEvllPKT_S5_PKT0_S8_PS3_S9_
                                        ; -- End function
	.set _ZN2at6native12_GLOBAL__N_135GammaBetaBackwardCUDAKernelTemplateIffLj64ELj16ELj128ELb0ELb0ELb0EEEvllPKT_S5_PKT0_S8_PS3_S9_.num_vgpr, 94
	.set _ZN2at6native12_GLOBAL__N_135GammaBetaBackwardCUDAKernelTemplateIffLj64ELj16ELj128ELb0ELb0ELb0EEEvllPKT_S5_PKT0_S8_PS3_S9_.num_agpr, 0
	.set _ZN2at6native12_GLOBAL__N_135GammaBetaBackwardCUDAKernelTemplateIffLj64ELj16ELj128ELb0ELb0ELb0EEEvllPKT_S5_PKT0_S8_PS3_S9_.numbered_sgpr, 36
	.set _ZN2at6native12_GLOBAL__N_135GammaBetaBackwardCUDAKernelTemplateIffLj64ELj16ELj128ELb0ELb0ELb0EEEvllPKT_S5_PKT0_S8_PS3_S9_.num_named_barrier, 0
	.set _ZN2at6native12_GLOBAL__N_135GammaBetaBackwardCUDAKernelTemplateIffLj64ELj16ELj128ELb0ELb0ELb0EEEvllPKT_S5_PKT0_S8_PS3_S9_.private_seg_size, 0
	.set _ZN2at6native12_GLOBAL__N_135GammaBetaBackwardCUDAKernelTemplateIffLj64ELj16ELj128ELb0ELb0ELb0EEEvllPKT_S5_PKT0_S8_PS3_S9_.uses_vcc, 1
	.set _ZN2at6native12_GLOBAL__N_135GammaBetaBackwardCUDAKernelTemplateIffLj64ELj16ELj128ELb0ELb0ELb0EEEvllPKT_S5_PKT0_S8_PS3_S9_.uses_flat_scratch, 0
	.set _ZN2at6native12_GLOBAL__N_135GammaBetaBackwardCUDAKernelTemplateIffLj64ELj16ELj128ELb0ELb0ELb0EEEvllPKT_S5_PKT0_S8_PS3_S9_.has_dyn_sized_stack, 0
	.set _ZN2at6native12_GLOBAL__N_135GammaBetaBackwardCUDAKernelTemplateIffLj64ELj16ELj128ELb0ELb0ELb0EEEvllPKT_S5_PKT0_S8_PS3_S9_.has_recursion, 0
	.set _ZN2at6native12_GLOBAL__N_135GammaBetaBackwardCUDAKernelTemplateIffLj64ELj16ELj128ELb0ELb0ELb0EEEvllPKT_S5_PKT0_S8_PS3_S9_.has_indirect_call, 0
	.section	.AMDGPU.csdata,"",@progbits
; Kernel info:
; codeLenInByte = 8684
; TotalNumSgprs: 38
; NumVgprs: 94
; ScratchSize: 0
; MemoryBound: 0
; FloatMode: 240
; IeeeMode: 1
; LDSByteSize: 0 bytes/workgroup (compile time only)
; SGPRBlocks: 0
; VGPRBlocks: 11
; NumSGPRsForWavesPerEU: 38
; NumVGPRsForWavesPerEU: 94
; Occupancy: 10
; WaveLimiterHint : 0
; COMPUTE_PGM_RSRC2:SCRATCH_EN: 0
; COMPUTE_PGM_RSRC2:USER_SGPR: 6
; COMPUTE_PGM_RSRC2:TRAP_HANDLER: 0
; COMPUTE_PGM_RSRC2:TGID_X_EN: 1
; COMPUTE_PGM_RSRC2:TGID_Y_EN: 1
; COMPUTE_PGM_RSRC2:TGID_Z_EN: 0
; COMPUTE_PGM_RSRC2:TIDIG_COMP_CNT: 1
	.section	.text._ZN2at6native12_GLOBAL__N_135GammaBetaBackwardCUDAKernelTemplateIffLj64ELj16ELj256ELb0ELb1ELb0EEEvllPKT_S5_PKT0_S8_PS3_S9_,"axG",@progbits,_ZN2at6native12_GLOBAL__N_135GammaBetaBackwardCUDAKernelTemplateIffLj64ELj16ELj256ELb0ELb1ELb0EEEvllPKT_S5_PKT0_S8_PS3_S9_,comdat
	.globl	_ZN2at6native12_GLOBAL__N_135GammaBetaBackwardCUDAKernelTemplateIffLj64ELj16ELj256ELb0ELb1ELb0EEEvllPKT_S5_PKT0_S8_PS3_S9_ ; -- Begin function _ZN2at6native12_GLOBAL__N_135GammaBetaBackwardCUDAKernelTemplateIffLj64ELj16ELj256ELb0ELb1ELb0EEEvllPKT_S5_PKT0_S8_PS3_S9_
	.p2align	8
	.type	_ZN2at6native12_GLOBAL__N_135GammaBetaBackwardCUDAKernelTemplateIffLj64ELj16ELj256ELb0ELb1ELb0EEEvllPKT_S5_PKT0_S8_PS3_S9_,@function
_ZN2at6native12_GLOBAL__N_135GammaBetaBackwardCUDAKernelTemplateIffLj64ELj16ELj256ELb0ELb1ELb0EEEvllPKT_S5_PKT0_S8_PS3_S9_: ; @_ZN2at6native12_GLOBAL__N_135GammaBetaBackwardCUDAKernelTemplateIffLj64ELj16ELj256ELb0ELb1ELb0EEEvllPKT_S5_PKT0_S8_PS3_S9_
; %bb.0:
	s_load_dwordx4 s[20:23], s[4:5], 0x0
	s_lshl_b32 s2, s7, 8
	s_mov_b32 s3, 0
	s_waitcnt lgkmcnt(0)
	v_cmp_gt_i64_e64 s0, s[20:21], s[2:3]
	s_and_b32 vcc_lo, exec_lo, s0
	s_cbranch_vccnz .LBB58_2
; %bb.1:
	s_mov_b32 s0, s3
	s_branch .LBB58_3
.LBB58_2:
	s_mov_b32 s0, -1
.LBB58_3:
	s_load_dwordx4 s[16:19], s[4:5], 0x30
	v_mov_b32_e32 v27, 0
	v_mov_b32_e32 v2, 0
	s_andn2_b32 vcc_lo, exec_lo, s0
	s_cbranch_vccnz .LBB58_10
; %bb.4:
	s_clause 0x2
	s_load_dword s0, s[4:5], 0x4c
	s_load_dword s1, s[4:5], 0x44
	s_load_dwordx8 s[8:15], s[4:5], 0x10
	v_lshlrev_b32_e32 v4, 4, v1
	v_mov_b32_e32 v3, 0
	v_lshl_add_u32 v2, s6, 6, v0
	v_mov_b32_e32 v8, 16
	v_mov_b32_e32 v9, 4
	v_add_co_u32 v4, s4, v4, s2
	v_add_co_ci_u32_e64 v5, null, 0, 0, s4
	v_lshlrev_b64 v[25:26], 2, v[2:3]
	v_mul_lo_u32 v22, s23, v4
	v_mad_u64_u32 v[6:7], null, s22, v4, 0
	v_mul_lo_u32 v23, s22, v5
	v_mov_b32_e32 v10, 8
	v_mov_b32_e32 v11, 12
	;; [unrolled: 1-line block ×3, first 2 shown]
	s_waitcnt lgkmcnt(0)
	s_and_b32 s0, s0, 0xffff
	s_lshl_b32 s4, s1, 8
	v_mad_u32_u24 v18, v1, s0, v0
	s_mul_i32 s1, s23, s4
	v_add3_u32 v7, v7, v23, v22
	s_mul_hi_u32 s7, s22, s4
	v_mov_b32_e32 v13, 24
	v_and_b32_e32 v24, 31, v18
	v_mov_b32_e32 v14, 28
	v_mov_b32_e32 v15, 32
	;; [unrolled: 1-line block ×4, first 2 shown]
	v_cmp_gt_u32_e64 s0, 16, v24
	v_add_co_u32 v4, vcc_lo, v4, v24
	v_lshlrev_b64 v[23:24], 2, v[6:7]
	v_add_co_ci_u32_e64 v5, null, 0, v5, vcc_lo
	v_mov_b32_e32 v18, 44
	v_mov_b32_e32 v19, 48
	v_mov_b32_e32 v20, 52
	v_add_co_u32 v23, vcc_lo, v23, v25
	v_lshlrev_b64 v[6:7], 2, v[4:5]
	v_mov_b32_e32 v21, 56
	v_mov_b32_e32 v22, 60
	v_add_co_ci_u32_e64 v24, null, v24, v26, vcc_lo
	v_mov_b32_e32 v2, 0
	v_mov_b32_e32 v27, 0
	s_mov_b32 s5, 0
	s_add_i32 s27, s7, s1
	s_mul_i32 s26, s22, s4
	s_lshl_b64 s[24:25], s[4:5], 2
	s_lshl_b64 s[26:27], s[26:27], 2
	s_lshl_b64 s[22:23], s[22:23], 2
	s_branch .LBB58_7
.LBB58_5:                               ;   in Loop: Header=BB58_7 Depth=1
	s_or_b32 exec_lo, exec_lo, s5
.LBB58_6:                               ;   in Loop: Header=BB58_7 Depth=1
	s_or_b32 exec_lo, exec_lo, s1
	v_add_co_u32 v28, vcc_lo, s10, v23
	v_add_co_ci_u32_e64 v29, null, s11, v24, vcc_lo
	v_add_co_u32 v30, vcc_lo, s8, v23
	v_add_co_ci_u32_e64 v31, null, s9, v24, vcc_lo
	global_load_dword v38, v[28:29], off
	s_add_u32 s2, s2, s4
	s_addc_u32 s3, s3, 0
	global_load_dword v39, v[30:31], off
	v_add_co_u32 v30, vcc_lo, v30, s22
	v_add_co_ci_u32_e64 v31, null, s23, v31, vcc_lo
	v_add_co_u32 v28, vcc_lo, v28, s22
	v_add_co_ci_u32_e64 v29, null, s23, v29, vcc_lo
	global_load_dword v40, v[30:31], off
	v_add_co_u32 v30, vcc_lo, v30, s22
	v_add_co_ci_u32_e64 v31, null, s23, v31, vcc_lo
	v_add_co_u32 v32, vcc_lo, v28, s22
	v_add_co_ci_u32_e64 v33, null, s23, v29, vcc_lo
	v_add_co_u32 v34, vcc_lo, v30, s22
	v_add_co_ci_u32_e64 v35, null, s23, v31, vcc_lo
	v_add_co_u32 v36, vcc_lo, v32, s22
	v_add_co_ci_u32_e64 v37, null, s23, v33, vcc_lo
	global_load_dword v41, v[28:29], off
	global_load_dword v42, v[30:31], off
	global_load_dword v43, v[32:33], off
	global_load_dword v44, v[34:35], off
	global_load_dword v45, v[36:37], off
	v_add_co_u32 v28, vcc_lo, v34, s22
	v_add_co_ci_u32_e64 v29, null, s23, v35, vcc_lo
	v_add_co_u32 v30, vcc_lo, v36, s22
	v_add_co_ci_u32_e64 v31, null, s23, v37, vcc_lo
	global_load_dword v46, v[28:29], off
	v_add_co_u32 v28, vcc_lo, v28, s22
	v_add_co_ci_u32_e64 v29, null, s23, v29, vcc_lo
	v_add_co_u32 v32, vcc_lo, v30, s22
	v_add_co_ci_u32_e64 v33, null, s23, v31, vcc_lo
	v_add_co_u32 v34, vcc_lo, v28, s22
	v_add_co_ci_u32_e64 v35, null, s23, v29, vcc_lo
	v_add_co_u32 v36, vcc_lo, v32, s22
	v_add_co_ci_u32_e64 v37, null, s23, v33, vcc_lo
	global_load_dword v47, v[30:31], off
	global_load_dword v48, v[28:29], off
	global_load_dword v49, v[32:33], off
	global_load_dword v50, v[34:35], off
	;; [unrolled: 18-line block ×4, first 2 shown]
	global_load_dword v63, v[36:37], off
	v_add_co_u32 v28, vcc_lo, v36, s22
	v_add_co_ci_u32_e64 v29, null, s23, v37, vcc_lo
	v_add_co_u32 v30, vcc_lo, v34, s22
	v_add_co_ci_u32_e64 v31, null, s23, v35, vcc_lo
	global_load_dword v34, v[28:29], off
	v_add_co_u32 v28, vcc_lo, v28, s22
	v_add_co_ci_u32_e64 v29, null, s23, v29, vcc_lo
	v_add_co_u32 v32, vcc_lo, v30, s22
	v_add_co_ci_u32_e64 v33, null, s23, v31, vcc_lo
	global_load_dword v35, v[30:31], off
	v_add_co_u32 v30, vcc_lo, v28, s22
	global_load_dword v36, v[28:29], off
	v_add_co_ci_u32_e64 v31, null, s23, v29, vcc_lo
	v_add_co_u32 v28, vcc_lo, v32, s22
	v_add_co_ci_u32_e64 v29, null, s23, v33, vcc_lo
	global_load_dword v32, v[32:33], off
	global_load_dword v30, v[30:31], off
	;; [unrolled: 1-line block ×3, first 2 shown]
	s_waitcnt vmcnt(33)
	ds_bpermute_b32 v29, v3, v26
	s_waitcnt vmcnt(32)
	ds_bpermute_b32 v31, v3, v25
	ds_bpermute_b32 v33, v9, v25
	;; [unrolled: 1-line block ×3, first 2 shown]
	v_add_co_u32 v6, vcc_lo, v6, s24
	v_add_co_ci_u32_e64 v7, null, s25, v7, vcc_lo
	v_add_co_u32 v4, vcc_lo, v4, s4
	v_cmp_lt_i64_e64 s1, s[2:3], s[20:21]
	v_add_co_ci_u32_e64 v5, null, 0, v5, vcc_lo
	v_add_co_u32 v23, vcc_lo, v23, s26
	v_add_co_ci_u32_e64 v24, null, s27, v24, vcc_lo
	s_and_b32 vcc_lo, exec_lo, s1
	s_waitcnt vmcnt(31) lgkmcnt(3)
	v_sub_f32_e32 v29, v38, v29
	ds_bpermute_b32 v38, v8, v25
	s_waitcnt vmcnt(30)
	v_add_f32_e32 v27, v27, v39
	v_mul_f32_e32 v29, v39, v29
	ds_bpermute_b32 v39, v13, v26
	s_waitcnt lgkmcnt(4)
	v_fmac_f32_e32 v2, v29, v31
	ds_bpermute_b32 v29, v9, v26
	ds_bpermute_b32 v31, v10, v26
	s_waitcnt vmcnt(29)
	v_add_f32_e32 v27, v27, v40
	s_waitcnt vmcnt(27)
	v_add_f32_e32 v27, v27, v42
	;; [unrolled: 2-line block ×3, first 2 shown]
	s_waitcnt lgkmcnt(1)
	v_sub_f32_e32 v29, v41, v29
	s_waitcnt lgkmcnt(0)
	v_sub_f32_e32 v31, v43, v31
	ds_bpermute_b32 v41, v14, v26
	ds_bpermute_b32 v43, v15, v26
	v_mul_f32_e32 v29, v40, v29
	v_mul_f32_e32 v31, v42, v31
	ds_bpermute_b32 v40, v12, v25
	ds_bpermute_b32 v42, v13, v25
	s_waitcnt vmcnt(23)
	v_add_f32_e32 v27, v27, v46
	v_fmac_f32_e32 v2, v29, v33
	ds_bpermute_b32 v29, v11, v26
	ds_bpermute_b32 v33, v8, v26
	v_fmac_f32_e32 v2, v31, v37
	ds_bpermute_b32 v31, v11, v25
	ds_bpermute_b32 v37, v12, v26
	s_waitcnt vmcnt(21)
	v_add_f32_e32 v27, v27, v48
	s_waitcnt vmcnt(19)
	v_add_f32_e32 v27, v27, v50
	s_waitcnt lgkmcnt(3)
	v_sub_f32_e32 v29, v45, v29
	s_waitcnt lgkmcnt(2)
	v_sub_f32_e32 v33, v47, v33
	s_waitcnt vmcnt(17)
	v_add_f32_e32 v27, v27, v52
	v_mul_f32_e32 v29, v44, v29
	s_waitcnt lgkmcnt(1)
	v_fmac_f32_e32 v2, v29, v31
	v_mul_f32_e32 v29, v46, v33
	s_waitcnt lgkmcnt(0)
	v_sub_f32_e32 v31, v49, v37
	ds_bpermute_b32 v33, v14, v25
	ds_bpermute_b32 v37, v16, v26
	s_waitcnt vmcnt(15)
	v_add_f32_e32 v27, v27, v54
	v_fmac_f32_e32 v2, v29, v38
	v_mul_f32_e32 v29, v48, v31
	v_sub_f32_e32 v31, v51, v39
	ds_bpermute_b32 v38, v15, v25
	ds_bpermute_b32 v39, v17, v26
	s_waitcnt vmcnt(13)
	v_add_f32_e32 v27, v27, v56
	v_fmac_f32_e32 v2, v29, v40
	v_mul_f32_e32 v29, v50, v31
	;; [unrolled: 7-line block ×3, first 2 shown]
	v_sub_f32_e32 v31, v55, v43
	ds_bpermute_b32 v42, v17, v25
	ds_bpermute_b32 v43, v19, v26
	s_waitcnt lgkmcnt(7)
	v_fmac_f32_e32 v2, v29, v33
	v_mul_f32_e32 v29, v54, v31
	s_waitcnt lgkmcnt(6)
	v_sub_f32_e32 v31, v57, v37
	ds_bpermute_b32 v33, v18, v25
	ds_bpermute_b32 v37, v20, v26
	s_waitcnt lgkmcnt(7)
	v_fmac_f32_e32 v2, v29, v38
	v_mul_f32_e32 v29, v56, v31
	s_waitcnt vmcnt(10) lgkmcnt(6)
	v_sub_f32_e32 v31, v59, v39
	ds_bpermute_b32 v38, v19, v25
	ds_bpermute_b32 v39, v21, v26
	;; [unrolled: 1-line block ×3, first 2 shown]
	s_waitcnt lgkmcnt(8)
	v_fmac_f32_e32 v2, v29, v40
	v_mul_f32_e32 v29, v58, v31
	s_waitcnt vmcnt(8) lgkmcnt(7)
	v_sub_f32_e32 v31, v61, v41
	ds_bpermute_b32 v40, v20, v25
	ds_bpermute_b32 v41, v21, v25
	v_add_f32_e32 v27, v27, v60
	s_waitcnt lgkmcnt(8)
	v_fmac_f32_e32 v2, v29, v42
	v_mul_f32_e32 v29, v60, v31
	s_waitcnt vmcnt(6) lgkmcnt(7)
	v_sub_f32_e32 v31, v63, v43
	ds_bpermute_b32 v25, v22, v25
	v_add_f32_e32 v27, v27, v62
	s_waitcnt lgkmcnt(7)
	v_fmac_f32_e32 v2, v29, v33
	v_mul_f32_e32 v29, v62, v31
	s_waitcnt vmcnt(5) lgkmcnt(6)
	v_sub_f32_e32 v31, v34, v37
	s_waitcnt vmcnt(4)
	v_add_f32_e32 v27, v27, v35
	s_waitcnt lgkmcnt(5)
	v_fmac_f32_e32 v2, v29, v38
	v_mul_f32_e32 v29, v35, v31
	s_waitcnt vmcnt(3) lgkmcnt(4)
	v_sub_f32_e32 v31, v36, v39
	s_waitcnt lgkmcnt(2)
	v_fmac_f32_e32 v2, v29, v40
	s_waitcnt vmcnt(2)
	v_mul_f32_e32 v29, v32, v31
	s_waitcnt vmcnt(1)
	v_sub_f32_e32 v26, v30, v26
	v_add_f32_e32 v27, v27, v32
	s_waitcnt lgkmcnt(1)
	v_fmac_f32_e32 v2, v29, v41
	s_waitcnt vmcnt(0)
	v_mul_f32_e32 v26, v28, v26
	v_add_f32_e32 v27, v27, v28
	s_waitcnt lgkmcnt(0)
	v_fmac_f32_e32 v2, v26, v25
	s_cbranch_vccz .LBB58_10
.LBB58_7:                               ; =>This Inner Loop Header: Depth=1
	v_mov_b32_e32 v25, 0
	v_mov_b32_e32 v26, 0
	s_and_saveexec_b32 s1, s0
	s_cbranch_execz .LBB58_6
; %bb.8:                                ;   in Loop: Header=BB58_7 Depth=1
	v_mov_b32_e32 v26, 0
	v_mov_b32_e32 v25, 0
	s_mov_b32 s5, exec_lo
	v_cmpx_gt_i64_e64 s[20:21], v[4:5]
	s_cbranch_execz .LBB58_5
; %bb.9:                                ;   in Loop: Header=BB58_7 Depth=1
	v_add_co_u32 v25, vcc_lo, s12, v6
	v_add_co_ci_u32_e64 v26, null, s13, v7, vcc_lo
	v_add_co_u32 v28, vcc_lo, s14, v6
	v_add_co_ci_u32_e64 v29, null, s15, v7, vcc_lo
	global_load_dword v26, v[25:26], off
	global_load_dword v25, v[28:29], off
	s_branch .LBB58_5
.LBB58_10:
	v_mad_u32_u24 v3, 0x41, v1, v0
	s_mov_b32 s0, exec_lo
	v_lshl_add_u32 v4, v3, 2, 0
	v_sub_nc_u32_e32 v3, v3, v1
	ds_write_b32 v4, v2
	ds_write_b32 v4, v27 offset:4160
	s_waitcnt lgkmcnt(0)
	s_barrier
	buffer_gl0_inv
	v_cmpx_gt_u32_e32 0x800, v3
	s_cbranch_execz .LBB58_26
; %bb.11:
	v_and_b32_e32 v1, 31, v0
	v_lshrrev_b32_e32 v2, 5, v3
                                        ; implicit-def: $vgpr7
	v_cmp_gt_u32_e64 s0, 16, v1
	v_mul_u32_u24_e32 v4, 0x41, v1
                                        ; implicit-def: $vgpr1
	s_and_saveexec_b32 s1, s0
	s_cbranch_execz .LBB58_13
; %bb.12:
	v_add_nc_u32_e32 v1, v2, v4
	v_lshl_add_u32 v1, v1, 2, 0
	ds_read_b32 v7, v1
	ds_read_b32 v1, v1 offset:4160
.LBB58_13:
	s_or_b32 exec_lo, exec_lo, s1
	v_mbcnt_lo_u32_b32 v8, -1, 0
	s_mov_b32 s7, 0
	v_cmp_eq_u32_e64 s1, 0, v0
	s_lshl_b64 s[2:3], s[6:7], 6
	s_cmp_lg_u64 s[16:17], 0
	v_xor_b32_e32 v5, 8, v8
	v_xor_b32_e32 v6, 4, v8
	;; [unrolled: 1-line block ×3, first 2 shown]
	s_cselect_b32 s5, -1, 0
	s_cmp_lg_u64 s[18:19], 0
	v_cmp_gt_i32_e32 vcc_lo, 32, v5
	s_cselect_b32 s4, -1, 0
	v_cndmask_b32_e32 v5, v8, v5, vcc_lo
	v_cmp_gt_i32_e32 vcc_lo, 32, v6
	v_lshlrev_b32_e32 v5, 2, v5
	v_cndmask_b32_e32 v6, v8, v6, vcc_lo
	s_waitcnt lgkmcnt(1)
	ds_bpermute_b32 v9, v5, v7
	s_waitcnt lgkmcnt(1)
	ds_bpermute_b32 v10, v5, v1
	v_lshlrev_b32_e32 v6, 2, v6
	s_waitcnt lgkmcnt(1)
	v_add_f32_e32 v9, v7, v9
	s_waitcnt lgkmcnt(0)
	v_add_f32_e32 v1, v1, v10
	v_xor_b32_e32 v7, 2, v8
	ds_bpermute_b32 v10, v6, v9
	ds_bpermute_b32 v11, v6, v1
	v_cmp_gt_i32_e32 vcc_lo, 32, v7
	v_cndmask_b32_e32 v7, v8, v7, vcc_lo
	v_cmp_gt_i32_e32 vcc_lo, 32, v12
	v_lshlrev_b32_e32 v7, 2, v7
	v_cndmask_b32_e32 v8, v8, v12, vcc_lo
	v_lshlrev_b32_e32 v8, 2, v8
	s_waitcnt lgkmcnt(1)
	v_add_f32_e32 v9, v9, v10
	s_waitcnt lgkmcnt(0)
	v_add_f32_e32 v1, v1, v11
	ds_bpermute_b32 v10, v7, v9
	ds_bpermute_b32 v11, v7, v1
	s_waitcnt lgkmcnt(1)
	v_add_f32_e32 v9, v9, v10
	s_waitcnt lgkmcnt(0)
	v_add_f32_e32 v1, v1, v11
	ds_bpermute_b32 v10, v8, v9
	ds_bpermute_b32 v11, v8, v1
	s_waitcnt lgkmcnt(1)
	v_add_f32_e32 v9, v9, v10
	s_waitcnt lgkmcnt(0)
	v_add_f32_e32 v10, v1, v11
	s_and_saveexec_b32 s6, s1
	s_cbranch_execz .LBB58_18
; %bb.14:
	v_mov_b32_e32 v1, s3
	v_or_b32_e32 v0, s2, v2
	s_andn2_b32 vcc_lo, exec_lo, s5
	v_lshlrev_b64 v[0:1], 2, v[0:1]
	s_cbranch_vccnz .LBB58_16
; %bb.15:
	v_add_co_u32 v11, vcc_lo, s16, v0
	v_add_co_ci_u32_e64 v12, null, s17, v1, vcc_lo
	global_store_dword v[11:12], v9, off
.LBB58_16:
	s_andn2_b32 vcc_lo, exec_lo, s4
	s_cbranch_vccnz .LBB58_18
; %bb.17:
	v_add_co_u32 v0, vcc_lo, s18, v0
	v_add_co_ci_u32_e64 v1, null, s19, v1, vcc_lo
	global_store_dword v[0:1], v10, off
.LBB58_18:
	s_or_b32 exec_lo, exec_lo, s6
	v_cmp_gt_u32_e32 vcc_lo, 0x400, v3
	s_and_b32 exec_lo, exec_lo, vcc_lo
	s_cbranch_execz .LBB58_26
; %bb.19:
	s_and_saveexec_b32 s6, s0
	s_cbranch_execz .LBB58_21
; %bb.20:
	v_add_nc_u32_e32 v0, v2, v4
	v_lshl_add_u32 v0, v0, 2, 0
	ds_read_b32 v9, v0 offset:128
	ds_read_b32 v10, v0 offset:4288
.LBB58_21:
	s_or_b32 exec_lo, exec_lo, s6
	s_waitcnt lgkmcnt(1)
	ds_bpermute_b32 v0, v5, v9
	s_waitcnt lgkmcnt(1)
	ds_bpermute_b32 v1, v5, v10
	s_waitcnt lgkmcnt(1)
	v_add_f32_e32 v0, v9, v0
	s_waitcnt lgkmcnt(0)
	v_add_f32_e32 v1, v10, v1
	ds_bpermute_b32 v3, v6, v0
	ds_bpermute_b32 v4, v6, v1
	s_waitcnt lgkmcnt(1)
	v_add_f32_e32 v0, v0, v3
	s_waitcnt lgkmcnt(0)
	v_add_f32_e32 v1, v1, v4
	ds_bpermute_b32 v3, v7, v0
	;; [unrolled: 6-line block ×3, first 2 shown]
	ds_bpermute_b32 v1, v8, v0
	s_and_b32 exec_lo, exec_lo, s1
	s_cbranch_execz .LBB58_26
; %bb.22:
	s_andn2_b32 vcc_lo, exec_lo, s5
	s_cbranch_vccnz .LBB58_24
; %bb.23:
	v_add_co_u32 v5, s0, s2, v2
	v_add_co_ci_u32_e64 v6, null, s3, 0, s0
	s_waitcnt lgkmcnt(1)
	v_add_f32_e32 v7, v3, v4
	v_lshlrev_b64 v[5:6], 2, v[5:6]
	v_add_co_u32 v3, vcc_lo, s16, v5
	v_add_co_ci_u32_e64 v4, null, s17, v6, vcc_lo
	global_store_dword v[3:4], v7, off offset:128
.LBB58_24:
	s_andn2_b32 vcc_lo, exec_lo, s4
	s_cbranch_vccnz .LBB58_26
; %bb.25:
	v_add_co_u32 v2, s0, s2, v2
	v_add_co_ci_u32_e64 v3, null, s3, 0, s0
	s_waitcnt lgkmcnt(0)
	v_add_f32_e32 v4, v0, v1
	v_lshlrev_b64 v[2:3], 2, v[2:3]
	v_add_co_u32 v0, vcc_lo, s18, v2
	v_add_co_ci_u32_e64 v1, null, s19, v3, vcc_lo
	global_store_dword v[0:1], v4, off offset:128
.LBB58_26:
	s_endpgm
	.section	.rodata,"a",@progbits
	.p2align	6, 0x0
	.amdhsa_kernel _ZN2at6native12_GLOBAL__N_135GammaBetaBackwardCUDAKernelTemplateIffLj64ELj16ELj256ELb0ELb1ELb0EEEvllPKT_S5_PKT0_S8_PS3_S9_
		.amdhsa_group_segment_fixed_size 0
		.amdhsa_private_segment_fixed_size 0
		.amdhsa_kernarg_size 320
		.amdhsa_user_sgpr_count 6
		.amdhsa_user_sgpr_private_segment_buffer 1
		.amdhsa_user_sgpr_dispatch_ptr 0
		.amdhsa_user_sgpr_queue_ptr 0
		.amdhsa_user_sgpr_kernarg_segment_ptr 1
		.amdhsa_user_sgpr_dispatch_id 0
		.amdhsa_user_sgpr_flat_scratch_init 0
		.amdhsa_user_sgpr_private_segment_size 0
		.amdhsa_wavefront_size32 1
		.amdhsa_uses_dynamic_stack 0
		.amdhsa_system_sgpr_private_segment_wavefront_offset 0
		.amdhsa_system_sgpr_workgroup_id_x 1
		.amdhsa_system_sgpr_workgroup_id_y 1
		.amdhsa_system_sgpr_workgroup_id_z 0
		.amdhsa_system_sgpr_workgroup_info 0
		.amdhsa_system_vgpr_workitem_id 1
		.amdhsa_next_free_vgpr 64
		.amdhsa_next_free_sgpr 28
		.amdhsa_reserve_vcc 1
		.amdhsa_reserve_flat_scratch 0
		.amdhsa_float_round_mode_32 0
		.amdhsa_float_round_mode_16_64 0
		.amdhsa_float_denorm_mode_32 3
		.amdhsa_float_denorm_mode_16_64 3
		.amdhsa_dx10_clamp 1
		.amdhsa_ieee_mode 1
		.amdhsa_fp16_overflow 0
		.amdhsa_workgroup_processor_mode 1
		.amdhsa_memory_ordered 1
		.amdhsa_forward_progress 1
		.amdhsa_shared_vgpr_count 0
		.amdhsa_exception_fp_ieee_invalid_op 0
		.amdhsa_exception_fp_denorm_src 0
		.amdhsa_exception_fp_ieee_div_zero 0
		.amdhsa_exception_fp_ieee_overflow 0
		.amdhsa_exception_fp_ieee_underflow 0
		.amdhsa_exception_fp_ieee_inexact 0
		.amdhsa_exception_int_div_zero 0
	.end_amdhsa_kernel
	.section	.text._ZN2at6native12_GLOBAL__N_135GammaBetaBackwardCUDAKernelTemplateIffLj64ELj16ELj256ELb0ELb1ELb0EEEvllPKT_S5_PKT0_S8_PS3_S9_,"axG",@progbits,_ZN2at6native12_GLOBAL__N_135GammaBetaBackwardCUDAKernelTemplateIffLj64ELj16ELj256ELb0ELb1ELb0EEEvllPKT_S5_PKT0_S8_PS3_S9_,comdat
.Lfunc_end58:
	.size	_ZN2at6native12_GLOBAL__N_135GammaBetaBackwardCUDAKernelTemplateIffLj64ELj16ELj256ELb0ELb1ELb0EEEvllPKT_S5_PKT0_S8_PS3_S9_, .Lfunc_end58-_ZN2at6native12_GLOBAL__N_135GammaBetaBackwardCUDAKernelTemplateIffLj64ELj16ELj256ELb0ELb1ELb0EEEvllPKT_S5_PKT0_S8_PS3_S9_
                                        ; -- End function
	.set _ZN2at6native12_GLOBAL__N_135GammaBetaBackwardCUDAKernelTemplateIffLj64ELj16ELj256ELb0ELb1ELb0EEEvllPKT_S5_PKT0_S8_PS3_S9_.num_vgpr, 64
	.set _ZN2at6native12_GLOBAL__N_135GammaBetaBackwardCUDAKernelTemplateIffLj64ELj16ELj256ELb0ELb1ELb0EEEvllPKT_S5_PKT0_S8_PS3_S9_.num_agpr, 0
	.set _ZN2at6native12_GLOBAL__N_135GammaBetaBackwardCUDAKernelTemplateIffLj64ELj16ELj256ELb0ELb1ELb0EEEvllPKT_S5_PKT0_S8_PS3_S9_.numbered_sgpr, 28
	.set _ZN2at6native12_GLOBAL__N_135GammaBetaBackwardCUDAKernelTemplateIffLj64ELj16ELj256ELb0ELb1ELb0EEEvllPKT_S5_PKT0_S8_PS3_S9_.num_named_barrier, 0
	.set _ZN2at6native12_GLOBAL__N_135GammaBetaBackwardCUDAKernelTemplateIffLj64ELj16ELj256ELb0ELb1ELb0EEEvllPKT_S5_PKT0_S8_PS3_S9_.private_seg_size, 0
	.set _ZN2at6native12_GLOBAL__N_135GammaBetaBackwardCUDAKernelTemplateIffLj64ELj16ELj256ELb0ELb1ELb0EEEvllPKT_S5_PKT0_S8_PS3_S9_.uses_vcc, 1
	.set _ZN2at6native12_GLOBAL__N_135GammaBetaBackwardCUDAKernelTemplateIffLj64ELj16ELj256ELb0ELb1ELb0EEEvllPKT_S5_PKT0_S8_PS3_S9_.uses_flat_scratch, 0
	.set _ZN2at6native12_GLOBAL__N_135GammaBetaBackwardCUDAKernelTemplateIffLj64ELj16ELj256ELb0ELb1ELb0EEEvllPKT_S5_PKT0_S8_PS3_S9_.has_dyn_sized_stack, 0
	.set _ZN2at6native12_GLOBAL__N_135GammaBetaBackwardCUDAKernelTemplateIffLj64ELj16ELj256ELb0ELb1ELb0EEEvllPKT_S5_PKT0_S8_PS3_S9_.has_recursion, 0
	.set _ZN2at6native12_GLOBAL__N_135GammaBetaBackwardCUDAKernelTemplateIffLj64ELj16ELj256ELb0ELb1ELb0EEEvllPKT_S5_PKT0_S8_PS3_S9_.has_indirect_call, 0
	.section	.AMDGPU.csdata,"",@progbits
; Kernel info:
; codeLenInByte = 2756
; TotalNumSgprs: 30
; NumVgprs: 64
; ScratchSize: 0
; MemoryBound: 0
; FloatMode: 240
; IeeeMode: 1
; LDSByteSize: 0 bytes/workgroup (compile time only)
; SGPRBlocks: 0
; VGPRBlocks: 7
; NumSGPRsForWavesPerEU: 30
; NumVGPRsForWavesPerEU: 64
; Occupancy: 16
; WaveLimiterHint : 0
; COMPUTE_PGM_RSRC2:SCRATCH_EN: 0
; COMPUTE_PGM_RSRC2:USER_SGPR: 6
; COMPUTE_PGM_RSRC2:TRAP_HANDLER: 0
; COMPUTE_PGM_RSRC2:TGID_X_EN: 1
; COMPUTE_PGM_RSRC2:TGID_Y_EN: 1
; COMPUTE_PGM_RSRC2:TGID_Z_EN: 0
; COMPUTE_PGM_RSRC2:TIDIG_COMP_CNT: 1
	.section	.text._ZN2at6native12_GLOBAL__N_135GammaBetaBackwardCUDAKernelTemplateIffLj64ELj16ELj256ELb0ELb0ELb0EEEvllPKT_S5_PKT0_S8_PS3_S9_,"axG",@progbits,_ZN2at6native12_GLOBAL__N_135GammaBetaBackwardCUDAKernelTemplateIffLj64ELj16ELj256ELb0ELb0ELb0EEEvllPKT_S5_PKT0_S8_PS3_S9_,comdat
	.globl	_ZN2at6native12_GLOBAL__N_135GammaBetaBackwardCUDAKernelTemplateIffLj64ELj16ELj256ELb0ELb0ELb0EEEvllPKT_S5_PKT0_S8_PS3_S9_ ; -- Begin function _ZN2at6native12_GLOBAL__N_135GammaBetaBackwardCUDAKernelTemplateIffLj64ELj16ELj256ELb0ELb0ELb0EEEvllPKT_S5_PKT0_S8_PS3_S9_
	.p2align	8
	.type	_ZN2at6native12_GLOBAL__N_135GammaBetaBackwardCUDAKernelTemplateIffLj64ELj16ELj256ELb0ELb0ELb0EEEvllPKT_S5_PKT0_S8_PS3_S9_,@function
_ZN2at6native12_GLOBAL__N_135GammaBetaBackwardCUDAKernelTemplateIffLj64ELj16ELj256ELb0ELb0ELb0EEEvllPKT_S5_PKT0_S8_PS3_S9_: ; @_ZN2at6native12_GLOBAL__N_135GammaBetaBackwardCUDAKernelTemplateIffLj64ELj16ELj256ELb0ELb0ELb0EEEvllPKT_S5_PKT0_S8_PS3_S9_
; %bb.0:
	s_mov_b64 s[38:39], s[2:3]
	s_mov_b64 s[36:37], s[0:1]
	s_mov_b32 s3, 0
	s_add_u32 s36, s36, s8
	s_clause 0x1
	s_load_dwordx8 s[8:15], s[4:5], 0x0
	s_load_dwordx4 s[16:19], s[4:5], 0x20
	s_addc_u32 s37, s37, 0
	s_lshl_b32 s28, s6, 6
	v_mov_b32_e32 v124, v0
	s_or_b32 s2, s28, 63
	s_waitcnt lgkmcnt(0)
	v_cmp_le_i64_e64 s0, s[10:11], s[2:3]
	s_lshl_b32 s2, s7, 8
	v_cmp_gt_i64_e64 s7, s[8:9], s[2:3]
	s_and_b32 vcc_lo, exec_lo, s0
	v_cndmask_b32_e64 v0, 0, 1, s7
	v_cmp_ne_u32_e64 s0, 1, v0
	s_cbranch_vccz .LBB59_81
; %bb.1:
	v_mov_b32_e32 v126, 0
	v_mov_b32_e32 v122, 0
	s_and_b32 vcc_lo, exec_lo, s0
	s_cbranch_vccnz .LBB59_82
; %bb.2:
	v_lshlrev_b32_e32 v0, 4, v1
	v_mov_b32_e32 v2, 0
	s_load_dword s1, s[4:5], 0x44
	v_add_nc_u32_e32 v7, s28, v124
	s_add_u32 s20, s4, 64
	v_add_co_u32 v5, s0, v0, s2
	v_add_co_ci_u32_e64 v6, null, 0, 0, s0
	v_mov_b32_e32 v8, v2
	v_mul_lo_u32 v12, s11, v5
	v_mad_u64_u32 v[3:4], null, s10, v5, 0
	v_mul_lo_u32 v9, s10, v6
	v_add_co_u32 v10, vcc_lo, v5, 15
	v_add_co_ci_u32_e64 v11, null, 0, v6, vcc_lo
	v_cmp_gt_i64_e64 s0, s[10:11], v[7:8]
	v_lshlrev_b64 v[35:36], 2, v[7:8]
	s_addc_u32 s21, s5, 0
	v_add3_u32 v4, v4, v9, v12
	v_mul_lo_u32 v12, s11, v10
	v_mul_lo_u32 v11, s10, v11
	v_mad_u64_u32 v[9:10], null, s10, v10, 0
	v_lshlrev_b64 v[7:8], 2, v[3:4]
	s_waitcnt lgkmcnt(0)
	s_lshl_b32 s29, s1, 8
	v_mov_b32_e32 v100, 0
	s_mul_i32 s1, s11, s29
	s_mul_hi_u32 s22, s10, s29
	v_mov_b32_e32 v126, 0
	v_add3_u32 v10, v10, v11, v12
	v_add_co_u32 v11, vcc_lo, v5, 14
	v_add_co_ci_u32_e64 v12, null, 0, v6, vcc_lo
	v_lshlrev_b64 v[9:10], 2, v[9:10]
	v_mul_lo_u32 v13, s11, v11
	v_add_co_u32 v125, vcc_lo, s12, v7
	v_mul_lo_u32 v14, s10, v12
	v_mad_u64_u32 v[11:12], null, s10, v11, 0
	v_add_co_ci_u32_e64 v37, null, s13, v8, vcc_lo
	v_add_co_u32 v38, vcc_lo, s14, v7
	v_add_co_ci_u32_e64 v39, null, s15, v8, vcc_lo
	v_add3_u32 v12, v12, v14, v13
	v_add_co_u32 v40, vcc_lo, s12, v9
	v_add_co_ci_u32_e64 v41, null, s13, v10, vcc_lo
	v_add_co_u32 v13, vcc_lo, v5, 13
	s_add_i32 s23, s22, s1
	v_add_co_u32 v42, s1, s14, v9
	v_lshlrev_b64 v[7:8], 2, v[11:12]
	v_add_co_ci_u32_e64 v9, null, 0, v6, vcc_lo
	v_add_co_u32 v11, vcc_lo, v5, 12
	v_add_co_ci_u32_e64 v12, null, 0, v6, vcc_lo
	v_add_co_ci_u32_e64 v43, null, s15, v10, s1
	v_mul_lo_u32 v14, s11, v13
	v_mul_lo_u32 v15, s10, v9
	v_mad_u64_u32 v[9:10], null, s10, v13, 0
	v_mul_lo_u32 v13, s11, v11
	v_mul_lo_u32 v16, s10, v12
	v_mad_u64_u32 v[11:12], null, s10, v11, 0
	v_add_co_u32 v44, vcc_lo, s12, v7
	v_add_co_ci_u32_e64 v45, null, s13, v8, vcc_lo
	v_add_co_u32 v46, vcc_lo, s14, v7
	v_add_co_ci_u32_e64 v47, null, s15, v8, vcc_lo
	v_add3_u32 v12, v12, v16, v13
	v_add_co_u32 v13, vcc_lo, v5, 11
	v_add3_u32 v10, v10, v15, v14
	v_add_co_ci_u32_e64 v14, null, 0, v6, vcc_lo
	v_mul_lo_u32 v15, s11, v13
	s_mul_i32 s22, s10, s29
	v_lshlrev_b64 v[7:8], 2, v[9:10]
	v_lshlrev_b64 v[9:10], 2, v[11:12]
	v_mul_lo_u32 v14, s10, v14
	v_mad_u64_u32 v[11:12], null, s10, v13, 0
	s_lshl_b64 s[22:23], s[22:23], 2
	v_add_co_u32 v48, vcc_lo, s12, v7
	v_add_co_ci_u32_e64 v49, null, s13, v8, vcc_lo
	v_add_co_u32 v50, vcc_lo, s14, v7
	v_add3_u32 v12, v12, v14, v15
	v_add_co_ci_u32_e64 v51, null, s15, v8, vcc_lo
	v_add_co_u32 v52, vcc_lo, s12, v9
	v_add_co_ci_u32_e64 v53, null, s13, v10, vcc_lo
	v_add_co_u32 v13, vcc_lo, v5, 10
	v_add_co_u32 v54, s1, s14, v9
	v_lshlrev_b64 v[7:8], 2, v[11:12]
	v_add_co_ci_u32_e64 v9, null, 0, v6, vcc_lo
	v_add_co_u32 v11, vcc_lo, v5, 9
	v_add_co_ci_u32_e64 v12, null, 0, v6, vcc_lo
	v_add_co_ci_u32_e64 v55, null, s15, v10, s1
	v_mul_lo_u32 v14, s11, v13
	v_mul_lo_u32 v15, s10, v9
	v_mad_u64_u32 v[9:10], null, s10, v13, 0
	v_mul_lo_u32 v13, s11, v11
	v_mul_lo_u32 v16, s10, v12
	v_mad_u64_u32 v[11:12], null, s10, v11, 0
	v_add_co_u32 v56, vcc_lo, s12, v7
	v_add_co_ci_u32_e64 v57, null, s13, v8, vcc_lo
	v_add_co_u32 v58, vcc_lo, s14, v7
	v_add3_u32 v10, v10, v15, v14
	v_add_co_ci_u32_e64 v59, null, s15, v8, vcc_lo
	v_add3_u32 v12, v12, v16, v13
	v_add_co_u32 v13, vcc_lo, v5, 8
	v_add_co_ci_u32_e64 v14, null, 0, v6, vcc_lo
	v_lshlrev_b64 v[7:8], 2, v[9:10]
	v_lshlrev_b64 v[9:10], 2, v[11:12]
	v_mul_lo_u32 v15, s11, v13
	v_mul_lo_u32 v14, s10, v14
	v_mad_u64_u32 v[11:12], null, s10, v13, 0
	v_add_co_u32 v60, vcc_lo, s12, v7
	v_add_co_ci_u32_e64 v61, null, s13, v8, vcc_lo
	v_add_co_u32 v62, vcc_lo, s14, v7
	v_add_co_ci_u32_e64 v63, null, s15, v8, vcc_lo
	v_add_co_u32 v64, vcc_lo, s12, v9
	v_add3_u32 v12, v12, v14, v15
	v_add_co_ci_u32_e64 v65, null, s13, v10, vcc_lo
	v_add_co_u32 v13, vcc_lo, v5, 7
	v_add_co_u32 v66, s1, s14, v9
	v_add_co_ci_u32_e64 v9, null, 0, v6, vcc_lo
	v_lshlrev_b64 v[7:8], 2, v[11:12]
	v_add_co_u32 v11, vcc_lo, v5, 6
	v_add_co_ci_u32_e64 v12, null, 0, v6, vcc_lo
	v_add_co_ci_u32_e64 v67, null, s15, v10, s1
	v_mul_lo_u32 v14, s11, v13
	v_mul_lo_u32 v15, s10, v9
	v_mad_u64_u32 v[9:10], null, s10, v13, 0
	v_mul_lo_u32 v13, s11, v11
	v_mul_lo_u32 v16, s10, v12
	v_mad_u64_u32 v[11:12], null, s10, v11, 0
	v_add_co_u32 v68, vcc_lo, s12, v7
	v_add3_u32 v10, v10, v15, v14
	v_add_co_ci_u32_e64 v69, null, s13, v8, vcc_lo
	v_add_co_u32 v70, vcc_lo, s14, v7
	v_add_co_ci_u32_e64 v71, null, s15, v8, vcc_lo
	v_add3_u32 v12, v12, v16, v13
	v_add_co_u32 v13, vcc_lo, v5, 5
	v_lshlrev_b64 v[7:8], 2, v[9:10]
	v_add_co_ci_u32_e64 v14, null, 0, v6, vcc_lo
	v_lshlrev_b64 v[9:10], 2, v[11:12]
	v_mul_lo_u32 v15, s11, v13
	v_mad_u64_u32 v[11:12], null, s10, v13, 0
	v_add_co_u32 v72, vcc_lo, s12, v7
	v_mul_lo_u32 v14, s10, v14
	v_add_co_ci_u32_e64 v73, null, s13, v8, vcc_lo
	v_add_co_u32 v74, vcc_lo, s14, v7
	v_add_co_ci_u32_e64 v75, null, s15, v8, vcc_lo
	v_add_co_u32 v76, vcc_lo, s12, v9
	;; [unrolled: 2-line block ×3, first 2 shown]
	v_add3_u32 v12, v12, v14, v15
	v_add_co_u32 v78, s1, s14, v9
	v_add_co_ci_u32_e64 v9, null, 0, v6, vcc_lo
	v_add_co_ci_u32_e64 v79, null, s15, v10, s1
	v_lshlrev_b64 v[7:8], 2, v[11:12]
	v_mul_lo_u32 v14, s11, v13
	v_add_co_u32 v11, vcc_lo, v5, 3
	v_mul_lo_u32 v15, s10, v9
	v_mad_u64_u32 v[9:10], null, s10, v13, 0
	v_add_co_ci_u32_e64 v12, null, 0, v6, vcc_lo
	v_mul_lo_u32 v13, s11, v11
	v_add_co_u32 v80, vcc_lo, s12, v7
	v_mul_lo_u32 v16, s10, v12
	v_mad_u64_u32 v[11:12], null, s10, v11, 0
	v_add3_u32 v10, v10, v15, v14
	v_add_co_ci_u32_e64 v81, null, s13, v8, vcc_lo
	v_add_co_u32 v82, vcc_lo, s14, v7
	v_add_co_ci_u32_e64 v83, null, s15, v8, vcc_lo
	v_lshlrev_b64 v[7:8], 2, v[9:10]
	v_add_co_u32 v9, vcc_lo, v5, 2
	v_add3_u32 v12, v12, v16, v13
	v_add_co_ci_u32_e64 v10, null, 0, v6, vcc_lo
	v_add_co_u32 v84, vcc_lo, s12, v7
	v_lshlrev_b64 v[5:6], 2, v[11:12]
	v_mul_lo_u32 v11, s11, v9
	v_mul_lo_u32 v12, s10, v10
	v_mad_u64_u32 v[9:10], null, s10, v9, 0
	v_add_co_ci_u32_e64 v85, null, s13, v8, vcc_lo
	v_add_co_u32 v86, vcc_lo, s14, v7
	v_add_co_ci_u32_e64 v87, null, s15, v8, vcc_lo
	v_add_co_u32 v88, vcc_lo, s12, v5
	v_add_co_ci_u32_e64 v89, null, s13, v6, vcc_lo
	v_add3_u32 v10, v10, v12, v11
	v_add_co_u32 v90, vcc_lo, s14, v5
	v_add_co_ci_u32_e64 v91, null, s15, v6, vcc_lo
	v_add_co_u32 v3, vcc_lo, v3, s10
	v_add_co_ci_u32_e64 v4, null, s11, v4, vcc_lo
	v_lshlrev_b64 v[5:6], 2, v[9:10]
	s_add_u32 s24, s2, 0xff
	s_addc_u32 s25, 0, 0
	v_lshlrev_b64 v[3:4], 2, v[3:4]
	s_mov_b64 s[26:27], s[2:3]
	v_add_co_u32 v92, vcc_lo, s12, v5
	v_add_co_ci_u32_e64 v93, null, s13, v6, vcc_lo
	v_add_co_u32 v94, vcc_lo, s14, v5
	v_add_co_ci_u32_e64 v95, null, s15, v6, vcc_lo
	;; [unrolled: 2-line block ×4, first 2 shown]
.LBB59_3:                               ; =>This Inner Loop Header: Depth=1
	v_cmp_ge_i64_e64 s1, s[24:25], s[8:9]
	v_add_co_u32 v101, s30, v0, s24
	v_add_co_ci_u32_e64 v102, null, 0, s25, s30
                                        ; implicit-def: $vgpr3_vgpr4_vgpr5_vgpr6_vgpr7_vgpr8_vgpr9_vgpr10_vgpr11_vgpr12_vgpr13_vgpr14_vgpr15_vgpr16_vgpr17_vgpr18
                                        ; implicit-def: $vgpr104
                                        ; implicit-def: $vgpr19_vgpr20_vgpr21_vgpr22_vgpr23_vgpr24_vgpr25_vgpr26_vgpr27_vgpr28_vgpr29_vgpr30_vgpr31_vgpr32_vgpr33_vgpr34
                                        ; implicit-def: $vgpr3
	s_and_b32 vcc_lo, exec_lo, s1
	s_mov_b32 s1, -1
                                        ; implicit-def: $vgpr4
                                        ; implicit-def: $vgpr122
	s_cbranch_vccz .LBB59_41
; %bb.4:                                ;   in Loop: Header=BB59_3 Depth=1
	s_load_dword s1, s[20:21], 0xc
	v_mov_b32_e32 v104, 0
	v_mov_b32_e32 v103, 0
	s_waitcnt lgkmcnt(0)
	s_and_b32 s1, s1, 0xffff
	v_mad_u32_u24 v3, v1, s1, v124
	s_mov_b32 s1, exec_lo
	v_and_b32_e32 v3, 31, v3
	v_cmpx_gt_u32_e32 16, v3
	s_cbranch_execz .LBB59_8
; %bb.5:                                ;   in Loop: Header=BB59_3 Depth=1
	v_add_co_u32 v3, vcc_lo, v101, v3
	v_add_co_ci_u32_e64 v4, null, 0, v102, vcc_lo
	v_mov_b32_e32 v103, 0
	v_add_co_u32 v3, vcc_lo, 0xffffff01, v3
	v_add_co_ci_u32_e64 v4, null, -1, v4, vcc_lo
	v_mov_b32_e32 v104, 0
	s_mov_b32 s30, exec_lo
	v_cmpx_gt_i64_e64 s[8:9], v[3:4]
	s_cbranch_execz .LBB59_7
; %bb.6:                                ;   in Loop: Header=BB59_3 Depth=1
	v_lshlrev_b64 v[3:4], 2, v[3:4]
	v_add_co_u32 v5, vcc_lo, s16, v3
	v_add_co_ci_u32_e64 v6, null, s17, v4, vcc_lo
	v_add_co_u32 v3, vcc_lo, s18, v3
	v_add_co_ci_u32_e64 v4, null, s19, v4, vcc_lo
	global_load_dword v103, v[5:6], off
	global_load_dword v104, v[3:4], off
.LBB59_7:                               ;   in Loop: Header=BB59_3 Depth=1
	s_or_b32 exec_lo, exec_lo, s30
.LBB59_8:                               ;   in Loop: Header=BB59_3 Depth=1
	s_or_b32 exec_lo, exec_lo, s1
	v_add_co_u32 v18, vcc_lo, 0xffffff01, v101
	v_add_co_ci_u32_e64 v19, null, -1, v102, vcc_lo
	v_mov_b32_e32 v17, v2
	v_mov_b32_e32 v3, v2
	;; [unrolled: 1-line block ×15, first 2 shown]
	v_cmp_gt_i64_e32 vcc_lo, s[8:9], v[18:19]
	v_mov_b32_e32 v34, v17
	v_mov_b32_e32 v31, v14
	;; [unrolled: 1-line block ×32, first 2 shown]
	s_and_b32 s30, s0, vcc_lo
	s_and_saveexec_b32 s1, s30
	s_cbranch_execz .LBB59_10
; %bb.9:                                ;   in Loop: Header=BB59_3 Depth=1
	v_add_co_u32 v3, vcc_lo, v125, v35
	v_add_co_ci_u32_e64 v4, null, v37, v36, vcc_lo
	v_add_co_u32 v5, vcc_lo, v38, v35
	v_add_co_ci_u32_e64 v6, null, v39, v36, vcc_lo
	global_load_dword v3, v[3:4], off
	global_load_dword v19, v[5:6], off
	v_mov_b32_e32 v4, v2
	v_mov_b32_e32 v5, v2
	;; [unrolled: 1-line block ×30, first 2 shown]
.LBB59_10:                              ;   in Loop: Header=BB59_3 Depth=1
	s_or_b32 exec_lo, exec_lo, s1
	v_add_co_u32 v105, vcc_lo, 0xffffff02, v101
	v_add_co_ci_u32_e64 v106, null, -1, v102, vcc_lo
	v_cmp_gt_i64_e32 vcc_lo, s[8:9], v[105:106]
	s_and_b32 s30, s0, vcc_lo
	s_and_saveexec_b32 s1, s30
	s_cbranch_execz .LBB59_12
; %bb.11:                               ;   in Loop: Header=BB59_3 Depth=1
	v_add_co_u32 v105, vcc_lo, v96, v35
	v_add_co_ci_u32_e64 v106, null, v97, v36, vcc_lo
	v_add_co_u32 v107, vcc_lo, v98, v35
	v_add_co_ci_u32_e64 v108, null, v99, v36, vcc_lo
	global_load_dword v4, v[105:106], off
	global_load_dword v20, v[107:108], off
.LBB59_12:                              ;   in Loop: Header=BB59_3 Depth=1
	s_or_b32 exec_lo, exec_lo, s1
	v_add_co_u32 v105, vcc_lo, 0xffffff03, v101
	v_add_co_ci_u32_e64 v106, null, -1, v102, vcc_lo
	v_cmp_gt_i64_e32 vcc_lo, s[8:9], v[105:106]
	s_and_b32 s30, s0, vcc_lo
	s_and_saveexec_b32 s1, s30
	s_cbranch_execz .LBB59_14
; %bb.13:                               ;   in Loop: Header=BB59_3 Depth=1
	v_add_co_u32 v105, vcc_lo, v92, v35
	v_add_co_ci_u32_e64 v106, null, v93, v36, vcc_lo
	v_add_co_u32 v107, vcc_lo, v94, v35
	v_add_co_ci_u32_e64 v108, null, v95, v36, vcc_lo
	global_load_dword v5, v[105:106], off
	global_load_dword v21, v[107:108], off
.LBB59_14:                              ;   in Loop: Header=BB59_3 Depth=1
	;; [unrolled: 15-line block ×15, first 2 shown]
	s_or_b32 exec_lo, exec_lo, s1
	s_waitcnt vmcnt(1)
	ds_bpermute_b32 v105, v2, v103
	ds_bpermute_b32 v106, v2, v103 offset:4
	s_waitcnt vmcnt(0)
	ds_bpermute_b32 v107, v2, v104
	ds_bpermute_b32 v109, v2, v103 offset:8
	ds_bpermute_b32 v110, v2, v104 offset:4
	;; [unrolled: 1-line block ×5, first 2 shown]
	v_add_f32_e32 v108, v126, v3
	ds_bpermute_b32 v112, v2, v104 offset:12
	ds_bpermute_b32 v117, v2, v103 offset:20
	;; [unrolled: 1-line block ×9, first 2 shown]
	s_mov_b32 s1, 0
	s_waitcnt lgkmcnt(16)
	v_sub_f32_e32 v19, v19, v105
	s_waitcnt lgkmcnt(15)
	v_sub_f32_e32 v20, v20, v106
	ds_bpermute_b32 v105, v2, v103 offset:28
	s_waitcnt lgkmcnt(14)
	v_sub_f32_e32 v21, v21, v109
	ds_bpermute_b32 v106, v2, v103 offset:36
	v_mul_f32_e32 v3, v3, v19
	v_mul_f32_e32 v20, v4, v20
	s_waitcnt lgkmcnt(13)
	v_sub_f32_e32 v22, v22, v113
	v_mul_f32_e32 v21, v5, v21
	v_add_f32_e32 v4, v4, v108
	v_fma_f32 v122, v3, v107, v100
	s_waitcnt lgkmcnt(11)
	v_sub_f32_e32 v23, v23, v115
	v_mul_f32_e32 v22, v6, v22
	ds_bpermute_b32 v107, v2, v103 offset:40
	v_add_f32_e32 v4, v5, v4
	v_fmac_f32_e32 v122, v20, v110
	v_mul_f32_e32 v23, v7, v23
	ds_bpermute_b32 v19, v2, v104 offset:36
	ds_bpermute_b32 v5, v2, v103 offset:44
	v_add_f32_e32 v4, v6, v4
	v_fmac_f32_e32 v122, v21, v111
	s_waitcnt lgkmcnt(12)
	v_sub_f32_e32 v21, v24, v117
	ds_bpermute_b32 v3, v2, v104 offset:40
	ds_bpermute_b32 v20, v2, v104 offset:44
	v_add_f32_e32 v4, v7, v4
	v_fmac_f32_e32 v122, v22, v112
	s_waitcnt lgkmcnt(12)
	v_sub_f32_e32 v22, v25, v119
	v_mul_f32_e32 v21, v8, v21
	ds_bpermute_b32 v7, v2, v103 offset:48
	v_add_f32_e32 v4, v8, v4
	v_fmac_f32_e32 v122, v23, v114
	s_waitcnt lgkmcnt(7)
	v_sub_f32_e32 v23, v26, v105
	v_mul_f32_e32 v22, v9, v22
	ds_bpermute_b32 v6, v2, v104 offset:48
	v_add_f32_e32 v4, v9, v4
	v_fmac_f32_e32 v122, v21, v116
	v_sub_f32_e32 v21, v27, v123
	v_mul_f32_e32 v23, v10, v23
	ds_bpermute_b32 v9, v2, v103 offset:52
	v_add_f32_e32 v4, v10, v4
	v_fmac_f32_e32 v122, v22, v118
	s_waitcnt lgkmcnt(8)
	v_sub_f32_e32 v22, v28, v106
	v_mul_f32_e32 v21, v11, v21
	ds_bpermute_b32 v10, v2, v103 offset:56
	v_add_f32_e32 v4, v11, v4
	v_fmac_f32_e32 v122, v23, v120
	s_waitcnt lgkmcnt(8)
	v_sub_f32_e32 v23, v29, v107
	v_mul_f32_e32 v22, v12, v22
	ds_bpermute_b32 v8, v2, v104 offset:52
	s_waitcnt lgkmcnt(7)
	v_sub_f32_e32 v5, v30, v5
	v_fmac_f32_e32 v122, v21, v121
	v_mul_f32_e32 v21, v13, v23
	v_add_f32_e32 v4, v12, v4
	ds_bpermute_b32 v11, v2, v104 offset:56
	s_waitcnt lgkmcnt(5)
	v_sub_f32_e32 v7, v31, v7
	v_fmac_f32_e32 v122, v22, v19
	v_mul_f32_e32 v5, v14, v5
	v_add_f32_e32 v4, v13, v4
	ds_bpermute_b32 v104, v2, v104 offset:60
	s_waitcnt lgkmcnt(4)
	v_sub_f32_e32 v9, v32, v9
	v_fmac_f32_e32 v122, v21, v3
	ds_bpermute_b32 v3, v2, v103 offset:60
	v_mul_f32_e32 v7, v15, v7
	v_add_f32_e32 v4, v14, v4
	v_mul_f32_e32 v9, v16, v9
	v_fmac_f32_e32 v122, v5, v20
	s_waitcnt lgkmcnt(4)
	v_sub_f32_e32 v5, v33, v10
	v_add_f32_e32 v4, v15, v4
	v_fmac_f32_e32 v122, v7, v6
	v_mul_f32_e32 v5, v17, v5
	v_add_f32_e32 v4, v16, v4
	s_waitcnt lgkmcnt(3)
	v_fmac_f32_e32 v122, v9, v8
	v_add_f32_e32 v4, v17, v4
	s_waitcnt lgkmcnt(2)
	v_fmac_f32_e32 v122, v5, v11
.LBB59_41:                              ;   in Loop: Header=BB59_3 Depth=1
	s_and_b32 vcc_lo, exec_lo, s1
	s_cbranch_vccz .LBB59_64
; %bb.42:                               ;   in Loop: Header=BB59_3 Depth=1
	s_load_dword s1, s[20:21], 0x0
	s_waitcnt lgkmcnt(0)
	v_mov_b32_e32 v104, 0
	v_mov_b32_e32 v103, 0
	s_cmp_lt_u32 s6, s1
	s_cselect_b32 s1, 12, 18
	s_add_u32 s30, s20, s1
	s_addc_u32 s31, s21, 0
	s_mov_b32 s1, exec_lo
	global_load_ushort v3, v2, s[30:31]
	s_waitcnt vmcnt(0)
	v_mad_u32_u24 v3, v1, v3, v124
	v_and_b32_e32 v3, 31, v3
	v_cmpx_gt_u32_e32 16, v3
	s_cbranch_execz .LBB59_46
; %bb.43:                               ;   in Loop: Header=BB59_3 Depth=1
	v_add_co_u32 v3, vcc_lo, v101, v3
	v_add_co_ci_u32_e64 v4, null, 0, v102, vcc_lo
	v_mov_b32_e32 v103, 0
	v_add_co_u32 v3, vcc_lo, 0xffffff01, v3
	v_add_co_ci_u32_e64 v4, null, -1, v4, vcc_lo
	v_mov_b32_e32 v104, 0
	s_mov_b32 s30, exec_lo
	v_cmpx_gt_i64_e64 s[8:9], v[3:4]
	s_cbranch_execz .LBB59_45
; %bb.44:                               ;   in Loop: Header=BB59_3 Depth=1
	v_lshlrev_b64 v[3:4], 2, v[3:4]
	v_add_co_u32 v5, vcc_lo, s16, v3
	v_add_co_ci_u32_e64 v6, null, s17, v4, vcc_lo
	v_add_co_u32 v3, vcc_lo, s18, v3
	v_add_co_ci_u32_e64 v4, null, s19, v4, vcc_lo
	global_load_dword v103, v[5:6], off
	global_load_dword v104, v[3:4], off
.LBB59_45:                              ;   in Loop: Header=BB59_3 Depth=1
	s_or_b32 exec_lo, exec_lo, s30
.LBB59_46:                              ;   in Loop: Header=BB59_3 Depth=1
	s_or_b32 exec_lo, exec_lo, s1
	v_mov_b32_e32 v17, v2
	v_mov_b32_e32 v3, v2
	;; [unrolled: 1-line block ×47, first 2 shown]
	s_and_saveexec_b32 s1, s0
	s_cbranch_execnz .LBB59_66
; %bb.47:                               ;   in Loop: Header=BB59_3 Depth=1
	s_or_b32 exec_lo, exec_lo, s1
	s_and_saveexec_b32 s1, s0
	s_cbranch_execnz .LBB59_67
.LBB59_48:                              ;   in Loop: Header=BB59_3 Depth=1
	s_or_b32 exec_lo, exec_lo, s1
	s_and_saveexec_b32 s1, s0
	s_cbranch_execnz .LBB59_68
.LBB59_49:                              ;   in Loop: Header=BB59_3 Depth=1
	s_or_b32 exec_lo, exec_lo, s1
	s_and_saveexec_b32 s1, s0
	s_cbranch_execnz .LBB59_69
.LBB59_50:                              ;   in Loop: Header=BB59_3 Depth=1
	s_or_b32 exec_lo, exec_lo, s1
	s_and_saveexec_b32 s1, s0
	s_cbranch_execnz .LBB59_70
.LBB59_51:                              ;   in Loop: Header=BB59_3 Depth=1
	s_or_b32 exec_lo, exec_lo, s1
	s_and_saveexec_b32 s1, s0
	s_cbranch_execnz .LBB59_71
.LBB59_52:                              ;   in Loop: Header=BB59_3 Depth=1
	s_or_b32 exec_lo, exec_lo, s1
	s_and_saveexec_b32 s1, s0
	s_cbranch_execnz .LBB59_72
.LBB59_53:                              ;   in Loop: Header=BB59_3 Depth=1
	s_or_b32 exec_lo, exec_lo, s1
	s_and_saveexec_b32 s1, s0
	s_cbranch_execnz .LBB59_73
.LBB59_54:                              ;   in Loop: Header=BB59_3 Depth=1
	s_or_b32 exec_lo, exec_lo, s1
	s_and_saveexec_b32 s1, s0
	s_cbranch_execnz .LBB59_74
.LBB59_55:                              ;   in Loop: Header=BB59_3 Depth=1
	s_or_b32 exec_lo, exec_lo, s1
	s_and_saveexec_b32 s1, s0
	s_cbranch_execnz .LBB59_75
.LBB59_56:                              ;   in Loop: Header=BB59_3 Depth=1
	s_or_b32 exec_lo, exec_lo, s1
	s_and_saveexec_b32 s1, s0
	s_cbranch_execnz .LBB59_76
.LBB59_57:                              ;   in Loop: Header=BB59_3 Depth=1
	s_or_b32 exec_lo, exec_lo, s1
	s_and_saveexec_b32 s1, s0
	s_cbranch_execnz .LBB59_77
.LBB59_58:                              ;   in Loop: Header=BB59_3 Depth=1
	s_or_b32 exec_lo, exec_lo, s1
	s_and_saveexec_b32 s1, s0
	s_cbranch_execnz .LBB59_78
.LBB59_59:                              ;   in Loop: Header=BB59_3 Depth=1
	s_or_b32 exec_lo, exec_lo, s1
	s_and_saveexec_b32 s1, s0
	s_cbranch_execnz .LBB59_79
.LBB59_60:                              ;   in Loop: Header=BB59_3 Depth=1
	s_or_b32 exec_lo, exec_lo, s1
	s_and_saveexec_b32 s1, s0
	s_cbranch_execnz .LBB59_80
.LBB59_61:                              ;   in Loop: Header=BB59_3 Depth=1
	s_or_b32 exec_lo, exec_lo, s1
	s_and_saveexec_b32 s1, s0
	s_cbranch_execz .LBB59_63
.LBB59_62:                              ;   in Loop: Header=BB59_3 Depth=1
	v_add_co_u32 v101, vcc_lo, v40, v35
	v_add_co_ci_u32_e64 v102, null, v41, v36, vcc_lo
	v_add_co_u32 v105, vcc_lo, v42, v35
	v_add_co_ci_u32_e64 v106, null, v43, v36, vcc_lo
	global_load_dword v18, v[101:102], off
	global_load_dword v34, v[105:106], off
.LBB59_63:                              ;   in Loop: Header=BB59_3 Depth=1
	s_or_b32 exec_lo, exec_lo, s1
	s_waitcnt vmcnt(1)
	ds_bpermute_b32 v101, v2, v103
	ds_bpermute_b32 v102, v2, v103 offset:4
	s_waitcnt vmcnt(0)
	ds_bpermute_b32 v105, v2, v104
	ds_bpermute_b32 v106, v2, v103 offset:8
	ds_bpermute_b32 v108, v2, v104 offset:4
	;; [unrolled: 1-line block ×5, first 2 shown]
	v_add_f32_e32 v107, v126, v3
	ds_bpermute_b32 v110, v2, v104 offset:12
	ds_bpermute_b32 v115, v2, v103 offset:20
	ds_bpermute_b32 v112, v2, v104 offset:16
	ds_bpermute_b32 v117, v2, v103 offset:24
	ds_bpermute_b32 v114, v2, v104 offset:20
	ds_bpermute_b32 v118, v2, v103 offset:28
	ds_bpermute_b32 v116, v2, v104 offset:24
	ds_bpermute_b32 v119, v2, v104 offset:32
	s_waitcnt lgkmcnt(15)
	v_sub_f32_e32 v19, v19, v101
	s_waitcnt lgkmcnt(14)
	v_sub_f32_e32 v20, v20, v102
	ds_bpermute_b32 v101, v2, v104 offset:28
	s_waitcnt lgkmcnt(13)
	v_sub_f32_e32 v21, v21, v106
	ds_bpermute_b32 v102, v2, v104 offset:36
	v_mul_f32_e32 v3, v3, v19
	v_mul_f32_e32 v20, v4, v20
	s_waitcnt lgkmcnt(12)
	v_sub_f32_e32 v22, v22, v111
	v_mul_f32_e32 v21, v5, v21
	ds_bpermute_b32 v19, v2, v103 offset:32
	v_fmac_f32_e32 v100, v3, v105
	v_add_f32_e32 v4, v4, v107
	s_waitcnt lgkmcnt(11)
	v_sub_f32_e32 v23, v23, v113
	v_mul_f32_e32 v22, v6, v22
	ds_bpermute_b32 v3, v2, v103 offset:36
	v_fmac_f32_e32 v100, v20, v108
	v_add_f32_e32 v4, v5, v4
	;; [unrolled: 6-line block ×3, first 2 shown]
	s_waitcnt lgkmcnt(9)
	v_sub_f32_e32 v6, v25, v117
	v_mul_f32_e32 v5, v8, v5
	ds_bpermute_b32 v105, v2, v104 offset:40
	v_fmac_f32_e32 v100, v22, v110
	ds_bpermute_b32 v22, v2, v103 offset:44
	v_add_f32_e32 v4, v7, v4
	s_waitcnt lgkmcnt(9)
	v_sub_f32_e32 v7, v26, v118
	v_mul_f32_e32 v6, v9, v6
	v_fmac_f32_e32 v100, v23, v112
	s_waitcnt lgkmcnt(4)
	v_sub_f32_e32 v19, v27, v19
	v_add_f32_e32 v4, v8, v4
	v_mul_f32_e32 v7, v10, v7
	ds_bpermute_b32 v21, v2, v104 offset:44
	v_fmac_f32_e32 v100, v5, v114
	ds_bpermute_b32 v5, v2, v103 offset:48
	s_waitcnt lgkmcnt(5)
	v_sub_f32_e32 v3, v28, v3
	v_mul_f32_e32 v8, v11, v19
	v_add_f32_e32 v4, v9, v4
	v_fmac_f32_e32 v100, v6, v116
	ds_bpermute_b32 v6, v2, v103 offset:52
	ds_bpermute_b32 v23, v2, v104 offset:48
	s_waitcnt lgkmcnt(6)
	v_sub_f32_e32 v9, v29, v20
	v_mul_f32_e32 v3, v12, v3
	v_fmac_f32_e32 v100, v7, v101
	v_add_f32_e32 v4, v10, v4
	ds_bpermute_b32 v7, v2, v104 offset:52
	s_waitcnt lgkmcnt(5)
	v_sub_f32_e32 v10, v30, v22
	v_mul_f32_e32 v9, v13, v9
	v_fmac_f32_e32 v100, v8, v119
	ds_bpermute_b32 v8, v2, v103 offset:56
	v_add_f32_e32 v4, v11, v4
	v_fmac_f32_e32 v100, v3, v102
	s_waitcnt lgkmcnt(4)
	v_sub_f32_e32 v3, v31, v5
	v_mul_f32_e32 v5, v14, v10
	v_add_f32_e32 v4, v12, v4
	v_fmac_f32_e32 v100, v9, v105
	ds_bpermute_b32 v9, v2, v104 offset:56
	s_waitcnt lgkmcnt(4)
	v_sub_f32_e32 v6, v32, v6
	v_mul_f32_e32 v10, v15, v3
	v_add_f32_e32 v4, v13, v4
	v_fmac_f32_e32 v100, v5, v21
	ds_bpermute_b32 v104, v2, v104 offset:60
	ds_bpermute_b32 v3, v2, v103 offset:60
	v_mul_f32_e32 v5, v16, v6
	v_add_f32_e32 v4, v14, v4
	s_waitcnt lgkmcnt(5)
	v_fmac_f32_e32 v100, v10, v23
	s_waitcnt lgkmcnt(3)
	v_sub_f32_e32 v6, v33, v8
	v_add_f32_e32 v4, v15, v4
	v_fmac_f32_e32 v100, v5, v7
	v_mul_f32_e32 v5, v17, v6
	v_add_f32_e32 v4, v16, v4
	s_waitcnt lgkmcnt(2)
	v_fmac_f32_e32 v100, v5, v9
	v_add_f32_e32 v4, v17, v4
	v_mov_b32_e32 v122, v100
.LBB59_64:                              ;   in Loop: Header=BB59_3 Depth=1
	v_add_co_u32 v125, vcc_lo, v125, s22
	v_add_co_ci_u32_e64 v37, null, s23, v37, vcc_lo
	v_add_co_u32 v38, vcc_lo, v38, s22
	v_add_co_ci_u32_e64 v39, null, s23, v39, vcc_lo
	;; [unrolled: 2-line block ×26, first 2 shown]
	v_add_co_u32 v88, vcc_lo, v88, s22
	s_waitcnt lgkmcnt(0)
	v_sub_f32_e32 v3, v34, v3
	v_add_co_ci_u32_e64 v89, null, s23, v89, vcc_lo
	v_add_co_u32 v90, vcc_lo, v90, s22
	v_add_co_ci_u32_e64 v91, null, s23, v91, vcc_lo
	v_add_co_u32 v92, vcc_lo, v92, s22
	s_add_u32 s26, s26, s29
	v_add_co_ci_u32_e64 v93, null, s23, v93, vcc_lo
	v_add_co_u32 v94, vcc_lo, v94, s22
	v_mul_f32_e32 v3, v18, v3
	s_addc_u32 s27, s27, 0
	v_add_co_ci_u32_e64 v95, null, s23, v95, vcc_lo
	v_add_co_u32 v96, vcc_lo, v96, s22
	v_cmp_lt_i64_e64 s1, s[26:27], s[8:9]
	v_add_co_ci_u32_e64 v97, null, s23, v97, vcc_lo
	v_add_co_u32 v98, vcc_lo, v98, s22
	v_add_f32_e32 v126, v4, v18
	v_fmac_f32_e32 v122, v3, v104
	v_add_co_ci_u32_e64 v99, null, s23, v99, vcc_lo
	s_add_u32 s24, s24, s29
	s_addc_u32 s25, s25, 0
	s_and_b32 vcc_lo, exec_lo, s1
	s_cbranch_vccz .LBB59_82
; %bb.65:                               ;   in Loop: Header=BB59_3 Depth=1
	v_mov_b32_e32 v100, v122
	s_branch .LBB59_3
.LBB59_66:                              ;   in Loop: Header=BB59_3 Depth=1
	v_add_co_u32 v3, vcc_lo, v125, v35
	v_add_co_ci_u32_e64 v4, null, v37, v36, vcc_lo
	v_add_co_u32 v5, vcc_lo, v38, v35
	v_add_co_ci_u32_e64 v6, null, v39, v36, vcc_lo
	global_load_dword v3, v[3:4], off
	global_load_dword v19, v[5:6], off
	v_mov_b32_e32 v4, v2
	v_mov_b32_e32 v5, v2
	;; [unrolled: 1-line block ×30, first 2 shown]
	s_or_b32 exec_lo, exec_lo, s1
	s_and_saveexec_b32 s1, s0
	s_cbranch_execz .LBB59_48
.LBB59_67:                              ;   in Loop: Header=BB59_3 Depth=1
	v_add_co_u32 v101, vcc_lo, v96, v35
	v_add_co_ci_u32_e64 v102, null, v97, v36, vcc_lo
	v_add_co_u32 v105, vcc_lo, v98, v35
	v_add_co_ci_u32_e64 v106, null, v99, v36, vcc_lo
	global_load_dword v4, v[101:102], off
	global_load_dword v20, v[105:106], off
	s_or_b32 exec_lo, exec_lo, s1
	s_and_saveexec_b32 s1, s0
	s_cbranch_execz .LBB59_49
.LBB59_68:                              ;   in Loop: Header=BB59_3 Depth=1
	v_add_co_u32 v101, vcc_lo, v92, v35
	v_add_co_ci_u32_e64 v102, null, v93, v36, vcc_lo
	v_add_co_u32 v105, vcc_lo, v94, v35
	v_add_co_ci_u32_e64 v106, null, v95, v36, vcc_lo
	global_load_dword v5, v[101:102], off
	global_load_dword v21, v[105:106], off
	s_or_b32 exec_lo, exec_lo, s1
	s_and_saveexec_b32 s1, s0
	s_cbranch_execz .LBB59_50
.LBB59_69:                              ;   in Loop: Header=BB59_3 Depth=1
	v_add_co_u32 v101, vcc_lo, v88, v35
	v_add_co_ci_u32_e64 v102, null, v89, v36, vcc_lo
	v_add_co_u32 v105, vcc_lo, v90, v35
	v_add_co_ci_u32_e64 v106, null, v91, v36, vcc_lo
	global_load_dword v6, v[101:102], off
	global_load_dword v22, v[105:106], off
	s_or_b32 exec_lo, exec_lo, s1
	s_and_saveexec_b32 s1, s0
	s_cbranch_execz .LBB59_51
.LBB59_70:                              ;   in Loop: Header=BB59_3 Depth=1
	v_add_co_u32 v101, vcc_lo, v84, v35
	v_add_co_ci_u32_e64 v102, null, v85, v36, vcc_lo
	v_add_co_u32 v105, vcc_lo, v86, v35
	v_add_co_ci_u32_e64 v106, null, v87, v36, vcc_lo
	global_load_dword v7, v[101:102], off
	global_load_dword v23, v[105:106], off
	s_or_b32 exec_lo, exec_lo, s1
	s_and_saveexec_b32 s1, s0
	s_cbranch_execz .LBB59_52
.LBB59_71:                              ;   in Loop: Header=BB59_3 Depth=1
	v_add_co_u32 v101, vcc_lo, v80, v35
	v_add_co_ci_u32_e64 v102, null, v81, v36, vcc_lo
	v_add_co_u32 v105, vcc_lo, v82, v35
	v_add_co_ci_u32_e64 v106, null, v83, v36, vcc_lo
	global_load_dword v8, v[101:102], off
	global_load_dword v24, v[105:106], off
	s_or_b32 exec_lo, exec_lo, s1
	s_and_saveexec_b32 s1, s0
	s_cbranch_execz .LBB59_53
.LBB59_72:                              ;   in Loop: Header=BB59_3 Depth=1
	v_add_co_u32 v101, vcc_lo, v76, v35
	v_add_co_ci_u32_e64 v102, null, v77, v36, vcc_lo
	v_add_co_u32 v105, vcc_lo, v78, v35
	v_add_co_ci_u32_e64 v106, null, v79, v36, vcc_lo
	global_load_dword v9, v[101:102], off
	global_load_dword v25, v[105:106], off
	s_or_b32 exec_lo, exec_lo, s1
	s_and_saveexec_b32 s1, s0
	s_cbranch_execz .LBB59_54
.LBB59_73:                              ;   in Loop: Header=BB59_3 Depth=1
	v_add_co_u32 v101, vcc_lo, v72, v35
	v_add_co_ci_u32_e64 v102, null, v73, v36, vcc_lo
	v_add_co_u32 v105, vcc_lo, v74, v35
	v_add_co_ci_u32_e64 v106, null, v75, v36, vcc_lo
	global_load_dword v10, v[101:102], off
	global_load_dword v26, v[105:106], off
	s_or_b32 exec_lo, exec_lo, s1
	s_and_saveexec_b32 s1, s0
	s_cbranch_execz .LBB59_55
.LBB59_74:                              ;   in Loop: Header=BB59_3 Depth=1
	v_add_co_u32 v101, vcc_lo, v68, v35
	v_add_co_ci_u32_e64 v102, null, v69, v36, vcc_lo
	v_add_co_u32 v105, vcc_lo, v70, v35
	v_add_co_ci_u32_e64 v106, null, v71, v36, vcc_lo
	global_load_dword v11, v[101:102], off
	global_load_dword v27, v[105:106], off
	s_or_b32 exec_lo, exec_lo, s1
	s_and_saveexec_b32 s1, s0
	s_cbranch_execz .LBB59_56
.LBB59_75:                              ;   in Loop: Header=BB59_3 Depth=1
	v_add_co_u32 v101, vcc_lo, v64, v35
	v_add_co_ci_u32_e64 v102, null, v65, v36, vcc_lo
	v_add_co_u32 v105, vcc_lo, v66, v35
	v_add_co_ci_u32_e64 v106, null, v67, v36, vcc_lo
	global_load_dword v12, v[101:102], off
	global_load_dword v28, v[105:106], off
	s_or_b32 exec_lo, exec_lo, s1
	s_and_saveexec_b32 s1, s0
	s_cbranch_execz .LBB59_57
.LBB59_76:                              ;   in Loop: Header=BB59_3 Depth=1
	v_add_co_u32 v101, vcc_lo, v60, v35
	v_add_co_ci_u32_e64 v102, null, v61, v36, vcc_lo
	v_add_co_u32 v105, vcc_lo, v62, v35
	v_add_co_ci_u32_e64 v106, null, v63, v36, vcc_lo
	global_load_dword v13, v[101:102], off
	global_load_dword v29, v[105:106], off
	s_or_b32 exec_lo, exec_lo, s1
	s_and_saveexec_b32 s1, s0
	s_cbranch_execz .LBB59_58
.LBB59_77:                              ;   in Loop: Header=BB59_3 Depth=1
	v_add_co_u32 v101, vcc_lo, v56, v35
	v_add_co_ci_u32_e64 v102, null, v57, v36, vcc_lo
	v_add_co_u32 v105, vcc_lo, v58, v35
	v_add_co_ci_u32_e64 v106, null, v59, v36, vcc_lo
	global_load_dword v14, v[101:102], off
	global_load_dword v30, v[105:106], off
	s_or_b32 exec_lo, exec_lo, s1
	s_and_saveexec_b32 s1, s0
	s_cbranch_execz .LBB59_59
.LBB59_78:                              ;   in Loop: Header=BB59_3 Depth=1
	v_add_co_u32 v101, vcc_lo, v52, v35
	v_add_co_ci_u32_e64 v102, null, v53, v36, vcc_lo
	v_add_co_u32 v105, vcc_lo, v54, v35
	v_add_co_ci_u32_e64 v106, null, v55, v36, vcc_lo
	global_load_dword v15, v[101:102], off
	global_load_dword v31, v[105:106], off
	s_or_b32 exec_lo, exec_lo, s1
	s_and_saveexec_b32 s1, s0
	s_cbranch_execz .LBB59_60
.LBB59_79:                              ;   in Loop: Header=BB59_3 Depth=1
	v_add_co_u32 v101, vcc_lo, v48, v35
	v_add_co_ci_u32_e64 v102, null, v49, v36, vcc_lo
	v_add_co_u32 v105, vcc_lo, v50, v35
	v_add_co_ci_u32_e64 v106, null, v51, v36, vcc_lo
	global_load_dword v16, v[101:102], off
	global_load_dword v32, v[105:106], off
	s_or_b32 exec_lo, exec_lo, s1
	s_and_saveexec_b32 s1, s0
	s_cbranch_execz .LBB59_61
.LBB59_80:                              ;   in Loop: Header=BB59_3 Depth=1
	v_add_co_u32 v101, vcc_lo, v44, v35
	v_add_co_ci_u32_e64 v102, null, v45, v36, vcc_lo
	v_add_co_u32 v105, vcc_lo, v46, v35
	v_add_co_ci_u32_e64 v106, null, v47, v36, vcc_lo
	global_load_dword v17, v[101:102], off
	global_load_dword v33, v[105:106], off
	s_or_b32 exec_lo, exec_lo, s1
	s_and_saveexec_b32 s1, s0
	s_cbranch_execnz .LBB59_62
	s_branch .LBB59_63
.LBB59_81:
                                        ; implicit-def: $vgpr126
                                        ; implicit-def: $vgpr122
	s_branch .LBB59_83
.LBB59_82:
	s_cbranch_execnz .LBB59_131
.LBB59_83:
	v_mov_b32_e32 v126, 0
	v_mov_b32_e32 v122, 0
	s_andn2_b32 vcc_lo, exec_lo, s7
	s_cbranch_vccnz .LBB59_131
; %bb.84:
	v_lshlrev_b32_e32 v0, 4, v1
	v_mov_b32_e32 v2, 0
	v_add_nc_u32_e32 v3, s28, v124
	s_load_dword s7, s[4:5], 0x44
	s_add_u32 s0, s4, 64
	buffer_store_dword v0, off, s[36:39], 0 offset:164 ; 4-byte Folded Spill
	v_add_co_u32 v0, s20, v0, s2
	v_mov_b32_e32 v4, v2
	v_add_co_ci_u32_e64 v98, null, 0, 0, s20
	v_mul_lo_u32 v5, s11, v0
	s_addc_u32 s1, s5, 0
	v_lshlrev_b64 v[35:36], 2, v[3:4]
	v_mul_lo_u32 v6, s10, v98
	v_mad_u64_u32 v[3:4], null, s10, v0, 0
	buffer_store_dword v1, off, s[36:39], 0 offset:160 ; 4-byte Folded Spill
	buffer_store_dword v124, off, s[36:39], 0 offset:156 ; 4-byte Folded Spill
	v_mov_b32_e32 v122, 0
	v_add3_u32 v4, v4, v6, v5
	s_waitcnt lgkmcnt(0)
	s_lshl_b32 s7, s7, 8
	s_mul_i32 s20, s11, s7
	s_mul_hi_u32 s21, s10, s7
	v_lshlrev_b64 v[5:6], 2, v[3:4]
	s_add_i32 s21, s21, s20
	s_mul_i32 s20, s10, s7
	s_lshl_b64 s[20:21], s[20:21], 2
	s_add_u32 s22, s2, 0xff
	v_add_co_u32 v7, vcc_lo, s12, v5
	s_addc_u32 s23, 0, 0
	s_lshl_b64 s[24:25], s[2:3], 2
	buffer_store_dword v7, off, s[36:39], 0 ; 4-byte Folded Spill
	v_add_co_ci_u32_e64 v7, null, s13, v6, vcc_lo
	v_add_co_u32 v5, vcc_lo, s14, v5
	buffer_store_dword v7, off, s[36:39], 0 offset:4 ; 4-byte Folded Spill
	buffer_store_dword v5, off, s[36:39], 0 offset:8 ; 4-byte Folded Spill
	v_add_co_ci_u32_e64 v5, null, s15, v6, vcc_lo
	buffer_store_dword v5, off, s[36:39], 0 offset:12 ; 4-byte Folded Spill
	v_lshlrev_b32_e32 v5, 6, v1
	v_add_co_u32 v5, s24, v5, s24
	v_add_co_ci_u32_e64 v6, null, 0, s25, s24
	v_add_co_u32 v67, vcc_lo, v5, 4
	v_add_co_ci_u32_e64 v7, null, 0, v6, vcc_lo
	v_add_co_u32 v70, vcc_lo, v5, 8
	v_mad_u64_u32 v[37:38], null, s10, v67, s[12:13]
	v_mul_lo_u32 v69, s10, v7
	v_add_co_ci_u32_e64 v7, null, 0, v6, vcc_lo
	v_add_co_u32 v71, vcc_lo, v5, 12
	v_mul_lo_u32 v72, s11, v67
	v_mul_lo_u32 v81, s10, v7
	v_add_co_ci_u32_e64 v7, null, 0, v6, vcc_lo
	v_add_co_u32 v73, vcc_lo, v5, 16
	v_mad_u64_u32 v[67:68], null, s10, v67, s[14:15]
	v_mul_lo_u32 v74, s10, v7
	v_add_co_ci_u32_e64 v7, null, 0, v6, vcc_lo
	v_add_co_u32 v75, vcc_lo, v5, 20
	v_add3_u32 v38, v72, v38, v69
	v_mul_lo_u32 v76, s10, v7
	v_add_co_ci_u32_e64 v7, null, 0, v6, vcc_lo
	v_add_co_u32 v32, vcc_lo, v5, 24
	v_mad_u64_u32 v[41:42], null, s10, v71, s[12:13]
	v_mul_lo_u32 v77, s10, v7
	v_add_co_ci_u32_e64 v7, null, 0, v6, vcc_lo
	v_add_co_u32 v31, vcc_lo, v5, 28
	v_mul_lo_u32 v80, s11, v71
	v_mul_lo_u32 v33, s10, v7
	v_add_co_ci_u32_e64 v7, null, 0, v6, vcc_lo
	v_add_co_u32 v26, vcc_lo, v5, 32
	v_add3_u32 v68, v72, v68, v69
	v_mul_lo_u32 v29, s10, v7
	v_add_co_ci_u32_e64 v7, null, 0, v6, vcc_lo
	v_add_co_u32 v25, vcc_lo, v5, 36
	v_mad_u64_u32 v[71:72], null, s10, v71, s[14:15]
	v_mul_lo_u32 v27, s10, v7
	v_add_co_ci_u32_e64 v7, null, 0, v6, vcc_lo
	v_add_co_u32 v20, vcc_lo, v5, 40
	v_add3_u32 v42, v80, v42, v74
	v_mul_lo_u32 v23, s10, v7
	v_add_co_ci_u32_e64 v7, null, 0, v6, vcc_lo
	v_add_co_u32 v19, vcc_lo, v5, 44
	v_mad_u64_u32 v[43:44], null, s10, v73, s[12:13]
	v_mul_lo_u32 v21, s10, v7
	v_add_co_ci_u32_e64 v7, null, 0, v6, vcc_lo
	v_add_co_u32 v14, vcc_lo, v5, 48
	v_mul_lo_u32 v79, s11, v73
	v_mul_lo_u32 v17, s10, v7
	v_add_co_ci_u32_e64 v7, null, 0, v6, vcc_lo
	v_add_co_u32 v11, vcc_lo, v5, 52
	v_add3_u32 v72, v80, v72, v74
	v_mul_lo_u32 v15, s10, v7
	v_add_co_ci_u32_e64 v7, null, 0, v6, vcc_lo
	v_add_co_u32 v8, vcc_lo, v5, 56
	v_mad_u64_u32 v[73:74], null, s10, v73, s[14:15]
	v_mul_lo_u32 v12, s10, v7
	v_add_co_ci_u32_e64 v7, null, 0, v6, vcc_lo
	v_add_co_u32 v5, vcc_lo, v5, 60
	v_add_co_ci_u32_e64 v6, null, 0, v6, vcc_lo
	v_mul_lo_u32 v9, s10, v7
	v_mad_u64_u32 v[65:66], null, s10, v5, s[12:13]
	v_mul_lo_u32 v6, s10, v6
	v_mul_lo_u32 v7, s11, v5
	v_mad_u64_u32 v[95:96], null, s10, v5, s[14:15]
	v_add_co_u32 v5, vcc_lo, v0, 15
	v_mad_u64_u32 v[63:64], null, s10, v8, s[12:13]
	v_mul_lo_u32 v10, s11, v8
	v_add3_u32 v66, v7, v66, v6
	v_add3_u32 v96, v7, v96, v6
	v_add_co_ci_u32_e64 v6, null, 0, v98, vcc_lo
	v_mad_u64_u32 v[93:94], null, s10, v8, s[14:15]
	v_mul_lo_u32 v7, s11, v5
	v_mul_lo_u32 v8, s10, v6
	v_mad_u64_u32 v[5:6], null, s10, v5, 0
	v_mad_u64_u32 v[39:40], null, s10, v70, s[12:13]
	v_mul_lo_u32 v82, s11, v70
	v_add3_u32 v44, v79, v44, v76
	v_mad_u64_u32 v[45:46], null, s10, v75, s[12:13]
	v_add3_u32 v6, v6, v8, v7
	v_mul_lo_u32 v78, s11, v75
	v_mad_u64_u32 v[69:70], null, s10, v70, s[14:15]
	v_add3_u32 v74, v79, v74, v76
	v_lshlrev_b64 v[5:6], 2, v[5:6]
	v_mad_u64_u32 v[75:76], null, s10, v75, s[14:15]
	v_add3_u32 v40, v82, v40, v81
	v_add3_u32 v46, v78, v46, v77
	v_mad_u64_u32 v[47:48], null, s10, v32, s[12:13]
	v_add_co_u32 v1, vcc_lo, s12, v5
	v_mul_lo_u32 v34, s11, v32
	v_mad_u64_u32 v[49:50], null, s10, v31, s[12:13]
	buffer_store_dword v1, off, s[36:39], 0 offset:16 ; 4-byte Folded Spill
	v_add_co_ci_u32_e64 v1, null, s13, v6, vcc_lo
	v_mul_lo_u32 v30, s11, v31
	v_mad_u64_u32 v[51:52], null, s10, v26, s[12:13]
	buffer_store_dword v1, off, s[36:39], 0 offset:20 ; 4-byte Folded Spill
	v_add_co_u32 v1, vcc_lo, s14, v5
	v_mul_lo_u32 v28, s11, v26
	v_mad_u64_u32 v[53:54], null, s10, v25, s[12:13]
	buffer_store_dword v1, off, s[36:39], 0 offset:24 ; 4-byte Folded Spill
	v_add_co_ci_u32_e64 v1, null, s15, v6, vcc_lo
	v_add_co_u32 v5, vcc_lo, v0, 14
	v_add_co_ci_u32_e64 v6, null, 0, v98, vcc_lo
	buffer_store_dword v1, off, s[36:39], 0 offset:28 ; 4-byte Folded Spill
	v_mul_lo_u32 v7, s11, v5
	v_mul_lo_u32 v24, s11, v25
	;; [unrolled: 1-line block ×3, first 2 shown]
	v_mad_u64_u32 v[5:6], null, s10, v5, 0
	v_mad_u64_u32 v[55:56], null, s10, v20, s[12:13]
	v_mul_lo_u32 v22, s11, v20
	v_mad_u64_u32 v[57:58], null, s10, v19, s[12:13]
	v_mul_lo_u32 v18, s11, v19
	v_add3_u32 v6, v6, v8, v7
	v_mad_u64_u32 v[59:60], null, s10, v14, s[12:13]
	v_mul_lo_u32 v16, s11, v14
	v_mad_u64_u32 v[61:62], null, s10, v11, s[12:13]
	v_lshlrev_b64 v[5:6], 2, v[5:6]
	v_mul_lo_u32 v13, s11, v11
	v_add3_u32 v70, v82, v70, v81
	v_add3_u32 v76, v78, v76, v77
	v_mad_u64_u32 v[77:78], null, s10, v32, s[14:15]
	v_add_co_u32 v1, vcc_lo, s12, v5
	v_mad_u64_u32 v[79:80], null, s10, v31, s[14:15]
	v_mad_u64_u32 v[81:82], null, s10, v26, s[14:15]
	buffer_store_dword v1, off, s[36:39], 0 offset:32 ; 4-byte Folded Spill
	v_add_co_ci_u32_e64 v1, null, s13, v6, vcc_lo
	v_mad_u64_u32 v[83:84], null, s10, v25, s[14:15]
	v_mad_u64_u32 v[85:86], null, s10, v20, s[14:15]
	buffer_store_dword v1, off, s[36:39], 0 offset:36 ; 4-byte Folded Spill
	v_add_co_u32 v1, vcc_lo, s14, v5
	v_mad_u64_u32 v[87:88], null, s10, v19, s[14:15]
	v_mad_u64_u32 v[89:90], null, s10, v14, s[14:15]
	buffer_store_dword v1, off, s[36:39], 0 offset:40 ; 4-byte Folded Spill
	v_add_co_ci_u32_e64 v1, null, s15, v6, vcc_lo
	v_add_co_u32 v5, vcc_lo, v0, 13
	v_add_co_ci_u32_e64 v6, null, 0, v98, vcc_lo
	buffer_store_dword v1, off, s[36:39], 0 offset:44 ; 4-byte Folded Spill
	v_mul_lo_u32 v7, s11, v5
	v_mad_u64_u32 v[91:92], null, s10, v11, s[14:15]
	v_mul_lo_u32 v8, s10, v6
	v_mad_u64_u32 v[5:6], null, s10, v5, 0
	v_add3_u32 v48, v34, v48, v33
	v_add3_u32 v50, v30, v50, v29
	;; [unrolled: 1-line block ×11, first 2 shown]
	v_lshlrev_b64 v[5:6], 2, v[5:6]
	v_add3_u32 v80, v30, v80, v29
	v_add3_u32 v82, v28, v82, v27
	;; [unrolled: 1-line block ×5, first 2 shown]
	v_add_co_u32 v1, vcc_lo, s12, v5
	v_add3_u32 v90, v16, v90, v15
	v_add3_u32 v92, v13, v92, v12
	;; [unrolled: 1-line block ×3, first 2 shown]
	buffer_store_dword v1, off, s[36:39], 0 offset:48 ; 4-byte Folded Spill
	v_add_co_ci_u32_e64 v1, null, s13, v6, vcc_lo
	buffer_store_dword v1, off, s[36:39], 0 offset:52 ; 4-byte Folded Spill
	v_add_co_u32 v1, vcc_lo, s14, v5
	buffer_store_dword v1, off, s[36:39], 0 offset:56 ; 4-byte Folded Spill
	v_add_co_ci_u32_e64 v1, null, s15, v6, vcc_lo
	v_add_co_u32 v5, vcc_lo, v0, 12
	v_add_co_ci_u32_e64 v6, null, 0, v98, vcc_lo
	buffer_store_dword v1, off, s[36:39], 0 offset:60 ; 4-byte Folded Spill
	v_mul_lo_u32 v7, s11, v5
	v_mul_lo_u32 v8, s10, v6
	v_mad_u64_u32 v[5:6], null, s10, v5, 0
	v_add3_u32 v6, v6, v8, v7
	v_lshlrev_b64 v[5:6], 2, v[5:6]
	v_add_co_u32 v1, vcc_lo, s12, v5
	buffer_store_dword v1, off, s[36:39], 0 offset:64 ; 4-byte Folded Spill
	v_add_co_ci_u32_e64 v1, null, s13, v6, vcc_lo
	buffer_store_dword v1, off, s[36:39], 0 offset:68 ; 4-byte Folded Spill
	v_add_co_u32 v1, vcc_lo, s14, v5
	buffer_store_dword v1, off, s[36:39], 0 offset:72 ; 4-byte Folded Spill
	v_add_co_ci_u32_e64 v1, null, s15, v6, vcc_lo
	v_add_co_u32 v5, vcc_lo, v0, 11
	v_add_co_ci_u32_e64 v6, null, 0, v98, vcc_lo
	buffer_store_dword v1, off, s[36:39], 0 offset:76 ; 4-byte Folded Spill
	v_mul_lo_u32 v7, s11, v5
	v_mul_lo_u32 v8, s10, v6
	v_mad_u64_u32 v[5:6], null, s10, v5, 0
	v_add3_u32 v6, v6, v8, v7
	v_lshlrev_b64 v[5:6], 2, v[5:6]
	v_add_co_u32 v1, vcc_lo, s12, v5
	;; [unrolled: 15-line block ×6, first 2 shown]
	buffer_store_dword v1, off, s[36:39], 0 offset:144 ; 4-byte Folded Spill
	v_add_co_ci_u32_e64 v1, null, s13, v6, vcc_lo
	v_add_co_u32 v105, vcc_lo, s14, v5
	v_add_co_ci_u32_e64 v106, null, s15, v6, vcc_lo
	v_add_co_u32 v5, vcc_lo, v0, 6
	v_add_co_ci_u32_e64 v6, null, 0, v98, vcc_lo
	buffer_store_dword v1, off, s[36:39], 0 offset:148 ; 4-byte Folded Spill
	v_mul_lo_u32 v7, s11, v5
	v_mul_lo_u32 v8, s10, v6
	v_mad_u64_u32 v[5:6], null, s10, v5, 0
	v_add3_u32 v6, v6, v8, v7
	v_lshlrev_b64 v[5:6], 2, v[5:6]
	v_add_co_u32 v107, vcc_lo, s12, v5
	v_add_co_ci_u32_e64 v108, null, s13, v6, vcc_lo
	v_add_co_u32 v109, vcc_lo, s14, v5
	v_add_co_ci_u32_e64 v110, null, s15, v6, vcc_lo
	v_add_co_u32 v5, vcc_lo, v0, 5
	v_add_co_ci_u32_e64 v6, null, 0, v98, vcc_lo
	v_mul_lo_u32 v7, s11, v5
	v_mul_lo_u32 v8, s10, v6
	v_mad_u64_u32 v[5:6], null, s10, v5, 0
	v_add3_u32 v6, v6, v8, v7
	v_lshlrev_b64 v[5:6], 2, v[5:6]
	v_add_co_u32 v111, vcc_lo, s12, v5
	v_add_co_ci_u32_e64 v112, null, s13, v6, vcc_lo
	v_add_co_u32 v113, vcc_lo, s14, v5
	v_add_co_ci_u32_e64 v114, null, s15, v6, vcc_lo
	v_add_co_u32 v5, vcc_lo, v0, 4
	v_add_co_ci_u32_e64 v6, null, 0, v98, vcc_lo
	v_mul_lo_u32 v7, s11, v5
	v_mul_lo_u32 v8, s10, v6
	v_mad_u64_u32 v[5:6], null, s10, v5, 0
	v_add3_u32 v6, v6, v8, v7
	v_lshlrev_b64 v[5:6], 2, v[5:6]
	v_add_co_u32 v115, vcc_lo, s12, v5
	v_add_co_ci_u32_e64 v116, null, s13, v6, vcc_lo
	v_add_co_u32 v117, vcc_lo, s14, v5
	v_add_co_ci_u32_e64 v118, null, s15, v6, vcc_lo
	v_add_co_u32 v5, vcc_lo, v0, 3
	v_add_co_ci_u32_e64 v6, null, 0, v98, vcc_lo
	v_mul_lo_u32 v7, s11, v5
	v_mul_lo_u32 v8, s10, v6
	v_mad_u64_u32 v[5:6], null, s10, v5, 0
	v_add3_u32 v6, v6, v8, v7
	v_lshlrev_b64 v[5:6], 2, v[5:6]
	v_add_co_u32 v97, vcc_lo, s12, v5
	v_add_co_ci_u32_e64 v119, null, s13, v6, vcc_lo
	v_add_co_u32 v120, vcc_lo, s14, v5
	v_add_co_ci_u32_e64 v121, null, s15, v6, vcc_lo
	v_add_co_u32 v0, vcc_lo, v0, 2
	v_add_co_ci_u32_e64 v1, null, 0, v98, vcc_lo
	v_mul_lo_u32 v5, s11, v0
	v_mul_lo_u32 v6, s10, v1
	v_mad_u64_u32 v[0:1], null, s10, v0, 0
	v_add3_u32 v1, v1, v6, v5
	v_lshlrev_b64 v[0:1], 2, v[0:1]
	v_add_co_u32 v123, vcc_lo, s12, v0
	v_add_co_ci_u32_e64 v124, null, s13, v1, vcc_lo
	v_add_co_u32 v125, vcc_lo, s14, v0
	v_add_co_ci_u32_e64 v126, null, s15, v1, vcc_lo
	v_add_co_u32 v0, vcc_lo, v3, s10
	v_add_co_ci_u32_e64 v1, null, s11, v4, vcc_lo
	v_lshlrev_b64 v[0:1], 2, v[0:1]
	v_add_co_u32 v127, vcc_lo, s12, v0
	v_add_co_ci_u32_e64 v98, null, s13, v1, vcc_lo
	v_add_co_u32 v99, vcc_lo, s14, v0
	v_add_co_ci_u32_e64 v0, null, s15, v1, vcc_lo
	v_mov_b32_e32 v1, 0
	buffer_store_dword v1, off, s[36:39], 0 offset:152 ; 4-byte Folded Spill
	s_branch .LBB59_88
.LBB59_85:                              ;   in Loop: Header=BB59_88 Depth=1
	s_or_b32 exec_lo, exec_lo, s13
.LBB59_86:                              ;   in Loop: Header=BB59_88 Depth=1
	s_or_b32 exec_lo, exec_lo, s12
	buffer_load_dword v1, off, s[36:39], 0 offset:8 ; 4-byte Folded Reload
	s_waitcnt vmcnt(0)
	v_add_co_u32 v3, vcc_lo, v1, v35
	buffer_load_dword v1, off, s[36:39], 0 offset:12 ; 4-byte Folded Reload
	s_waitcnt vmcnt(0)
	v_add_co_ci_u32_e64 v4, null, v1, v36, vcc_lo
	buffer_load_dword v1, off, s[36:39], 0  ; 4-byte Folded Reload
	global_load_dword v7, v[3:4], off
	s_waitcnt vmcnt(1)
	v_add_co_u32 v3, vcc_lo, v1, v35
	buffer_load_dword v1, off, s[36:39], 0 offset:4 ; 4-byte Folded Reload
	s_waitcnt vmcnt(0)
	v_add_co_ci_u32_e64 v4, null, v1, v36, vcc_lo
	global_load_dword v1, v[3:4], off
	ds_bpermute_b32 v3, v2, v6
	ds_bpermute_b32 v4, v2, v5
	s_waitcnt lgkmcnt(1)
	v_sub_f32_e32 v3, v7, v3
	s_waitcnt vmcnt(0)
	v_mul_f32_e32 v3, v1, v3
	s_waitcnt lgkmcnt(0)
	v_fmac_f32_e32 v122, v3, v4
	v_add_co_u32 v3, vcc_lo, v67, v35
	v_add_co_ci_u32_e64 v4, null, v68, v36, vcc_lo
	global_load_dword v7, v[3:4], off
	v_add_co_u32 v3, vcc_lo, v37, v35
	v_add_co_ci_u32_e64 v4, null, v38, v36, vcc_lo
	global_load_dword v3, v[3:4], off
	ds_bpermute_b32 v4, v2, v6 offset:4
	s_waitcnt vmcnt(1) lgkmcnt(0)
	v_sub_f32_e32 v4, v7, v4
	ds_bpermute_b32 v7, v2, v5 offset:4
	s_waitcnt vmcnt(0)
	v_mul_f32_e32 v4, v3, v4
	s_waitcnt lgkmcnt(0)
	v_fmac_f32_e32 v122, v4, v7
	v_add_co_u32 v7, vcc_lo, v69, v35
	v_add_co_ci_u32_e64 v8, null, v70, v36, vcc_lo
	global_load_dword v9, v[7:8], off
	v_add_co_u32 v7, vcc_lo, v39, v35
	v_add_co_ci_u32_e64 v8, null, v40, v36, vcc_lo
	global_load_dword v4, v[7:8], off
	ds_bpermute_b32 v7, v2, v6 offset:8
	ds_bpermute_b32 v8, v2, v5 offset:8
	s_waitcnt vmcnt(1) lgkmcnt(1)
	v_sub_f32_e32 v7, v9, v7
	s_waitcnt vmcnt(0)
	v_mul_f32_e32 v7, v4, v7
	s_waitcnt lgkmcnt(0)
	v_fmac_f32_e32 v122, v7, v8
	v_add_co_u32 v7, vcc_lo, v71, v35
	v_add_co_ci_u32_e64 v8, null, v72, v36, vcc_lo
	global_load_dword v9, v[7:8], off
	v_add_co_u32 v7, vcc_lo, v41, v35
	v_add_co_ci_u32_e64 v8, null, v42, v36, vcc_lo
	global_load_dword v7, v[7:8], off
	ds_bpermute_b32 v8, v2, v6 offset:12
	s_waitcnt vmcnt(1) lgkmcnt(0)
	v_sub_f32_e32 v8, v9, v8
	ds_bpermute_b32 v9, v2, v5 offset:12
	s_waitcnt vmcnt(0)
	v_mul_f32_e32 v8, v7, v8
	s_waitcnt lgkmcnt(0)
	v_fmac_f32_e32 v122, v8, v9
	v_add_co_u32 v8, vcc_lo, v73, v35
	v_add_co_ci_u32_e64 v9, null, v74, v36, vcc_lo
	global_load_dword v10, v[8:9], off
	v_add_co_u32 v8, vcc_lo, v43, v35
	v_add_co_ci_u32_e64 v9, null, v44, v36, vcc_lo
	global_load_dword v8, v[8:9], off
	ds_bpermute_b32 v9, v2, v6 offset:16
	s_waitcnt vmcnt(1) lgkmcnt(0)
	v_sub_f32_e32 v9, v10, v9
	ds_bpermute_b32 v10, v2, v5 offset:16
	s_waitcnt vmcnt(0)
	v_mul_f32_e32 v9, v8, v9
	s_waitcnt lgkmcnt(0)
	v_fmac_f32_e32 v122, v9, v10
	v_add_co_u32 v9, vcc_lo, v75, v35
	v_add_co_ci_u32_e64 v10, null, v76, v36, vcc_lo
	global_load_dword v11, v[9:10], off
	v_add_co_u32 v9, vcc_lo, v45, v35
	v_add_co_ci_u32_e64 v10, null, v46, v36, vcc_lo
	global_load_dword v12, v[9:10], off
	ds_bpermute_b32 v9, v2, v6 offset:20
	ds_bpermute_b32 v10, v2, v5 offset:20
	s_waitcnt vmcnt(1) lgkmcnt(1)
	v_sub_f32_e32 v9, v11, v9
	s_waitcnt vmcnt(0)
	v_mul_f32_e32 v9, v12, v9
	s_waitcnt lgkmcnt(0)
	v_fmac_f32_e32 v122, v9, v10
	v_add_co_u32 v9, vcc_lo, v77, v35
	v_add_co_ci_u32_e64 v10, null, v78, v36, vcc_lo
	global_load_dword v11, v[9:10], off
	v_add_co_u32 v9, vcc_lo, v47, v35
	v_add_co_ci_u32_e64 v10, null, v48, v36, vcc_lo
	global_load_dword v13, v[9:10], off
	ds_bpermute_b32 v9, v2, v6 offset:24
	ds_bpermute_b32 v10, v2, v5 offset:24
	s_waitcnt vmcnt(1) lgkmcnt(1)
	v_sub_f32_e32 v9, v11, v9
	;; [unrolled: 14-line block ×10, first 2 shown]
	s_waitcnt vmcnt(0)
	v_mul_f32_e32 v9, v21, v9
	s_waitcnt lgkmcnt(0)
	v_fmac_f32_e32 v122, v9, v10
	v_add_co_u32 v9, vcc_lo, v95, v35
	v_add_co_ci_u32_e64 v10, null, v96, v36, vcc_lo
	global_load_dword v9, v[9:10], off
	buffer_load_dword v10, off, s[36:39], 0 offset:152 ; 4-byte Folded Reload
	s_waitcnt vmcnt(0)
	v_add_f32_e32 v1, v10, v1
	v_add_f32_e32 v1, v1, v3
	ds_bpermute_b32 v3, v2, v6 offset:60
	v_add_co_u32 v6, vcc_lo, v65, v35
	v_add_f32_e32 v1, v1, v4
	v_add_f32_e32 v1, v1, v7
	v_add_co_ci_u32_e64 v7, null, v66, v36, vcc_lo
	v_add_f32_e32 v1, v1, v8
	v_add_f32_e32 v1, v1, v12
	s_waitcnt lgkmcnt(0)
	v_sub_f32_e32 v4, v9, v3
	v_add_f32_e32 v1, v1, v13
	v_add_f32_e32 v1, v1, v14
	;; [unrolled: 1-line block ×6, first 2 shown]
	global_load_dword v18, v[6:7], off
	v_add_f32_e32 v1, v1, v19
	v_mov_b32_e32 v19, v122
	v_add_f32_e32 v1, v1, v20
	v_add_f32_e32 v3, v1, v21
	ds_bpermute_b32 v1, v2, v5 offset:60
	s_waitcnt vmcnt(0)
	v_mul_f32_e32 v4, v18, v4
	s_waitcnt lgkmcnt(0)
	v_mul_f32_e32 v4, v4, v1
.LBB59_87:                              ;   in Loop: Header=BB59_88 Depth=1
	v_add_f32_e32 v1, v3, v18
	s_add_u32 s2, s2, s7
	s_addc_u32 s3, s3, 0
	v_add_f32_e32 v122, v19, v4
	v_cmp_ge_i64_e64 s12, s[2:3], s[8:9]
	buffer_store_dword v1, off, s[36:39], 0 offset:152 ; 4-byte Folded Spill
	buffer_load_dword v1, off, s[36:39], 0  ; 4-byte Folded Reload
	s_add_u32 s22, s22, s7
	s_addc_u32 s23, s23, 0
	s_waitcnt vmcnt(0)
	v_add_co_u32 v1, vcc_lo, v1, s20
	buffer_store_dword v1, off, s[36:39], 0 ; 4-byte Folded Spill
	buffer_load_dword v1, off, s[36:39], 0 offset:4 ; 4-byte Folded Reload
	s_waitcnt vmcnt(0)
	v_add_co_ci_u32_e64 v1, null, s21, v1, vcc_lo
	buffer_store_dword v1, off, s[36:39], 0 offset:4 ; 4-byte Folded Spill
	buffer_load_dword v1, off, s[36:39], 0 offset:8 ; 4-byte Folded Reload
	s_waitcnt vmcnt(0)
	v_add_co_u32 v1, vcc_lo, v1, s20
	buffer_store_dword v1, off, s[36:39], 0 offset:8 ; 4-byte Folded Spill
	buffer_load_dword v1, off, s[36:39], 0 offset:12 ; 4-byte Folded Reload
	s_waitcnt vmcnt(0)
	v_add_co_ci_u32_e64 v1, null, s21, v1, vcc_lo
	v_add_co_u32 v37, vcc_lo, v37, s20
	v_add_co_ci_u32_e64 v38, null, s21, v38, vcc_lo
	buffer_store_dword v1, off, s[36:39], 0 offset:12 ; 4-byte Folded Spill
	buffer_load_dword v1, off, s[36:39], 0 offset:16 ; 4-byte Folded Reload
	v_add_co_u32 v39, vcc_lo, v39, s20
	v_add_co_ci_u32_e64 v40, null, s21, v40, vcc_lo
	v_add_co_u32 v41, vcc_lo, v41, s20
	v_add_co_ci_u32_e64 v42, null, s21, v42, vcc_lo
	;; [unrolled: 2-line block ×29, first 2 shown]
	s_waitcnt vmcnt(0)
	v_add_co_u32 v1, vcc_lo, v1, s20
	buffer_store_dword v1, off, s[36:39], 0 offset:16 ; 4-byte Folded Spill
	buffer_load_dword v1, off, s[36:39], 0 offset:20 ; 4-byte Folded Reload
	s_waitcnt vmcnt(0)
	v_add_co_ci_u32_e64 v1, null, s21, v1, vcc_lo
	buffer_store_dword v1, off, s[36:39], 0 offset:20 ; 4-byte Folded Spill
	buffer_load_dword v1, off, s[36:39], 0 offset:24 ; 4-byte Folded Reload
	s_waitcnt vmcnt(0)
	v_add_co_u32 v1, vcc_lo, v1, s20
	buffer_store_dword v1, off, s[36:39], 0 offset:24 ; 4-byte Folded Spill
	buffer_load_dword v1, off, s[36:39], 0 offset:28 ; 4-byte Folded Reload
	s_waitcnt vmcnt(0)
	v_add_co_ci_u32_e64 v1, null, s21, v1, vcc_lo
	buffer_store_dword v1, off, s[36:39], 0 offset:28 ; 4-byte Folded Spill
	buffer_load_dword v1, off, s[36:39], 0 offset:32 ; 4-byte Folded Reload
	;; [unrolled: 8-line block ×16, first 2 shown]
	s_waitcnt vmcnt(0)
	v_add_co_u32 v1, vcc_lo, v1, s20
	buffer_store_dword v1, off, s[36:39], 0 offset:144 ; 4-byte Folded Spill
	buffer_load_dword v1, off, s[36:39], 0 offset:148 ; 4-byte Folded Reload
	s_waitcnt vmcnt(0)
	v_add_co_ci_u32_e64 v1, null, s21, v1, vcc_lo
	v_add_co_u32 v105, vcc_lo, v105, s20
	v_add_co_ci_u32_e64 v106, null, s21, v106, vcc_lo
	v_add_co_u32 v107, vcc_lo, v107, s20
	;; [unrolled: 2-line block ×13, first 2 shown]
	v_add_co_ci_u32_e64 v0, null, s21, v0, vcc_lo
	s_and_b32 vcc_lo, exec_lo, s12
	buffer_store_dword v1, off, s[36:39], 0 offset:148 ; 4-byte Folded Spill
	s_cbranch_vccnz .LBB59_130
.LBB59_88:                              ; =>This Inner Loop Header: Depth=1
	buffer_load_dword v1, off, s[36:39], 0 offset:164 ; 4-byte Folded Reload
	v_cmp_ge_i64_e64 s13, s[22:23], s[8:9]
                                        ; implicit-def: $vgpr18
                                        ; implicit-def: $vgpr4
                                        ; implicit-def: $vgpr3
                                        ; implicit-def: $vgpr19
	s_and_b32 vcc_lo, exec_lo, s13
	s_waitcnt vmcnt(0)
	v_add_co_u32 v1, s12, v1, s22
	v_add_co_ci_u32_e64 v100, null, 0, s23, s12
	s_mov_b32 s12, -1
	s_cbranch_vccz .LBB59_126
; %bb.89:                               ;   in Loop: Header=BB59_88 Depth=1
	s_load_dword s12, s[0:1], 0xc
	s_clause 0x1
	buffer_load_dword v3, off, s[36:39], 0 offset:156
	buffer_load_dword v4, off, s[36:39], 0 offset:160
	v_mov_b32_e32 v102, 0
	v_mov_b32_e32 v101, 0
	s_waitcnt lgkmcnt(0)
	s_and_b32 s12, s12, 0xffff
	s_waitcnt vmcnt(0)
	v_mad_u32_u24 v3, v4, s12, v3
	s_mov_b32 s12, exec_lo
	v_and_b32_e32 v3, 31, v3
	v_cmpx_gt_u32_e32 16, v3
	s_cbranch_execz .LBB59_93
; %bb.90:                               ;   in Loop: Header=BB59_88 Depth=1
	v_add_co_u32 v3, vcc_lo, v1, v3
	v_add_co_ci_u32_e64 v4, null, 0, v100, vcc_lo
	v_mov_b32_e32 v101, 0
	v_add_co_u32 v3, vcc_lo, 0xffffff01, v3
	v_add_co_ci_u32_e64 v4, null, -1, v4, vcc_lo
	v_mov_b32_e32 v102, 0
	s_mov_b32 s13, exec_lo
	v_cmpx_gt_i64_e64 s[8:9], v[3:4]
	s_cbranch_execz .LBB59_92
; %bb.91:                               ;   in Loop: Header=BB59_88 Depth=1
	v_lshlrev_b64 v[3:4], 2, v[3:4]
	v_add_co_u32 v5, vcc_lo, s16, v3
	v_add_co_ci_u32_e64 v6, null, s17, v4, vcc_lo
	v_add_co_u32 v3, vcc_lo, s18, v3
	v_add_co_ci_u32_e64 v4, null, s19, v4, vcc_lo
	global_load_dword v101, v[5:6], off
	global_load_dword v102, v[3:4], off
.LBB59_92:                              ;   in Loop: Header=BB59_88 Depth=1
	s_or_b32 exec_lo, exec_lo, s13
.LBB59_93:                              ;   in Loop: Header=BB59_88 Depth=1
	s_or_b32 exec_lo, exec_lo, s12
	v_add_co_u32 v18, vcc_lo, 0xffffff01, v1
	v_add_co_ci_u32_e64 v19, null, -1, v100, vcc_lo
	v_mov_b32_e32 v17, v2
	v_mov_b32_e32 v3, v2
	;; [unrolled: 1-line block ×15, first 2 shown]
	v_cmp_gt_i64_e32 vcc_lo, s[8:9], v[18:19]
	v_mov_b32_e32 v34, v17
	v_mov_b32_e32 v31, v14
	;; [unrolled: 1-line block ×32, first 2 shown]
	s_and_saveexec_b32 s12, vcc_lo
	s_cbranch_execz .LBB59_95
; %bb.94:                               ;   in Loop: Header=BB59_88 Depth=1
	s_clause 0x2
	buffer_load_dword v3, off, s[36:39], 0
	buffer_load_dword v4, off, s[36:39], 0 offset:4
	buffer_load_dword v5, off, s[36:39], 0 offset:8
	v_mov_b32_e32 v6, v2
	v_mov_b32_e32 v7, v2
	v_mov_b32_e32 v8, v2
	v_mov_b32_e32 v9, v2
	v_mov_b32_e32 v10, v2
	v_mov_b32_e32 v11, v2
	v_mov_b32_e32 v12, v2
	v_mov_b32_e32 v13, v2
	v_mov_b32_e32 v14, v2
	v_mov_b32_e32 v15, v2
	v_mov_b32_e32 v16, v2
	v_mov_b32_e32 v17, v2
	v_mov_b32_e32 v18, v2
	v_mov_b32_e32 v21, v2
	v_mov_b32_e32 v22, v2
	v_mov_b32_e32 v23, v2
	v_mov_b32_e32 v24, v2
	v_mov_b32_e32 v25, v2
	v_mov_b32_e32 v26, v2
	v_mov_b32_e32 v27, v2
	v_mov_b32_e32 v28, v2
	v_mov_b32_e32 v29, v2
	v_mov_b32_e32 v30, v2
	v_mov_b32_e32 v31, v2
	v_mov_b32_e32 v32, v2
	v_mov_b32_e32 v33, v2
	v_mov_b32_e32 v34, v2
	s_waitcnt vmcnt(2)
	v_add_co_u32 v3, vcc_lo, v3, v35
	s_waitcnt vmcnt(1)
	v_add_co_ci_u32_e64 v4, null, v4, v36, vcc_lo
	s_waitcnt vmcnt(0)
	v_add_co_u32 v19, vcc_lo, v5, v35
	buffer_load_dword v5, off, s[36:39], 0 offset:12 ; 4-byte Folded Reload
	global_load_dword v3, v[3:4], off
	v_mov_b32_e32 v4, v2
	s_waitcnt vmcnt(1)
	v_add_co_ci_u32_e64 v20, null, v5, v36, vcc_lo
	v_mov_b32_e32 v5, v2
	global_load_dword v19, v[19:20], off
	v_mov_b32_e32 v20, v2
.LBB59_95:                              ;   in Loop: Header=BB59_88 Depth=1
	s_or_b32 exec_lo, exec_lo, s12
	v_add_co_u32 v103, vcc_lo, 0xffffff02, v1
	v_add_co_ci_u32_e64 v104, null, -1, v100, vcc_lo
	s_mov_b32 s12, exec_lo
	v_cmpx_gt_i64_e64 s[8:9], v[103:104]
	s_cbranch_execz .LBB59_97
; %bb.96:                               ;   in Loop: Header=BB59_88 Depth=1
	v_add_co_u32 v103, vcc_lo, v127, v35
	v_add_co_ci_u32_e64 v104, null, v98, v36, vcc_lo
	global_load_dword v4, v[103:104], off
	v_add_co_u32 v103, vcc_lo, v99, v35
	v_add_co_ci_u32_e64 v104, null, v0, v36, vcc_lo
	global_load_dword v20, v[103:104], off
.LBB59_97:                              ;   in Loop: Header=BB59_88 Depth=1
	s_or_b32 exec_lo, exec_lo, s12
	v_add_co_u32 v103, vcc_lo, 0xffffff03, v1
	v_add_co_ci_u32_e64 v104, null, -1, v100, vcc_lo
	s_mov_b32 s12, exec_lo
	v_cmpx_gt_i64_e64 s[8:9], v[103:104]
	s_cbranch_execz .LBB59_99
; %bb.98:                               ;   in Loop: Header=BB59_88 Depth=1
	v_add_co_u32 v103, vcc_lo, v123, v35
	v_add_co_ci_u32_e64 v104, null, v124, v36, vcc_lo
	global_load_dword v5, v[103:104], off
	v_add_co_u32 v103, vcc_lo, v125, v35
	v_add_co_ci_u32_e64 v104, null, v126, v36, vcc_lo
	global_load_dword v21, v[103:104], off
.LBB59_99:                              ;   in Loop: Header=BB59_88 Depth=1
	s_or_b32 exec_lo, exec_lo, s12
	v_add_co_u32 v103, vcc_lo, 0xffffff04, v1
	v_add_co_ci_u32_e64 v104, null, -1, v100, vcc_lo
	s_mov_b32 s12, exec_lo
	v_cmpx_gt_i64_e64 s[8:9], v[103:104]
	s_cbranch_execz .LBB59_101
; %bb.100:                              ;   in Loop: Header=BB59_88 Depth=1
	v_add_co_u32 v103, vcc_lo, v97, v35
	v_add_co_ci_u32_e64 v104, null, v119, v36, vcc_lo
	global_load_dword v6, v[103:104], off
	v_add_co_u32 v103, vcc_lo, v120, v35
	v_add_co_ci_u32_e64 v104, null, v121, v36, vcc_lo
	global_load_dword v22, v[103:104], off
.LBB59_101:                             ;   in Loop: Header=BB59_88 Depth=1
	s_or_b32 exec_lo, exec_lo, s12
	v_add_co_u32 v103, vcc_lo, 0xffffff05, v1
	v_add_co_ci_u32_e64 v104, null, -1, v100, vcc_lo
	s_mov_b32 s12, exec_lo
	v_cmpx_gt_i64_e64 s[8:9], v[103:104]
	s_cbranch_execz .LBB59_103
; %bb.102:                              ;   in Loop: Header=BB59_88 Depth=1
	v_add_co_u32 v103, vcc_lo, v115, v35
	v_add_co_ci_u32_e64 v104, null, v116, v36, vcc_lo
	global_load_dword v7, v[103:104], off
	v_add_co_u32 v103, vcc_lo, v117, v35
	v_add_co_ci_u32_e64 v104, null, v118, v36, vcc_lo
	global_load_dword v23, v[103:104], off
.LBB59_103:                             ;   in Loop: Header=BB59_88 Depth=1
	;; [unrolled: 14-line block ×4, first 2 shown]
	s_or_b32 exec_lo, exec_lo, s12
	v_add_co_u32 v103, vcc_lo, 0xffffff08, v1
	v_add_co_ci_u32_e64 v104, null, -1, v100, vcc_lo
	s_mov_b32 s12, exec_lo
	v_cmpx_gt_i64_e64 s[8:9], v[103:104]
	s_cbranch_execz .LBB59_109
; %bb.108:                              ;   in Loop: Header=BB59_88 Depth=1
	buffer_load_dword v10, off, s[36:39], 0 offset:144 ; 4-byte Folded Reload
	s_waitcnt vmcnt(0)
	v_add_co_u32 v103, vcc_lo, v10, v35
	buffer_load_dword v10, off, s[36:39], 0 offset:148 ; 4-byte Folded Reload
	s_waitcnt vmcnt(0)
	v_add_co_ci_u32_e64 v104, null, v10, v36, vcc_lo
	global_load_dword v10, v[103:104], off
	v_add_co_u32 v103, vcc_lo, v105, v35
	v_add_co_ci_u32_e64 v104, null, v106, v36, vcc_lo
	global_load_dword v26, v[103:104], off
.LBB59_109:                             ;   in Loop: Header=BB59_88 Depth=1
	s_or_b32 exec_lo, exec_lo, s12
	v_add_co_u32 v103, vcc_lo, 0xffffff09, v1
	v_add_co_ci_u32_e64 v104, null, -1, v100, vcc_lo
	s_mov_b32 s12, exec_lo
	v_cmpx_gt_i64_e64 s[8:9], v[103:104]
	s_cbranch_execz .LBB59_111
; %bb.110:                              ;   in Loop: Header=BB59_88 Depth=1
	s_clause 0x1
	buffer_load_dword v11, off, s[36:39], 0 offset:128
	buffer_load_dword v27, off, s[36:39], 0 offset:136
	s_waitcnt vmcnt(1)
	v_add_co_u32 v103, vcc_lo, v11, v35
	buffer_load_dword v11, off, s[36:39], 0 offset:132 ; 4-byte Folded Reload
	s_waitcnt vmcnt(0)
	v_add_co_ci_u32_e64 v104, null, v11, v36, vcc_lo
	global_load_dword v11, v[103:104], off
	v_add_co_u32 v103, vcc_lo, v27, v35
	buffer_load_dword v27, off, s[36:39], 0 offset:140 ; 4-byte Folded Reload
	s_waitcnt vmcnt(0)
	v_add_co_ci_u32_e64 v104, null, v27, v36, vcc_lo
	global_load_dword v27, v[103:104], off
.LBB59_111:                             ;   in Loop: Header=BB59_88 Depth=1
	s_or_b32 exec_lo, exec_lo, s12
	v_add_co_u32 v103, vcc_lo, 0xffffff0a, v1
	v_add_co_ci_u32_e64 v104, null, -1, v100, vcc_lo
	s_mov_b32 s12, exec_lo
	v_cmpx_gt_i64_e64 s[8:9], v[103:104]
	s_cbranch_execz .LBB59_113
; %bb.112:                              ;   in Loop: Header=BB59_88 Depth=1
	s_clause 0x1
	buffer_load_dword v12, off, s[36:39], 0 offset:112
	buffer_load_dword v28, off, s[36:39], 0 offset:120
	s_waitcnt vmcnt(1)
	v_add_co_u32 v103, vcc_lo, v12, v35
	buffer_load_dword v12, off, s[36:39], 0 offset:116 ; 4-byte Folded Reload
	s_waitcnt vmcnt(0)
	v_add_co_ci_u32_e64 v104, null, v12, v36, vcc_lo
	global_load_dword v12, v[103:104], off
	v_add_co_u32 v103, vcc_lo, v28, v35
	buffer_load_dword v28, off, s[36:39], 0 offset:124 ; 4-byte Folded Reload
	s_waitcnt vmcnt(0)
	v_add_co_ci_u32_e64 v104, null, v28, v36, vcc_lo
	global_load_dword v28, v[103:104], off
.LBB59_113:                             ;   in Loop: Header=BB59_88 Depth=1
	;; [unrolled: 22-line block ×8, first 2 shown]
	s_or_b32 exec_lo, exec_lo, s12
	s_waitcnt vmcnt(1)
	ds_bpermute_b32 v104, v2, v101
	s_waitcnt vmcnt(0)
	ds_bpermute_b32 v103, v2, v102
	s_mov_b32 s12, 0
	s_waitcnt lgkmcnt(1)
	v_sub_f32_e32 v19, v19, v104
	ds_bpermute_b32 v104, v2, v101 offset:4
	v_mul_f32_e32 v19, v3, v19
	s_waitcnt lgkmcnt(1)
	v_fma_f32 v19, v19, v103, v122
	buffer_load_dword v103, off, s[36:39], 0 offset:152 ; 4-byte Folded Reload
	s_waitcnt lgkmcnt(0)
	v_sub_f32_e32 v20, v20, v104
	v_mul_f32_e32 v20, v4, v20
	s_waitcnt vmcnt(0)
	v_add_f32_e32 v3, v103, v3
	ds_bpermute_b32 v103, v2, v102 offset:4
	v_add_f32_e32 v3, v4, v3
	ds_bpermute_b32 v4, v2, v102 offset:8
	v_add_f32_e32 v3, v5, v3
	v_add_f32_e32 v3, v6, v3
	;; [unrolled: 1-line block ×3, first 2 shown]
	s_waitcnt lgkmcnt(1)
	v_fmac_f32_e32 v19, v20, v103
	ds_bpermute_b32 v20, v2, v101 offset:8
	v_add_f32_e32 v3, v8, v3
	v_add_f32_e32 v3, v9, v3
	;; [unrolled: 1-line block ×4, first 2 shown]
	s_waitcnt lgkmcnt(0)
	v_sub_f32_e32 v20, v21, v20
	v_add_f32_e32 v3, v12, v3
	v_mul_f32_e32 v20, v5, v20
	ds_bpermute_b32 v5, v2, v101 offset:12
	v_add_f32_e32 v3, v13, v3
	v_fmac_f32_e32 v19, v20, v4
	ds_bpermute_b32 v4, v2, v102 offset:12
	v_add_f32_e32 v3, v14, v3
	v_add_f32_e32 v3, v15, v3
	v_add_f32_e32 v3, v16, v3
	s_waitcnt lgkmcnt(1)
	v_sub_f32_e32 v5, v22, v5
	v_add_f32_e32 v3, v17, v3
	v_mul_f32_e32 v5, v6, v5
	s_waitcnt lgkmcnt(0)
	v_fmac_f32_e32 v19, v5, v4
	ds_bpermute_b32 v5, v2, v101 offset:16
	ds_bpermute_b32 v4, v2, v102 offset:16
	s_waitcnt lgkmcnt(1)
	v_sub_f32_e32 v5, v23, v5
	v_mul_f32_e32 v5, v7, v5
	s_waitcnt lgkmcnt(0)
	v_fmac_f32_e32 v19, v5, v4
	ds_bpermute_b32 v5, v2, v101 offset:20
	ds_bpermute_b32 v4, v2, v102 offset:20
	s_waitcnt lgkmcnt(1)
	v_sub_f32_e32 v5, v24, v5
	;; [unrolled: 7-line block ×12, first 2 shown]
	v_mul_f32_e32 v5, v18, v5
	s_waitcnt lgkmcnt(0)
	v_mul_f32_e32 v4, v5, v4
.LBB59_126:                             ;   in Loop: Header=BB59_88 Depth=1
	s_and_b32 vcc_lo, exec_lo, s12
	s_cbranch_vccz .LBB59_87
; %bb.127:                              ;   in Loop: Header=BB59_88 Depth=1
	s_load_dword s12, s[0:1], 0x0
	v_mov_b32_e32 v6, 0
	s_waitcnt lgkmcnt(0)
	s_cmp_lt_u32 s6, s12
	s_cselect_b32 s12, 12, 18
	s_add_u32 s12, s0, s12
	s_addc_u32 s13, s1, 0
	global_load_ushort v3, v2, s[12:13]
	s_clause 0x1
	buffer_load_dword v4, off, s[36:39], 0 offset:156
	buffer_load_dword v5, off, s[36:39], 0 offset:160
	s_mov_b32 s12, exec_lo
	s_waitcnt vmcnt(0)
	v_mad_u32_u24 v3, v5, v3, v4
	v_mov_b32_e32 v5, 0
	v_and_b32_e32 v3, 31, v3
	v_cmpx_gt_u32_e32 16, v3
	s_cbranch_execz .LBB59_86
; %bb.128:                              ;   in Loop: Header=BB59_88 Depth=1
	v_add_co_u32 v1, vcc_lo, v1, v3
	v_add_co_ci_u32_e64 v4, null, 0, v100, vcc_lo
	v_mov_b32_e32 v6, 0
	v_add_co_u32 v3, vcc_lo, 0xffffff01, v1
	v_add_co_ci_u32_e64 v4, null, -1, v4, vcc_lo
	v_mov_b32_e32 v5, 0
	s_mov_b32 s13, exec_lo
	v_cmpx_gt_i64_e64 s[8:9], v[3:4]
	s_cbranch_execz .LBB59_85
; %bb.129:                              ;   in Loop: Header=BB59_88 Depth=1
	v_lshlrev_b64 v[3:4], 2, v[3:4]
	v_add_co_u32 v5, vcc_lo, s16, v3
	v_add_co_ci_u32_e64 v6, null, s17, v4, vcc_lo
	v_add_co_u32 v3, vcc_lo, s18, v3
	v_add_co_ci_u32_e64 v4, null, s19, v4, vcc_lo
	global_load_dword v6, v[5:6], off
	global_load_dword v5, v[3:4], off
	s_branch .LBB59_85
.LBB59_130:
	s_clause 0x2
	buffer_load_dword v124, off, s[36:39], 0 offset:156
	buffer_load_dword v1, off, s[36:39], 0 offset:160
	buffer_load_dword v126, off, s[36:39], 0 offset:152
.LBB59_131:
	s_waitcnt vmcnt(1)
	v_mad_u32_u24 v0, 0x41, v1, v124
	s_mov_b32 s0, exec_lo
	v_lshl_add_u32 v2, v0, 2, 0
	v_sub_nc_u32_e32 v4, v0, v1
	ds_write_b32 v2, v122
	s_waitcnt vmcnt(0)
	ds_write_b32 v2, v126 offset:4160
	s_waitcnt lgkmcnt(0)
	s_waitcnt_vscnt null, 0x0
	s_barrier
	buffer_gl0_inv
	v_cmpx_gt_u32_e32 0x800, v4
	s_cbranch_execz .LBB59_147
; %bb.132:
	s_load_dwordx4 s[12:15], s[4:5], 0x30
	v_and_b32_e32 v0, 31, v124
	v_lshrrev_b32_e32 v3, 5, v4
                                        ; implicit-def: $vgpr1
	v_cmp_gt_u32_e64 s0, 16, v0
	v_mul_u32_u24_e32 v5, 0x41, v0
                                        ; implicit-def: $vgpr0
	s_and_saveexec_b32 s1, s0
	s_cbranch_execz .LBB59_134
; %bb.133:
	v_add_nc_u32_e32 v0, v3, v5
	v_lshl_add_u32 v0, v0, 2, 0
	ds_read_b32 v1, v0
	ds_read_b32 v0, v0 offset:4160
.LBB59_134:
	s_or_b32 exec_lo, exec_lo, s1
	v_mbcnt_lo_u32_b32 v2, -1, 0
	s_mov_b32 s7, 0
	v_cmp_eq_u32_e64 s1, 0, v124
	s_lshl_b64 s[2:3], s[6:7], 6
	s_waitcnt lgkmcnt(0)
	s_cmp_lg_u64 s[12:13], 0
	v_xor_b32_e32 v6, 8, v2
	v_xor_b32_e32 v7, 4, v2
	s_cselect_b32 s5, -1, 0
	s_cmp_lg_u64 s[14:15], 0
	s_cselect_b32 s4, -1, 0
	v_cmp_gt_i32_e32 vcc_lo, 32, v6
	v_cndmask_b32_e32 v6, v2, v6, vcc_lo
	v_cmp_gt_i32_e32 vcc_lo, 32, v7
	v_lshlrev_b32_e32 v6, 2, v6
	v_cndmask_b32_e32 v7, v2, v7, vcc_lo
	ds_bpermute_b32 v8, v6, v1
	ds_bpermute_b32 v9, v6, v0
	v_lshlrev_b32_e32 v7, 2, v7
	s_waitcnt lgkmcnt(1)
	v_add_f32_e32 v1, v1, v8
	s_waitcnt lgkmcnt(0)
	v_add_f32_e32 v0, v0, v9
	v_xor_b32_e32 v8, 2, v2
	ds_bpermute_b32 v9, v7, v1
	ds_bpermute_b32 v10, v7, v0
	v_cmp_gt_i32_e32 vcc_lo, 32, v8
	v_cndmask_b32_e32 v8, v2, v8, vcc_lo
	v_lshlrev_b32_e32 v8, 2, v8
	s_waitcnt lgkmcnt(1)
	v_add_f32_e32 v1, v1, v9
	s_waitcnt lgkmcnt(0)
	v_add_f32_e32 v0, v0, v10
	v_xor_b32_e32 v9, 1, v2
	ds_bpermute_b32 v10, v8, v1
	ds_bpermute_b32 v11, v8, v0
	v_cmp_gt_i32_e32 vcc_lo, 32, v9
	v_cndmask_b32_e32 v2, v2, v9, vcc_lo
	v_lshlrev_b32_e32 v9, 2, v2
	v_mov_b32_e32 v2, s3
	s_waitcnt lgkmcnt(1)
	v_add_f32_e32 v10, v1, v10
	s_waitcnt lgkmcnt(0)
	v_add_f32_e32 v0, v0, v11
	v_or_b32_e32 v1, s2, v3
	ds_bpermute_b32 v11, v9, v10
	ds_bpermute_b32 v12, v9, v0
	v_cmp_gt_i64_e32 vcc_lo, s[10:11], v[1:2]
	s_and_b32 s7, s1, vcc_lo
	s_waitcnt lgkmcnt(1)
	v_add_f32_e32 v10, v10, v11
	s_waitcnt lgkmcnt(0)
	v_add_f32_e32 v11, v0, v12
	s_and_saveexec_b32 s6, s7
	s_cbranch_execz .LBB59_139
; %bb.135:
	v_lshlrev_b64 v[0:1], 2, v[1:2]
	s_andn2_b32 vcc_lo, exec_lo, s5
	s_cbranch_vccnz .LBB59_137
; %bb.136:
	v_add_co_u32 v12, vcc_lo, s12, v0
	v_add_co_ci_u32_e64 v13, null, s13, v1, vcc_lo
	global_store_dword v[12:13], v10, off
.LBB59_137:
	s_andn2_b32 vcc_lo, exec_lo, s4
	s_cbranch_vccnz .LBB59_139
; %bb.138:
	v_add_co_u32 v0, vcc_lo, s14, v0
	v_add_co_ci_u32_e64 v1, null, s15, v1, vcc_lo
	global_store_dword v[0:1], v11, off
.LBB59_139:
	s_or_b32 exec_lo, exec_lo, s6
	v_cmp_gt_u32_e32 vcc_lo, 0x400, v4
	s_and_b32 exec_lo, exec_lo, vcc_lo
	s_cbranch_execz .LBB59_147
; %bb.140:
	s_and_saveexec_b32 s6, s0
	s_cbranch_execz .LBB59_142
; %bb.141:
	v_add_nc_u32_e32 v0, v3, v5
	v_lshl_add_u32 v0, v0, 2, 0
	ds_read_b32 v10, v0 offset:128
	ds_read_b32 v11, v0 offset:4288
.LBB59_142:
	s_or_b32 exec_lo, exec_lo, s6
	s_waitcnt lgkmcnt(1)
	ds_bpermute_b32 v0, v6, v10
	s_waitcnt lgkmcnt(1)
	ds_bpermute_b32 v1, v6, v11
	v_add_nc_u32_e32 v5, 32, v3
	v_mov_b32_e32 v6, s3
	v_or_b32_e32 v5, s2, v5
	v_cmp_gt_i64_e32 vcc_lo, s[10:11], v[5:6]
	s_and_b32 s0, s1, vcc_lo
	s_waitcnt lgkmcnt(1)
	v_add_f32_e32 v0, v10, v0
	s_waitcnt lgkmcnt(0)
	v_add_f32_e32 v1, v11, v1
	ds_bpermute_b32 v2, v7, v0
	ds_bpermute_b32 v4, v7, v1
	s_waitcnt lgkmcnt(1)
	v_add_f32_e32 v0, v0, v2
	s_waitcnt lgkmcnt(0)
	v_add_f32_e32 v1, v1, v4
	ds_bpermute_b32 v2, v8, v0
	ds_bpermute_b32 v4, v8, v1
	s_waitcnt lgkmcnt(1)
	v_add_f32_e32 v2, v0, v2
	s_waitcnt lgkmcnt(0)
	v_add_f32_e32 v0, v1, v4
	ds_bpermute_b32 v4, v9, v2
	ds_bpermute_b32 v1, v9, v0
	s_and_b32 exec_lo, exec_lo, s0
	s_cbranch_execz .LBB59_147
; %bb.143:
	s_andn2_b32 vcc_lo, exec_lo, s5
	s_cbranch_vccnz .LBB59_145
; %bb.144:
	v_add_co_u32 v5, s0, s2, v3
	v_add_co_ci_u32_e64 v6, null, s3, 0, s0
	s_waitcnt lgkmcnt(1)
	v_add_f32_e32 v2, v2, v4
	v_lshlrev_b64 v[5:6], 2, v[5:6]
	v_add_co_u32 v4, vcc_lo, s12, v5
	v_add_co_ci_u32_e64 v5, null, s13, v6, vcc_lo
	global_store_dword v[4:5], v2, off offset:128
.LBB59_145:
	s_andn2_b32 vcc_lo, exec_lo, s4
	s_cbranch_vccnz .LBB59_147
; %bb.146:
	v_add_co_u32 v2, s0, s2, v3
	v_add_co_ci_u32_e64 v3, null, s3, 0, s0
	s_waitcnt lgkmcnt(0)
	v_add_f32_e32 v4, v0, v1
	v_lshlrev_b64 v[2:3], 2, v[2:3]
	v_add_co_u32 v0, vcc_lo, s14, v2
	v_add_co_ci_u32_e64 v1, null, s15, v3, vcc_lo
	global_store_dword v[0:1], v4, off offset:128
.LBB59_147:
	s_endpgm
	.section	.rodata,"a",@progbits
	.p2align	6, 0x0
	.amdhsa_kernel _ZN2at6native12_GLOBAL__N_135GammaBetaBackwardCUDAKernelTemplateIffLj64ELj16ELj256ELb0ELb0ELb0EEEvllPKT_S5_PKT0_S8_PS3_S9_
		.amdhsa_group_segment_fixed_size 0
		.amdhsa_private_segment_fixed_size 172
		.amdhsa_kernarg_size 320
		.amdhsa_user_sgpr_count 6
		.amdhsa_user_sgpr_private_segment_buffer 1
		.amdhsa_user_sgpr_dispatch_ptr 0
		.amdhsa_user_sgpr_queue_ptr 0
		.amdhsa_user_sgpr_kernarg_segment_ptr 1
		.amdhsa_user_sgpr_dispatch_id 0
		.amdhsa_user_sgpr_flat_scratch_init 0
		.amdhsa_user_sgpr_private_segment_size 0
		.amdhsa_wavefront_size32 1
		.amdhsa_uses_dynamic_stack 0
		.amdhsa_system_sgpr_private_segment_wavefront_offset 1
		.amdhsa_system_sgpr_workgroup_id_x 1
		.amdhsa_system_sgpr_workgroup_id_y 1
		.amdhsa_system_sgpr_workgroup_id_z 0
		.amdhsa_system_sgpr_workgroup_info 0
		.amdhsa_system_vgpr_workitem_id 1
		.amdhsa_next_free_vgpr 128
		.amdhsa_next_free_sgpr 40
		.amdhsa_reserve_vcc 1
		.amdhsa_reserve_flat_scratch 0
		.amdhsa_float_round_mode_32 0
		.amdhsa_float_round_mode_16_64 0
		.amdhsa_float_denorm_mode_32 3
		.amdhsa_float_denorm_mode_16_64 3
		.amdhsa_dx10_clamp 1
		.amdhsa_ieee_mode 1
		.amdhsa_fp16_overflow 0
		.amdhsa_workgroup_processor_mode 1
		.amdhsa_memory_ordered 1
		.amdhsa_forward_progress 1
		.amdhsa_shared_vgpr_count 0
		.amdhsa_exception_fp_ieee_invalid_op 0
		.amdhsa_exception_fp_denorm_src 0
		.amdhsa_exception_fp_ieee_div_zero 0
		.amdhsa_exception_fp_ieee_overflow 0
		.amdhsa_exception_fp_ieee_underflow 0
		.amdhsa_exception_fp_ieee_inexact 0
		.amdhsa_exception_int_div_zero 0
	.end_amdhsa_kernel
	.section	.text._ZN2at6native12_GLOBAL__N_135GammaBetaBackwardCUDAKernelTemplateIffLj64ELj16ELj256ELb0ELb0ELb0EEEvllPKT_S5_PKT0_S8_PS3_S9_,"axG",@progbits,_ZN2at6native12_GLOBAL__N_135GammaBetaBackwardCUDAKernelTemplateIffLj64ELj16ELj256ELb0ELb0ELb0EEEvllPKT_S5_PKT0_S8_PS3_S9_,comdat
.Lfunc_end59:
	.size	_ZN2at6native12_GLOBAL__N_135GammaBetaBackwardCUDAKernelTemplateIffLj64ELj16ELj256ELb0ELb0ELb0EEEvllPKT_S5_PKT0_S8_PS3_S9_, .Lfunc_end59-_ZN2at6native12_GLOBAL__N_135GammaBetaBackwardCUDAKernelTemplateIffLj64ELj16ELj256ELb0ELb0ELb0EEEvllPKT_S5_PKT0_S8_PS3_S9_
                                        ; -- End function
	.set _ZN2at6native12_GLOBAL__N_135GammaBetaBackwardCUDAKernelTemplateIffLj64ELj16ELj256ELb0ELb0ELb0EEEvllPKT_S5_PKT0_S8_PS3_S9_.num_vgpr, 128
	.set _ZN2at6native12_GLOBAL__N_135GammaBetaBackwardCUDAKernelTemplateIffLj64ELj16ELj256ELb0ELb0ELb0EEEvllPKT_S5_PKT0_S8_PS3_S9_.num_agpr, 0
	.set _ZN2at6native12_GLOBAL__N_135GammaBetaBackwardCUDAKernelTemplateIffLj64ELj16ELj256ELb0ELb0ELb0EEEvllPKT_S5_PKT0_S8_PS3_S9_.numbered_sgpr, 40
	.set _ZN2at6native12_GLOBAL__N_135GammaBetaBackwardCUDAKernelTemplateIffLj64ELj16ELj256ELb0ELb0ELb0EEEvllPKT_S5_PKT0_S8_PS3_S9_.num_named_barrier, 0
	.set _ZN2at6native12_GLOBAL__N_135GammaBetaBackwardCUDAKernelTemplateIffLj64ELj16ELj256ELb0ELb0ELb0EEEvllPKT_S5_PKT0_S8_PS3_S9_.private_seg_size, 172
	.set _ZN2at6native12_GLOBAL__N_135GammaBetaBackwardCUDAKernelTemplateIffLj64ELj16ELj256ELb0ELb0ELb0EEEvllPKT_S5_PKT0_S8_PS3_S9_.uses_vcc, 1
	.set _ZN2at6native12_GLOBAL__N_135GammaBetaBackwardCUDAKernelTemplateIffLj64ELj16ELj256ELb0ELb0ELb0EEEvllPKT_S5_PKT0_S8_PS3_S9_.uses_flat_scratch, 0
	.set _ZN2at6native12_GLOBAL__N_135GammaBetaBackwardCUDAKernelTemplateIffLj64ELj16ELj256ELb0ELb0ELb0EEEvllPKT_S5_PKT0_S8_PS3_S9_.has_dyn_sized_stack, 0
	.set _ZN2at6native12_GLOBAL__N_135GammaBetaBackwardCUDAKernelTemplateIffLj64ELj16ELj256ELb0ELb0ELb0EEEvllPKT_S5_PKT0_S8_PS3_S9_.has_recursion, 0
	.set _ZN2at6native12_GLOBAL__N_135GammaBetaBackwardCUDAKernelTemplateIffLj64ELj16ELj256ELb0ELb0ELb0EEEvllPKT_S5_PKT0_S8_PS3_S9_.has_indirect_call, 0
	.section	.AMDGPU.csdata,"",@progbits
; Kernel info:
; codeLenInByte = 17208
; TotalNumSgprs: 42
; NumVgprs: 128
; ScratchSize: 172
; MemoryBound: 0
; FloatMode: 240
; IeeeMode: 1
; LDSByteSize: 0 bytes/workgroup (compile time only)
; SGPRBlocks: 0
; VGPRBlocks: 15
; NumSGPRsForWavesPerEU: 42
; NumVGPRsForWavesPerEU: 128
; Occupancy: 8
; WaveLimiterHint : 0
; COMPUTE_PGM_RSRC2:SCRATCH_EN: 1
; COMPUTE_PGM_RSRC2:USER_SGPR: 6
; COMPUTE_PGM_RSRC2:TRAP_HANDLER: 0
; COMPUTE_PGM_RSRC2:TGID_X_EN: 1
; COMPUTE_PGM_RSRC2:TGID_Y_EN: 1
; COMPUTE_PGM_RSRC2:TGID_Z_EN: 0
; COMPUTE_PGM_RSRC2:TIDIG_COMP_CNT: 1
	.section	.text._ZN2at6native12_GLOBAL__N_135GammaBetaBackwardCUDAKernelTemplateIffLj32ELj1ELj32ELb1ELb1ELb0EEEvllPKT_S5_PKT0_S8_PS3_S9_,"axG",@progbits,_ZN2at6native12_GLOBAL__N_135GammaBetaBackwardCUDAKernelTemplateIffLj32ELj1ELj32ELb1ELb1ELb0EEEvllPKT_S5_PKT0_S8_PS3_S9_,comdat
	.globl	_ZN2at6native12_GLOBAL__N_135GammaBetaBackwardCUDAKernelTemplateIffLj32ELj1ELj32ELb1ELb1ELb0EEEvllPKT_S5_PKT0_S8_PS3_S9_ ; -- Begin function _ZN2at6native12_GLOBAL__N_135GammaBetaBackwardCUDAKernelTemplateIffLj32ELj1ELj32ELb1ELb1ELb0EEEvllPKT_S5_PKT0_S8_PS3_S9_
	.p2align	8
	.type	_ZN2at6native12_GLOBAL__N_135GammaBetaBackwardCUDAKernelTemplateIffLj32ELj1ELj32ELb1ELb1ELb0EEEvllPKT_S5_PKT0_S8_PS3_S9_,@function
_ZN2at6native12_GLOBAL__N_135GammaBetaBackwardCUDAKernelTemplateIffLj32ELj1ELj32ELb1ELb1ELb0EEEvllPKT_S5_PKT0_S8_PS3_S9_: ; @_ZN2at6native12_GLOBAL__N_135GammaBetaBackwardCUDAKernelTemplateIffLj32ELj1ELj32ELb1ELb1ELb0EEEvllPKT_S5_PKT0_S8_PS3_S9_
; %bb.0:
	s_load_dwordx4 s[16:19], s[4:5], 0x0
	s_lshl_b32 s2, s7, 5
	s_mov_b32 s3, 0
	s_waitcnt lgkmcnt(0)
	v_cmp_gt_i64_e64 s0, s[16:17], s[2:3]
	s_and_b32 vcc_lo, exec_lo, s0
	s_cbranch_vccnz .LBB60_2
; %bb.1:
	s_add_u32 s24, s4, 64
	s_addc_u32 s25, s5, 0
	s_mov_b32 s0, s3
	s_branch .LBB60_3
.LBB60_2:
	s_mov_b32 s0, -1
                                        ; implicit-def: $sgpr24_sgpr25
.LBB60_3:
	s_load_dwordx4 s[20:23], s[4:5], 0x30
	v_mov_b32_e32 v43, 0
	v_mov_b32_e32 v26, 0
	s_andn2_b32 vcc_lo, exec_lo, s0
	s_cbranch_vccnz .LBB60_8
; %bb.4:
	s_clause 0x2
	s_load_dword s0, s[4:5], 0x4c
	s_load_dword s1, s[4:5], 0x44
	s_load_dwordx8 s[8:15], s[4:5], 0x10
	v_lshlrev_b32_e32 v4, 5, v1
	s_add_u32 s24, s4, 64
	s_addc_u32 s25, s5, 0
	v_mov_b32_e32 v3, 0
	v_lshl_or_b32 v2, s6, 5, v0
	v_mov_b32_e32 v8, 4
	v_mov_b32_e32 v9, 8
	;; [unrolled: 1-line block ×4, first 2 shown]
	v_lshlrev_b64 v[40:41], 2, v[2:3]
	v_mov_b32_e32 v12, 20
	v_mov_b32_e32 v13, 24
	;; [unrolled: 1-line block ×7, first 2 shown]
	s_waitcnt lgkmcnt(0)
	s_and_b32 s0, s0, 0xffff
	s_lshl_b32 s26, s1, 5
	v_mad_u32_u24 v5, v1, s0, v0
	v_add_co_u32 v42, s0, v4, s2
	v_add_co_ci_u32_e64 v43, null, 0, 0, s0
	v_and_b32_e32 v26, 31, v5
	v_mul_lo_u32 v6, s19, v42
	v_mad_u64_u32 v[4:5], null, s18, v42, 0
	v_mul_lo_u32 v7, s18, v43
	s_mul_i32 s0, s19, s26
	s_mul_hi_u32 s1, s18, s26
	v_mov_b32_e32 v19, 48
	v_mov_b32_e32 v20, 52
	;; [unrolled: 1-line block ×5, first 2 shown]
	v_add3_u32 v5, v5, v7, v6
	v_mov_b32_e32 v24, 0x44
	v_mov_b32_e32 v25, 0x48
	;; [unrolled: 1-line block ×4, first 2 shown]
	v_lshlrev_b64 v[6:7], 2, v[4:5]
	v_add_co_u32 v4, vcc_lo, v42, v26
	v_add_co_ci_u32_e64 v5, null, 0, v43, vcc_lo
	v_mov_b32_e32 v29, 0x54
	v_add_co_u32 v2, vcc_lo, v6, v40
	v_add_co_ci_u32_e64 v40, null, v7, v41, vcc_lo
	v_lshlrev_b64 v[6:7], 2, v[4:5]
	v_mov_b32_e32 v30, 0x58
	v_mov_b32_e32 v31, 0x5c
	;; [unrolled: 1-line block ×12, first 2 shown]
	s_mov_b32 s27, 0
	s_add_i32 s1, s1, s0
	s_mul_i32 s0, s18, s26
	s_lshl_b64 s[28:29], s[26:27], 2
	s_lshl_b64 s[4:5], s[0:1], 2
	;; [unrolled: 1-line block ×3, first 2 shown]
	s_branch .LBB60_6
.LBB60_5:                               ;   in Loop: Header=BB60_6 Depth=1
	s_or_b32 exec_lo, exec_lo, s0
	v_add_co_u32 v45, vcc_lo, s10, v2
	v_add_co_ci_u32_e64 v46, null, s11, v40, vcc_lo
	v_add_co_u32 v47, vcc_lo, s8, v2
	v_add_co_ci_u32_e64 v48, null, s9, v40, vcc_lo
	v_add_co_u32 v49, vcc_lo, v45, s30
	global_load_dword v63, v[45:46], off
	v_add_co_ci_u32_e64 v50, null, s31, v46, vcc_lo
	v_add_co_u32 v46, vcc_lo, v47, s30
	global_load_dword v44, v[47:48], off
	global_load_dword v64, v[49:50], off
	v_add_co_ci_u32_e64 v47, null, s31, v48, vcc_lo
	v_add_co_u32 v48, vcc_lo, v49, s30
	v_add_co_ci_u32_e64 v49, null, s31, v50, vcc_lo
	global_load_dword v45, v[46:47], off
	v_add_co_u32 v50, vcc_lo, v46, s30
	global_load_dword v65, v[48:49], off
	v_add_co_ci_u32_e64 v51, null, s31, v47, vcc_lo
	v_add_co_u32 v48, vcc_lo, v48, s30
	v_add_co_ci_u32_e64 v49, null, s31, v49, vcc_lo
	global_load_dword v46, v[50:51], off
	v_add_co_u32 v50, vcc_lo, v50, s30
	;; [unrolled: 6-line block ×4, first 2 shown]
	global_load_dword v68, v[51:52], off
	v_add_co_ci_u32_e64 v50, null, s31, v50, vcc_lo
	v_add_co_u32 v53, vcc_lo, v49, s30
	v_add_co_u32 v51, s0, v51, s30
	global_load_dword v49, v[49:50], off
	v_add_co_ci_u32_e64 v52, null, s31, v52, s0
	v_add_co_ci_u32_e64 v54, null, s31, v50, vcc_lo
	v_add_co_u32 v57, s0, v51, s30
	global_load_dword v69, v[51:52], off
	global_load_dword v50, v[53:54], off
	v_add_co_ci_u32_e64 v58, null, s31, v52, s0
	v_add_co_u32 v55, vcc_lo, v53, s30
	v_add_co_ci_u32_e64 v56, null, s31, v54, vcc_lo
	global_load_dword v70, v[57:58], off
	v_add_co_u32 v59, s0, v55, s30
	global_load_dword v51, v[55:56], off
	v_add_co_ci_u32_e64 v60, null, s31, v56, s0
	s_add_u32 s2, s2, s26
	s_addc_u32 s3, s3, 0
	global_load_dword v52, v[59:60], off
	v_add_co_u32 v53, vcc_lo, v57, s30
	v_add_co_ci_u32_e64 v54, null, s31, v58, vcc_lo
	v_add_co_u32 v55, vcc_lo, v59, s30
	v_add_co_ci_u32_e64 v56, null, s31, v60, vcc_lo
	global_load_dword v71, v[53:54], off
	v_add_co_u32 v57, s0, v53, s30
	v_add_co_ci_u32_e64 v58, null, s31, v54, s0
	s_waitcnt vmcnt(19)
	ds_bpermute_b32 v54, v3, v42
	v_add_co_u32 v59, vcc_lo, v57, s30
	v_add_co_ci_u32_e64 v60, null, s31, v58, vcc_lo
	v_add_co_u32 v61, s0, v55, s30
	global_load_dword v53, v[55:56], off
	v_add_co_u32 v55, vcc_lo, v59, s30
	global_load_dword v73, v[59:60], off
	ds_bpermute_b32 v59, v8, v42
	global_load_dword v72, v[57:58], off
	s_waitcnt vmcnt(21)
	ds_bpermute_b32 v57, v3, v41
	v_add_co_ci_u32_e64 v62, null, s31, v56, s0
	v_add_co_ci_u32_e64 v56, null, s31, v60, vcc_lo
	ds_bpermute_b32 v60, v8, v41
	v_cmp_lt_i64_e64 s0, s[2:3], s[16:17]
	s_waitcnt vmcnt(20) lgkmcnt(3)
	v_sub_f32_e32 v54, v63, v54
	global_load_dword v63, v[55:56], off
	s_waitcnt vmcnt(20)
	v_mul_f32_e32 v54, v44, v54
	s_waitcnt vmcnt(19) lgkmcnt(2)
	v_sub_f32_e32 v59, v64, v59
	v_add_f32_e32 v43, v43, v44
	ds_bpermute_b32 v44, v31, v42
	s_waitcnt lgkmcnt(2)
	v_fmac_f32_e32 v26, v54, v57
	v_add_co_u32 v57, vcc_lo, v61, s30
	s_waitcnt vmcnt(18)
	v_mul_f32_e32 v59, v45, v59
	v_add_co_ci_u32_e64 v58, null, s31, v62, vcc_lo
	global_load_dword v54, v[61:62], off
	v_add_f32_e32 v43, v43, v45
	s_waitcnt lgkmcnt(1)
	v_fmac_f32_e32 v26, v59, v60
	v_add_co_u32 v59, vcc_lo, v55, s30
	ds_bpermute_b32 v55, v9, v42
	v_add_co_ci_u32_e64 v60, null, s31, v56, vcc_lo
	ds_bpermute_b32 v56, v9, v41
	v_add_co_u32 v61, vcc_lo, v57, s30
	v_add_co_ci_u32_e64 v62, null, s31, v58, vcc_lo
	global_load_dword v64, v[59:60], off
	s_waitcnt vmcnt(18)
	v_add_f32_e32 v43, v43, v46
	ds_bpermute_b32 v45, v32, v42
	s_waitcnt vmcnt(16)
	v_add_f32_e32 v43, v43, v47
	s_waitcnt lgkmcnt(2)
	v_sub_f32_e32 v55, v65, v55
	s_waitcnt vmcnt(14)
	v_add_f32_e32 v43, v43, v48
	v_mul_f32_e32 v55, v46, v55
	ds_bpermute_b32 v46, v31, v41
	s_waitcnt lgkmcnt(2)
	v_fmac_f32_e32 v26, v55, v56
	ds_bpermute_b32 v56, v10, v42
	global_load_dword v55, v[57:58], off
	ds_bpermute_b32 v57, v10, v41
	ds_bpermute_b32 v58, v11, v42
	s_waitcnt vmcnt(13)
	v_add_f32_e32 v43, v43, v49
	s_waitcnt vmcnt(11)
	v_add_f32_e32 v43, v43, v50
	;; [unrolled: 2-line block ×3, first 2 shown]
	s_waitcnt lgkmcnt(2)
	v_sub_f32_e32 v56, v66, v56
	s_waitcnt lgkmcnt(0)
	v_sub_f32_e32 v58, v67, v58
	v_mul_f32_e32 v56, v47, v56
	s_waitcnt vmcnt(8)
	v_add_f32_e32 v43, v43, v52
	ds_bpermute_b32 v47, v33, v42
	v_mul_f32_e32 v58, v48, v58
	ds_bpermute_b32 v48, v32, v41
	v_fmac_f32_e32 v26, v56, v57
	v_add_co_u32 v56, vcc_lo, v59, s30
	ds_bpermute_b32 v59, v11, v41
	v_add_co_ci_u32_e64 v57, null, s31, v60, vcc_lo
	ds_bpermute_b32 v60, v12, v42
	global_load_dword v65, v[56:57], off
	s_waitcnt vmcnt(7)
	v_add_f32_e32 v43, v43, v53
	s_waitcnt lgkmcnt(1)
	v_fmac_f32_e32 v26, v58, v59
	v_add_co_u32 v58, vcc_lo, v61, s30
	v_add_co_ci_u32_e64 v59, null, s31, v62, vcc_lo
	global_load_dword v62, v[61:62], off
	ds_bpermute_b32 v61, v12, v41
	s_waitcnt lgkmcnt(1)
	v_sub_f32_e32 v60, v68, v60
	global_load_dword v66, v[58:59], off
	v_mul_f32_e32 v60, v49, v60
	ds_bpermute_b32 v49, v34, v42
	s_waitcnt lgkmcnt(1)
	v_fmac_f32_e32 v26, v60, v61
	v_add_co_u32 v60, vcc_lo, v56, s30
	ds_bpermute_b32 v56, v13, v42
	v_add_co_ci_u32_e64 v61, null, s31, v57, vcc_lo
	ds_bpermute_b32 v57, v13, v41
	global_load_dword v67, v[60:61], off
	s_waitcnt lgkmcnt(1)
	v_sub_f32_e32 v56, v69, v56
	v_mul_f32_e32 v56, v50, v56
	ds_bpermute_b32 v50, v33, v41
	s_waitcnt lgkmcnt(1)
	v_fmac_f32_e32 v26, v56, v57
	v_add_co_u32 v56, vcc_lo, v58, s30
	ds_bpermute_b32 v58, v14, v42
	v_add_co_ci_u32_e64 v57, null, s31, v59, vcc_lo
	ds_bpermute_b32 v59, v14, v41
	global_load_dword v68, v[56:57], off
	s_waitcnt lgkmcnt(1)
	v_sub_f32_e32 v58, v70, v58
	;; [unrolled: 11-line block ×3, first 2 shown]
	v_mul_f32_e32 v60, v52, v60
	s_waitcnt lgkmcnt(0)
	v_fmac_f32_e32 v26, v60, v61
	v_add_co_u32 v60, vcc_lo, v56, s30
	ds_bpermute_b32 v56, v16, v42
	v_add_co_ci_u32_e64 v61, null, s31, v57, vcc_lo
	ds_bpermute_b32 v57, v16, v41
	global_load_dword v70, v[60:61], off
	s_waitcnt vmcnt(11) lgkmcnt(1)
	v_sub_f32_e32 v56, v72, v56
	v_mul_f32_e32 v56, v53, v56
	s_waitcnt lgkmcnt(0)
	v_fmac_f32_e32 v26, v56, v57
	v_add_co_u32 v56, vcc_lo, v58, s30
	ds_bpermute_b32 v58, v17, v42
	v_add_co_ci_u32_e64 v57, null, s31, v59, vcc_lo
	ds_bpermute_b32 v59, v17, v41
	s_waitcnt lgkmcnt(1)
	v_sub_f32_e32 v58, v73, v58
	s_waitcnt vmcnt(9)
	v_mul_f32_e32 v58, v54, v58
	v_add_f32_e32 v43, v43, v54
	s_waitcnt lgkmcnt(0)
	v_fmac_f32_e32 v26, v58, v59
	v_add_co_u32 v58, vcc_lo, v60, s30
	ds_bpermute_b32 v60, v18, v42
	v_add_co_ci_u32_e64 v59, null, s31, v61, vcc_lo
	ds_bpermute_b32 v61, v18, v41
	s_waitcnt lgkmcnt(1)
	v_sub_f32_e32 v60, v63, v60
	global_load_dword v63, v[56:57], off
	s_waitcnt vmcnt(8)
	v_mul_f32_e32 v60, v55, v60
	v_add_f32_e32 v43, v43, v55
	s_waitcnt lgkmcnt(0)
	v_fmac_f32_e32 v26, v60, v61
	v_add_co_u32 v60, vcc_lo, v56, s30
	ds_bpermute_b32 v56, v19, v42
	v_add_co_ci_u32_e64 v61, null, s31, v57, vcc_lo
	ds_bpermute_b32 v57, v19, v41
	s_waitcnt lgkmcnt(1)
	v_sub_f32_e32 v56, v64, v56
	global_load_dword v64, v[58:59], off
	s_waitcnt vmcnt(7)
	v_mul_f32_e32 v56, v62, v56
	v_add_f32_e32 v43, v43, v62
	s_waitcnt lgkmcnt(0)
	v_fmac_f32_e32 v26, v56, v57
	v_add_co_u32 v56, vcc_lo, v58, s30
	ds_bpermute_b32 v58, v20, v42
	v_add_co_ci_u32_e64 v57, null, s31, v59, vcc_lo
	ds_bpermute_b32 v59, v20, v41
	s_waitcnt vmcnt(6)
	v_add_f32_e32 v43, v43, v66
	s_waitcnt lgkmcnt(1)
	v_sub_f32_e32 v58, v65, v58
	global_load_dword v65, v[60:61], off
	v_mul_f32_e32 v58, v66, v58
	s_waitcnt lgkmcnt(0)
	v_fmac_f32_e32 v26, v58, v59
	v_add_co_u32 v58, vcc_lo, v60, s30
	ds_bpermute_b32 v60, v21, v42
	v_add_co_ci_u32_e64 v59, null, s31, v61, vcc_lo
	ds_bpermute_b32 v61, v21, v41
	s_waitcnt vmcnt(6) lgkmcnt(1)
	v_sub_f32_e32 v60, v67, v60
	global_load_dword v67, v[56:57], off
	s_waitcnt vmcnt(6)
	v_add_f32_e32 v43, v43, v68
	v_mul_f32_e32 v60, v68, v60
	s_waitcnt lgkmcnt(0)
	v_fmac_f32_e32 v26, v60, v61
	v_add_co_u32 v60, vcc_lo, v56, s30
	ds_bpermute_b32 v56, v22, v42
	v_add_co_ci_u32_e64 v61, null, s31, v57, vcc_lo
	ds_bpermute_b32 v57, v22, v41
	s_waitcnt vmcnt(5) lgkmcnt(1)
	v_sub_f32_e32 v56, v69, v56
	global_load_dword v69, v[58:59], off
	s_waitcnt vmcnt(5)
	v_mul_f32_e32 v56, v70, v56
	v_add_f32_e32 v43, v43, v70
	s_waitcnt lgkmcnt(0)
	v_fmac_f32_e32 v26, v56, v57
	v_add_co_u32 v56, vcc_lo, v58, s30
	ds_bpermute_b32 v58, v23, v42
	v_add_co_ci_u32_e64 v57, null, s31, v59, vcc_lo
	ds_bpermute_b32 v59, v23, v41
	s_waitcnt vmcnt(4) lgkmcnt(1)
	v_sub_f32_e32 v58, v63, v58
	global_load_dword v63, v[60:61], off
	s_waitcnt vmcnt(4)
	v_mul_f32_e32 v58, v64, v58
	v_add_f32_e32 v43, v43, v64
	;; [unrolled: 12-line block ×4, first 2 shown]
	s_waitcnt lgkmcnt(0)
	v_fmac_f32_e32 v26, v56, v57
	v_add_co_u32 v56, vcc_lo, v58, s30
	ds_bpermute_b32 v58, v27, v42
	v_add_co_ci_u32_e64 v57, null, s31, v59, vcc_lo
	ds_bpermute_b32 v59, v27, v41
	global_load_dword v71, v[56:57], off
	s_waitcnt vmcnt(2) lgkmcnt(1)
	v_sub_f32_e32 v58, v65, v58
	global_load_dword v65, v[60:61], off
	s_waitcnt vmcnt(2)
	v_mul_f32_e32 v58, v69, v58
	v_add_f32_e32 v43, v43, v69
	s_waitcnt lgkmcnt(0)
	v_fmac_f32_e32 v26, v58, v59
	v_add_co_u32 v58, vcc_lo, v60, s30
	v_add_co_ci_u32_e64 v59, null, s31, v61, vcc_lo
	v_add_co_u32 v60, vcc_lo, v56, s30
	ds_bpermute_b32 v56, v28, v42
	v_add_co_ci_u32_e64 v61, null, s31, v57, vcc_lo
	ds_bpermute_b32 v57, v28, v41
	global_load_dword v72, v[60:61], off
	s_waitcnt vmcnt(2)
	v_add_f32_e32 v43, v43, v71
	s_waitcnt vmcnt(1) lgkmcnt(1)
	v_sub_f32_e32 v56, v65, v56
	global_load_dword v65, v[58:59], off
	v_mul_f32_e32 v56, v71, v56
	s_waitcnt lgkmcnt(0)
	v_fmac_f32_e32 v26, v56, v57
	v_add_co_u32 v56, vcc_lo, v58, s30
	v_add_co_ci_u32_e64 v57, null, s31, v59, vcc_lo
	v_add_co_u32 v58, vcc_lo, v60, s30
	ds_bpermute_b32 v60, v29, v42
	v_add_co_ci_u32_e64 v59, null, s31, v61, vcc_lo
	ds_bpermute_b32 v61, v29, v41
	global_load_dword v73, v[58:59], off
	s_waitcnt vmcnt(2)
	v_add_f32_e32 v43, v43, v72
	s_waitcnt vmcnt(1) lgkmcnt(1)
	v_sub_f32_e32 v60, v65, v60
	global_load_dword v65, v[56:57], off
	v_mul_f32_e32 v60, v72, v60
	s_waitcnt lgkmcnt(0)
	v_fmac_f32_e32 v26, v60, v61
	v_add_co_u32 v60, vcc_lo, v56, s30
	v_add_co_ci_u32_e64 v61, null, s31, v57, vcc_lo
	v_add_co_u32 v56, vcc_lo, v58, s30
	ds_bpermute_b32 v58, v30, v42
	v_add_co_ci_u32_e64 v57, null, s31, v59, vcc_lo
	ds_bpermute_b32 v59, v30, v41
	s_waitcnt vmcnt(1)
	v_add_f32_e32 v43, v43, v73
	global_load_dword v74, v[56:57], off
	s_waitcnt vmcnt(1) lgkmcnt(1)
	v_sub_f32_e32 v58, v65, v58
	global_load_dword v65, v[60:61], off
	v_mul_f32_e32 v58, v73, v58
	s_waitcnt lgkmcnt(0)
	v_fmac_f32_e32 v26, v58, v59
	v_add_co_u32 v58, vcc_lo, v60, s30
	v_add_co_ci_u32_e64 v59, null, s31, v61, vcc_lo
	v_add_co_u32 v60, vcc_lo, v56, s30
	v_add_co_ci_u32_e64 v61, null, s31, v57, vcc_lo
	;; [unrolled: 2-line block ×3, first 2 shown]
	global_load_dword v75, v[58:59], off
	v_add_co_u32 v58, vcc_lo, v60, s30
	v_add_co_ci_u32_e64 v59, null, s31, v61, vcc_lo
	global_load_dword v76, v[60:61], off
	v_add_co_u32 v60, vcc_lo, v56, s30
	v_add_co_ci_u32_e64 v61, null, s31, v57, vcc_lo
	;; [unrolled: 3-line block ×3, first 2 shown]
	global_load_dword v78, v[58:59], off
	v_add_co_u32 v58, vcc_lo, v60, s30
	global_load_dword v79, v[60:61], off
	v_add_co_ci_u32_e64 v59, null, s31, v61, vcc_lo
	v_add_co_u32 v60, vcc_lo, v56, s30
	v_add_co_ci_u32_e64 v61, null, s31, v57, vcc_lo
	global_load_dword v80, v[56:57], off
	v_add_co_u32 v56, vcc_lo, v60, s30
	v_add_co_ci_u32_e64 v57, null, s31, v61, vcc_lo
	global_load_dword v81, v[60:61], off
	;; [unrolled: 3-line block ×7, first 2 shown]
	v_add_co_u32 v58, vcc_lo, v60, s30
	global_load_dword v87, v[60:61], off
	v_add_co_ci_u32_e64 v59, null, s31, v61, vcc_lo
	v_add_co_u32 v60, vcc_lo, v56, s30
	v_add_co_ci_u32_e64 v61, null, s31, v57, vcc_lo
	global_load_dword v56, v[56:57], off
	global_load_dword v57, v[58:59], off
	;; [unrolled: 1-line block ×3, first 2 shown]
	s_waitcnt vmcnt(17)
	v_add_f32_e32 v43, v43, v74
	v_add_co_u32 v2, vcc_lo, v2, s4
	v_add_co_ci_u32_e64 v40, null, s5, v40, vcc_lo
	v_add_co_u32 v6, vcc_lo, v6, s28
	v_add_co_ci_u32_e64 v7, null, s29, v7, vcc_lo
	;; [unrolled: 2-line block ×3, first 2 shown]
	s_and_b32 vcc_lo, exec_lo, s0
	s_waitcnt vmcnt(16)
	v_sub_f32_e32 v44, v65, v44
	v_mul_f32_e32 v44, v74, v44
	v_fmac_f32_e32 v26, v44, v46
	ds_bpermute_b32 v44, v35, v42
	ds_bpermute_b32 v46, v34, v41
	s_waitcnt vmcnt(15)
	v_sub_f32_e32 v45, v75, v45
	s_waitcnt vmcnt(14)
	v_mul_f32_e32 v45, v76, v45
	v_add_f32_e32 v43, v43, v76
	s_waitcnt vmcnt(13)
	v_sub_f32_e32 v47, v77, v47
	v_fmac_f32_e32 v26, v45, v48
	ds_bpermute_b32 v48, v35, v41
	s_waitcnt vmcnt(12)
	v_mul_f32_e32 v45, v78, v47
	v_add_f32_e32 v43, v43, v78
	s_waitcnt vmcnt(11)
	v_sub_f32_e32 v47, v79, v49
	ds_bpermute_b32 v49, v37, v42
	v_fmac_f32_e32 v26, v45, v50
	ds_bpermute_b32 v50, v38, v42
	ds_bpermute_b32 v42, v39, v42
	s_waitcnt vmcnt(10)
	v_mul_f32_e32 v45, v80, v47
	ds_bpermute_b32 v47, v36, v41
	v_add_f32_e32 v43, v43, v80
	s_waitcnt lgkmcnt(5)
	v_fmac_f32_e32 v26, v45, v46
	ds_bpermute_b32 v45, v37, v41
	s_waitcnt vmcnt(9)
	v_add_f32_e32 v43, v43, v81
	s_waitcnt vmcnt(8)
	v_sub_f32_e32 v44, v82, v44
	v_mul_f32_e32 v44, v81, v44
	s_waitcnt vmcnt(7)
	v_add_f32_e32 v43, v43, v83
	s_waitcnt vmcnt(6)
	v_sub_f32_e32 v46, v84, v51
	ds_bpermute_b32 v51, v38, v41
	s_waitcnt lgkmcnt(6)
	v_fmac_f32_e32 v26, v44, v48
	ds_bpermute_b32 v41, v39, v41
	v_mul_f32_e32 v44, v83, v46
	s_waitcnt vmcnt(5) lgkmcnt(6)
	v_sub_f32_e32 v46, v85, v49
	s_waitcnt lgkmcnt(3)
	v_fmac_f32_e32 v26, v44, v47
	s_waitcnt vmcnt(4)
	v_mul_f32_e32 v44, v86, v46
	v_add_f32_e32 v43, v43, v86
	s_waitcnt vmcnt(3)
	v_sub_f32_e32 v46, v87, v50
	s_waitcnt lgkmcnt(2)
	v_fmac_f32_e32 v26, v44, v45
	s_waitcnt vmcnt(2)
	v_mul_f32_e32 v44, v56, v46
	s_waitcnt vmcnt(1)
	v_sub_f32_e32 v42, v57, v42
	v_add_f32_e32 v43, v43, v56
	s_waitcnt lgkmcnt(1)
	v_fmac_f32_e32 v26, v44, v51
	s_waitcnt vmcnt(0)
	v_mul_f32_e32 v42, v58, v42
	v_add_f32_e32 v43, v43, v58
	s_waitcnt lgkmcnt(0)
	v_fmac_f32_e32 v26, v42, v41
	s_cbranch_vccz .LBB60_8
.LBB60_6:                               ; =>This Inner Loop Header: Depth=1
	v_mov_b32_e32 v41, 0
	v_mov_b32_e32 v42, 0
	s_mov_b32 s0, exec_lo
	v_cmpx_gt_i64_e64 s[16:17], v[4:5]
	s_cbranch_execz .LBB60_5
; %bb.7:                                ;   in Loop: Header=BB60_6 Depth=1
	v_add_co_u32 v41, vcc_lo, s12, v6
	v_add_co_ci_u32_e64 v42, null, s13, v7, vcc_lo
	v_add_co_u32 v44, vcc_lo, s14, v6
	v_add_co_ci_u32_e64 v45, null, s15, v7, vcc_lo
	global_load_dword v42, v[41:42], off
	global_load_dword v41, v[44:45], off
	s_branch .LBB60_5
.LBB60_8:
	s_load_dword s0, s[24:25], 0xc
	v_mov_b32_e32 v2, 0
	s_waitcnt lgkmcnt(0)
	s_lshr_b32 s0, s0, 16
	v_mad_u64_u32 v[1:2], null, s0, s7, v[1:2]
	s_mov_b32 s7, 0
	s_lshl_b64 s[0:1], s[6:7], 5
	s_cmp_eq_u64 s[20:21], 0
	v_or_b32_e32 v5, s0, v0
	v_mov_b32_e32 v6, s1
	v_mul_lo_u32 v0, v2, s18
	v_mul_lo_u32 v4, v1, s19
	v_lshlrev_b64 v[2:3], 2, v[5:6]
	s_cbranch_scc1 .LBB60_10
; %bb.9:
	v_mad_u64_u32 v[5:6], null, v1, s18, 0
	v_add3_u32 v6, v6, v4, v0
	v_lshlrev_b64 v[5:6], 2, v[5:6]
	v_add_co_u32 v5, vcc_lo, s20, v5
	v_add_co_ci_u32_e64 v6, null, s21, v6, vcc_lo
	v_add_co_u32 v5, vcc_lo, v5, v2
	v_add_co_ci_u32_e64 v6, null, v6, v3, vcc_lo
	global_store_dword v[5:6], v26, off
.LBB60_10:
	s_cmp_eq_u64 s[22:23], 0
	s_cbranch_scc1 .LBB60_12
; %bb.11:
	v_mad_u64_u32 v[5:6], null, v1, s18, 0
	v_add3_u32 v6, v6, v4, v0
	v_lshlrev_b64 v[0:1], 2, v[5:6]
	v_add_co_u32 v0, vcc_lo, s22, v0
	v_add_co_ci_u32_e64 v1, null, s23, v1, vcc_lo
	v_add_co_u32 v0, vcc_lo, v0, v2
	v_add_co_ci_u32_e64 v1, null, v1, v3, vcc_lo
	global_store_dword v[0:1], v43, off
.LBB60_12:
	s_endpgm
	.section	.rodata,"a",@progbits
	.p2align	6, 0x0
	.amdhsa_kernel _ZN2at6native12_GLOBAL__N_135GammaBetaBackwardCUDAKernelTemplateIffLj32ELj1ELj32ELb1ELb1ELb0EEEvllPKT_S5_PKT0_S8_PS3_S9_
		.amdhsa_group_segment_fixed_size 0
		.amdhsa_private_segment_fixed_size 0
		.amdhsa_kernarg_size 320
		.amdhsa_user_sgpr_count 6
		.amdhsa_user_sgpr_private_segment_buffer 1
		.amdhsa_user_sgpr_dispatch_ptr 0
		.amdhsa_user_sgpr_queue_ptr 0
		.amdhsa_user_sgpr_kernarg_segment_ptr 1
		.amdhsa_user_sgpr_dispatch_id 0
		.amdhsa_user_sgpr_flat_scratch_init 0
		.amdhsa_user_sgpr_private_segment_size 0
		.amdhsa_wavefront_size32 1
		.amdhsa_uses_dynamic_stack 0
		.amdhsa_system_sgpr_private_segment_wavefront_offset 0
		.amdhsa_system_sgpr_workgroup_id_x 1
		.amdhsa_system_sgpr_workgroup_id_y 1
		.amdhsa_system_sgpr_workgroup_id_z 0
		.amdhsa_system_sgpr_workgroup_info 0
		.amdhsa_system_vgpr_workitem_id 1
		.amdhsa_next_free_vgpr 88
		.amdhsa_next_free_sgpr 32
		.amdhsa_reserve_vcc 1
		.amdhsa_reserve_flat_scratch 0
		.amdhsa_float_round_mode_32 0
		.amdhsa_float_round_mode_16_64 0
		.amdhsa_float_denorm_mode_32 3
		.amdhsa_float_denorm_mode_16_64 3
		.amdhsa_dx10_clamp 1
		.amdhsa_ieee_mode 1
		.amdhsa_fp16_overflow 0
		.amdhsa_workgroup_processor_mode 1
		.amdhsa_memory_ordered 1
		.amdhsa_forward_progress 1
		.amdhsa_shared_vgpr_count 0
		.amdhsa_exception_fp_ieee_invalid_op 0
		.amdhsa_exception_fp_denorm_src 0
		.amdhsa_exception_fp_ieee_div_zero 0
		.amdhsa_exception_fp_ieee_overflow 0
		.amdhsa_exception_fp_ieee_underflow 0
		.amdhsa_exception_fp_ieee_inexact 0
		.amdhsa_exception_int_div_zero 0
	.end_amdhsa_kernel
	.section	.text._ZN2at6native12_GLOBAL__N_135GammaBetaBackwardCUDAKernelTemplateIffLj32ELj1ELj32ELb1ELb1ELb0EEEvllPKT_S5_PKT0_S8_PS3_S9_,"axG",@progbits,_ZN2at6native12_GLOBAL__N_135GammaBetaBackwardCUDAKernelTemplateIffLj32ELj1ELj32ELb1ELb1ELb0EEEvllPKT_S5_PKT0_S8_PS3_S9_,comdat
.Lfunc_end60:
	.size	_ZN2at6native12_GLOBAL__N_135GammaBetaBackwardCUDAKernelTemplateIffLj32ELj1ELj32ELb1ELb1ELb0EEEvllPKT_S5_PKT0_S8_PS3_S9_, .Lfunc_end60-_ZN2at6native12_GLOBAL__N_135GammaBetaBackwardCUDAKernelTemplateIffLj32ELj1ELj32ELb1ELb1ELb0EEEvllPKT_S5_PKT0_S8_PS3_S9_
                                        ; -- End function
	.set _ZN2at6native12_GLOBAL__N_135GammaBetaBackwardCUDAKernelTemplateIffLj32ELj1ELj32ELb1ELb1ELb0EEEvllPKT_S5_PKT0_S8_PS3_S9_.num_vgpr, 88
	.set _ZN2at6native12_GLOBAL__N_135GammaBetaBackwardCUDAKernelTemplateIffLj32ELj1ELj32ELb1ELb1ELb0EEEvllPKT_S5_PKT0_S8_PS3_S9_.num_agpr, 0
	.set _ZN2at6native12_GLOBAL__N_135GammaBetaBackwardCUDAKernelTemplateIffLj32ELj1ELj32ELb1ELb1ELb0EEEvllPKT_S5_PKT0_S8_PS3_S9_.numbered_sgpr, 32
	.set _ZN2at6native12_GLOBAL__N_135GammaBetaBackwardCUDAKernelTemplateIffLj32ELj1ELj32ELb1ELb1ELb0EEEvllPKT_S5_PKT0_S8_PS3_S9_.num_named_barrier, 0
	.set _ZN2at6native12_GLOBAL__N_135GammaBetaBackwardCUDAKernelTemplateIffLj32ELj1ELj32ELb1ELb1ELb0EEEvllPKT_S5_PKT0_S8_PS3_S9_.private_seg_size, 0
	.set _ZN2at6native12_GLOBAL__N_135GammaBetaBackwardCUDAKernelTemplateIffLj32ELj1ELj32ELb1ELb1ELb0EEEvllPKT_S5_PKT0_S8_PS3_S9_.uses_vcc, 1
	.set _ZN2at6native12_GLOBAL__N_135GammaBetaBackwardCUDAKernelTemplateIffLj32ELj1ELj32ELb1ELb1ELb0EEEvllPKT_S5_PKT0_S8_PS3_S9_.uses_flat_scratch, 0
	.set _ZN2at6native12_GLOBAL__N_135GammaBetaBackwardCUDAKernelTemplateIffLj32ELj1ELj32ELb1ELb1ELb0EEEvllPKT_S5_PKT0_S8_PS3_S9_.has_dyn_sized_stack, 0
	.set _ZN2at6native12_GLOBAL__N_135GammaBetaBackwardCUDAKernelTemplateIffLj32ELj1ELj32ELb1ELb1ELb0EEEvllPKT_S5_PKT0_S8_PS3_S9_.has_recursion, 0
	.set _ZN2at6native12_GLOBAL__N_135GammaBetaBackwardCUDAKernelTemplateIffLj32ELj1ELj32ELb1ELb1ELb0EEEvllPKT_S5_PKT0_S8_PS3_S9_.has_indirect_call, 0
	.section	.AMDGPU.csdata,"",@progbits
; Kernel info:
; codeLenInByte = 3796
; TotalNumSgprs: 34
; NumVgprs: 88
; ScratchSize: 0
; MemoryBound: 0
; FloatMode: 240
; IeeeMode: 1
; LDSByteSize: 0 bytes/workgroup (compile time only)
; SGPRBlocks: 0
; VGPRBlocks: 10
; NumSGPRsForWavesPerEU: 34
; NumVGPRsForWavesPerEU: 88
; Occupancy: 10
; WaveLimiterHint : 0
; COMPUTE_PGM_RSRC2:SCRATCH_EN: 0
; COMPUTE_PGM_RSRC2:USER_SGPR: 6
; COMPUTE_PGM_RSRC2:TRAP_HANDLER: 0
; COMPUTE_PGM_RSRC2:TGID_X_EN: 1
; COMPUTE_PGM_RSRC2:TGID_Y_EN: 1
; COMPUTE_PGM_RSRC2:TGID_Z_EN: 0
; COMPUTE_PGM_RSRC2:TIDIG_COMP_CNT: 1
	.section	.text._ZN2at6native12_GLOBAL__N_135GammaBetaBackwardCUDAKernelTemplateIffLj32ELj1ELj32ELb1ELb0ELb0EEEvllPKT_S5_PKT0_S8_PS3_S9_,"axG",@progbits,_ZN2at6native12_GLOBAL__N_135GammaBetaBackwardCUDAKernelTemplateIffLj32ELj1ELj32ELb1ELb0ELb0EEEvllPKT_S5_PKT0_S8_PS3_S9_,comdat
	.globl	_ZN2at6native12_GLOBAL__N_135GammaBetaBackwardCUDAKernelTemplateIffLj32ELj1ELj32ELb1ELb0ELb0EEEvllPKT_S5_PKT0_S8_PS3_S9_ ; -- Begin function _ZN2at6native12_GLOBAL__N_135GammaBetaBackwardCUDAKernelTemplateIffLj32ELj1ELj32ELb1ELb0ELb0EEEvllPKT_S5_PKT0_S8_PS3_S9_
	.p2align	8
	.type	_ZN2at6native12_GLOBAL__N_135GammaBetaBackwardCUDAKernelTemplateIffLj32ELj1ELj32ELb1ELb0ELb0EEEvllPKT_S5_PKT0_S8_PS3_S9_,@function
_ZN2at6native12_GLOBAL__N_135GammaBetaBackwardCUDAKernelTemplateIffLj32ELj1ELj32ELb1ELb0ELb0EEEvllPKT_S5_PKT0_S8_PS3_S9_: ; @_ZN2at6native12_GLOBAL__N_135GammaBetaBackwardCUDAKernelTemplateIffLj32ELj1ELj32ELb1ELb0ELb0EEEvllPKT_S5_PKT0_S8_PS3_S9_
; %bb.0:
	s_mov_b64 s[38:39], s[2:3]
	s_mov_b64 s[36:37], s[0:1]
	s_mov_b32 s0, s7
	s_add_u32 s36, s36, s8
	s_clause 0x1
	s_load_dwordx8 s[8:15], s[4:5], 0x0
	s_load_dwordx4 s[16:19], s[4:5], 0x20
	s_addc_u32 s37, s37, 0
	s_lshl_b32 s7, s6, 5
	s_mov_b32 s21, 0
	s_or_b32 s20, s7, 31
	v_mov_b32_e32 v228, v0
	s_waitcnt lgkmcnt(0)
	v_cmp_le_i64_e64 s1, s[10:11], s[20:21]
	s_lshl_b32 s20, s0, 5
	v_cmp_gt_i64_e64 s28, s[8:9], s[20:21]
	s_and_b32 vcc_lo, exec_lo, s1
	v_cndmask_b32_e64 v0, 0, 1, s28
	v_cmp_ne_u32_e64 s1, 1, v0
	s_cbranch_vccz .LBB61_141
; %bb.1:
	v_mov_b32_e32 v230, 0
	v_mov_b32_e32 v168, 0
	s_and_b32 vcc_lo, exec_lo, s1
	s_cbranch_vccnz .LBB61_142
; %bb.2:
	v_lshlrev_b32_e32 v39, 5, v1
	v_mov_b32_e32 v2, 0
	v_add_nc_u32_e32 v9, s7, v228
	s_load_dword s2, s[4:5], 0x44
	s_add_u32 s22, s4, 64
	v_add_co_u32 v5, s1, v39, s20
	v_add_co_ci_u32_e64 v6, null, 0, 0, s1
	v_mov_b32_e32 v10, v2
	v_mul_lo_u32 v7, s11, v5
	v_mad_u64_u32 v[3:4], null, s10, v5, 0
	v_mul_lo_u32 v8, s10, v6
	v_cmp_gt_i64_e64 s1, s[10:11], v[9:10]
	v_lshlrev_b64 v[35:36], 2, v[9:10]
	s_addc_u32 s23, s5, 0
	v_mov_b32_e32 v40, v2
	v_mov_b32_e32 v193, 0
	;; [unrolled: 1-line block ×3, first 2 shown]
	s_mov_b64 s[26:27], s[20:21]
	v_add3_u32 v4, v4, v8, v7
	v_add_co_u32 v7, vcc_lo, v5, 31
	v_add_co_ci_u32_e64 v8, null, 0, v6, vcc_lo
	v_add_co_u32 v9, vcc_lo, v5, 30
	v_add_co_ci_u32_e64 v10, null, 0, v6, vcc_lo
	v_lshlrev_b64 v[15:16], 2, v[3:4]
	v_mul_lo_u32 v11, s11, v7
	v_mul_lo_u32 v12, s10, v8
	v_mad_u64_u32 v[7:8], null, s10, v7, 0
	v_mul_lo_u32 v13, s11, v9
	v_mul_lo_u32 v14, s10, v10
	v_mad_u64_u32 v[9:10], null, s10, v9, 0
	v_add_co_u32 v41, vcc_lo, s12, v15
	v_add_co_ci_u32_e64 v42, null, s13, v16, vcc_lo
	v_add_co_u32 v43, vcc_lo, s14, v15
	v_add3_u32 v8, v8, v12, v11
	v_add_co_ci_u32_e64 v44, null, s15, v16, vcc_lo
	v_add_co_u32 v11, vcc_lo, v5, 29
	v_add3_u32 v10, v10, v14, v13
	v_add_co_ci_u32_e64 v12, null, 0, v6, vcc_lo
	v_lshlrev_b64 v[15:16], 2, v[7:8]
	v_mul_lo_u32 v13, s11, v11
	v_lshlrev_b64 v[7:8], 2, v[9:10]
	v_mul_lo_u32 v12, s10, v12
	v_mad_u64_u32 v[9:10], null, s10, v11, 0
	v_add_co_u32 v45, vcc_lo, s12, v15
	v_add_co_ci_u32_e64 v46, null, s13, v16, vcc_lo
	v_add_co_u32 v47, vcc_lo, s14, v15
	v_add3_u32 v10, v10, v12, v13
	s_waitcnt lgkmcnt(0)
	s_lshl_b32 s29, s2, 5
	v_add_co_ci_u32_e64 v48, null, s15, v16, vcc_lo
	v_add_co_u32 v49, vcc_lo, s12, v7
	s_mul_i32 s2, s11, s29
	s_mul_hi_u32 s3, s10, s29
	v_add_co_ci_u32_e64 v50, null, s13, v8, vcc_lo
	v_add_co_u32 v11, vcc_lo, v5, 28
	s_add_i32 s25, s3, s2
	v_add_co_u32 v51, s2, s14, v7
	v_lshlrev_b64 v[15:16], 2, v[9:10]
	v_add_co_ci_u32_e64 v7, null, 0, v6, vcc_lo
	v_add_co_u32 v9, vcc_lo, v5, 27
	v_add_co_ci_u32_e64 v10, null, 0, v6, vcc_lo
	v_add_co_ci_u32_e64 v52, null, s15, v8, s2
	v_mul_lo_u32 v12, s11, v11
	v_mul_lo_u32 v13, s10, v7
	v_mad_u64_u32 v[7:8], null, s10, v11, 0
	v_mul_lo_u32 v11, s11, v9
	v_mul_lo_u32 v14, s10, v10
	v_mad_u64_u32 v[9:10], null, s10, v9, 0
	v_add_co_u32 v53, vcc_lo, s12, v15
	v_add_co_ci_u32_e64 v54, null, s13, v16, vcc_lo
	v_add_co_u32 v55, vcc_lo, s14, v15
	v_add_co_ci_u32_e64 v56, null, s15, v16, vcc_lo
	v_add3_u32 v10, v10, v14, v11
	v_add_co_u32 v11, vcc_lo, v5, 26
	v_add3_u32 v8, v8, v13, v12
	v_add_co_ci_u32_e64 v12, null, 0, v6, vcc_lo
	v_mul_lo_u32 v13, s11, v11
	s_mul_i32 s24, s10, s29
	v_lshlrev_b64 v[15:16], 2, v[7:8]
	v_lshlrev_b64 v[7:8], 2, v[9:10]
	v_mul_lo_u32 v12, s10, v12
	v_mad_u64_u32 v[9:10], null, s10, v11, 0
	v_add_co_u32 v57, vcc_lo, s12, v15
	v_add_co_ci_u32_e64 v58, null, s13, v16, vcc_lo
	v_add_co_u32 v59, vcc_lo, s14, v15
	v_add3_u32 v10, v10, v12, v13
	v_add_co_ci_u32_e64 v60, null, s15, v16, vcc_lo
	v_add_co_u32 v61, vcc_lo, s12, v7
	v_add_co_ci_u32_e64 v62, null, s13, v8, vcc_lo
	v_add_co_u32 v15, vcc_lo, v5, 25
	v_add_co_u32 v63, s2, s14, v7
	v_add_co_ci_u32_e64 v0, null, s15, v8, s2
	v_lshlrev_b64 v[7:8], 2, v[9:10]
	v_add_co_ci_u32_e64 v9, null, 0, v6, vcc_lo
	v_add_co_u32 v11, vcc_lo, v5, 24
	v_add_co_ci_u32_e64 v12, null, 0, v6, vcc_lo
	v_mul_lo_u32 v13, s11, v15
	v_mul_lo_u32 v14, s10, v9
	v_mad_u64_u32 v[9:10], null, s10, v15, 0
	v_mul_lo_u32 v15, s11, v11
	v_mul_lo_u32 v16, s10, v12
	v_mad_u64_u32 v[11:12], null, s10, v11, 0
	v_add_co_u32 v225, vcc_lo, s12, v7
	v_add_co_ci_u32_e64 v64, null, s13, v8, vcc_lo
	v_add_co_u32 v65, vcc_lo, s14, v7
	v_add3_u32 v10, v10, v14, v13
	v_add_co_ci_u32_e64 v66, null, s15, v8, vcc_lo
	v_add_co_u32 v13, vcc_lo, v5, 23
	v_add3_u32 v12, v12, v16, v15
	v_add_co_ci_u32_e64 v14, null, 0, v6, vcc_lo
	v_lshlrev_b64 v[7:8], 2, v[9:10]
	v_mul_lo_u32 v15, s11, v13
	v_lshlrev_b64 v[9:10], 2, v[11:12]
	v_mul_lo_u32 v14, s10, v14
	v_mad_u64_u32 v[11:12], null, s10, v13, 0
	v_add_co_u32 v67, vcc_lo, s12, v7
	v_add_co_ci_u32_e64 v68, null, s13, v8, vcc_lo
	v_add_co_u32 v69, vcc_lo, s14, v7
	v_add3_u32 v12, v12, v14, v15
	v_add_co_ci_u32_e64 v70, null, s15, v8, vcc_lo
	v_add_co_u32 v71, vcc_lo, s12, v9
	v_add_co_ci_u32_e64 v72, null, s13, v10, vcc_lo
	v_add_co_u32 v13, vcc_lo, v5, 22
	v_add_co_u32 v73, s2, s14, v9
	v_lshlrev_b64 v[7:8], 2, v[11:12]
	v_add_co_ci_u32_e64 v9, null, 0, v6, vcc_lo
	v_add_co_u32 v11, vcc_lo, v5, 21
	v_add_co_ci_u32_e64 v12, null, 0, v6, vcc_lo
	v_add_co_ci_u32_e64 v74, null, s15, v10, s2
	v_mul_lo_u32 v14, s11, v13
	v_mul_lo_u32 v15, s10, v9
	v_mad_u64_u32 v[9:10], null, s10, v13, 0
	v_mul_lo_u32 v13, s11, v11
	v_mul_lo_u32 v16, s10, v12
	v_mad_u64_u32 v[11:12], null, s10, v11, 0
	v_add_co_u32 v75, vcc_lo, s12, v7
	v_add_co_ci_u32_e64 v76, null, s13, v8, vcc_lo
	v_add_co_u32 v77, vcc_lo, s14, v7
	v_add_co_ci_u32_e64 v78, null, s15, v8, vcc_lo
	v_add3_u32 v12, v12, v16, v13
	v_add_co_u32 v13, vcc_lo, v5, 20
	v_add3_u32 v10, v10, v15, v14
	v_add_co_ci_u32_e64 v14, null, 0, v6, vcc_lo
	v_mul_lo_u32 v15, s11, v13
	v_lshlrev_b64 v[7:8], 2, v[9:10]
	v_lshlrev_b64 v[9:10], 2, v[11:12]
	v_mul_lo_u32 v14, s10, v14
	v_mad_u64_u32 v[11:12], null, s10, v13, 0
	v_add_co_u32 v79, vcc_lo, s12, v7
	v_add_co_ci_u32_e64 v80, null, s13, v8, vcc_lo
	v_add_co_u32 v81, vcc_lo, s14, v7
	v_add3_u32 v12, v12, v14, v15
	v_add_co_ci_u32_e64 v82, null, s15, v8, vcc_lo
	v_add_co_u32 v83, vcc_lo, s12, v9
	v_add_co_ci_u32_e64 v84, null, s13, v10, vcc_lo
	v_add_co_u32 v13, vcc_lo, v5, 19
	v_add_co_u32 v85, s2, s14, v9
	v_lshlrev_b64 v[7:8], 2, v[11:12]
	v_add_co_ci_u32_e64 v9, null, 0, v6, vcc_lo
	v_add_co_u32 v11, vcc_lo, v5, 18
	v_add_co_ci_u32_e64 v12, null, 0, v6, vcc_lo
	v_add_co_ci_u32_e64 v86, null, s15, v10, s2
	v_mul_lo_u32 v14, s11, v13
	v_mul_lo_u32 v15, s10, v9
	v_mad_u64_u32 v[9:10], null, s10, v13, 0
	v_mul_lo_u32 v13, s11, v11
	v_mul_lo_u32 v16, s10, v12
	v_mad_u64_u32 v[11:12], null, s10, v11, 0
	v_add_co_u32 v87, vcc_lo, s12, v7
	v_add_co_ci_u32_e64 v88, null, s13, v8, vcc_lo
	v_add_co_u32 v89, vcc_lo, s14, v7
	v_add_co_ci_u32_e64 v90, null, s15, v8, vcc_lo
	v_add3_u32 v12, v12, v16, v13
	v_add_co_u32 v13, vcc_lo, v5, 17
	v_add3_u32 v10, v10, v15, v14
	v_add_co_ci_u32_e64 v14, null, 0, v6, vcc_lo
	v_mul_lo_u32 v15, s11, v13
	v_lshlrev_b64 v[7:8], 2, v[9:10]
	v_lshlrev_b64 v[9:10], 2, v[11:12]
	v_mul_lo_u32 v14, s10, v14
	v_mad_u64_u32 v[11:12], null, s10, v13, 0
	v_add_co_u32 v91, vcc_lo, s12, v7
	v_add_co_ci_u32_e64 v92, null, s13, v8, vcc_lo
	v_add_co_u32 v93, vcc_lo, s14, v7
	v_add3_u32 v12, v12, v14, v15
	v_add_co_ci_u32_e64 v94, null, s15, v8, vcc_lo
	v_add_co_u32 v95, vcc_lo, s12, v9
	v_add_co_ci_u32_e64 v96, null, s13, v10, vcc_lo
	v_add_co_u32 v13, vcc_lo, v5, 16
	v_add_co_u32 v97, s2, s14, v9
	v_lshlrev_b64 v[7:8], 2, v[11:12]
	v_add_co_ci_u32_e64 v9, null, 0, v6, vcc_lo
	v_add_co_u32 v11, vcc_lo, v5, 15
	v_add_co_ci_u32_e64 v12, null, 0, v6, vcc_lo
	v_add_co_ci_u32_e64 v98, null, s15, v10, s2
	v_mul_lo_u32 v14, s11, v13
	v_mul_lo_u32 v15, s10, v9
	v_mad_u64_u32 v[9:10], null, s10, v13, 0
	v_mul_lo_u32 v13, s11, v11
	v_mul_lo_u32 v16, s10, v12
	v_mad_u64_u32 v[11:12], null, s10, v11, 0
	v_add_co_u32 v99, vcc_lo, s12, v7
	v_add_co_ci_u32_e64 v100, null, s13, v8, vcc_lo
	v_add_co_u32 v101, vcc_lo, s14, v7
	v_add_co_ci_u32_e64 v102, null, s15, v8, vcc_lo
	v_add3_u32 v12, v12, v16, v13
	v_add_co_u32 v13, vcc_lo, v5, 14
	v_add3_u32 v10, v10, v15, v14
	v_add_co_ci_u32_e64 v14, null, 0, v6, vcc_lo
	v_mul_lo_u32 v15, s11, v13
	v_lshlrev_b64 v[7:8], 2, v[9:10]
	v_lshlrev_b64 v[9:10], 2, v[11:12]
	v_mul_lo_u32 v14, s10, v14
	v_mad_u64_u32 v[11:12], null, s10, v13, 0
	v_add_co_u32 v103, vcc_lo, s12, v7
	v_add_co_ci_u32_e64 v104, null, s13, v8, vcc_lo
	v_add_co_u32 v105, vcc_lo, s14, v7
	v_add3_u32 v12, v12, v14, v15
	v_add_co_ci_u32_e64 v106, null, s15, v8, vcc_lo
	v_add_co_u32 v107, vcc_lo, s12, v9
	v_add_co_ci_u32_e64 v108, null, s13, v10, vcc_lo
	v_add_co_u32 v13, vcc_lo, v5, 13
	v_add_co_u32 v109, s2, s14, v9
	v_lshlrev_b64 v[7:8], 2, v[11:12]
	v_add_co_ci_u32_e64 v9, null, 0, v6, vcc_lo
	v_add_co_u32 v11, vcc_lo, v5, 12
	v_add_co_ci_u32_e64 v12, null, 0, v6, vcc_lo
	v_add_co_ci_u32_e64 v110, null, s15, v10, s2
	v_mul_lo_u32 v14, s11, v13
	v_mul_lo_u32 v15, s10, v9
	v_mad_u64_u32 v[9:10], null, s10, v13, 0
	v_mul_lo_u32 v13, s11, v11
	v_mul_lo_u32 v16, s10, v12
	v_mad_u64_u32 v[11:12], null, s10, v11, 0
	v_add_co_u32 v111, vcc_lo, s12, v7
	v_add_co_ci_u32_e64 v112, null, s13, v8, vcc_lo
	v_add_co_u32 v113, vcc_lo, s14, v7
	v_add_co_ci_u32_e64 v114, null, s15, v8, vcc_lo
	v_add3_u32 v12, v12, v16, v13
	v_add_co_u32 v13, vcc_lo, v5, 11
	v_add3_u32 v10, v10, v15, v14
	v_add_co_ci_u32_e64 v14, null, 0, v6, vcc_lo
	v_mul_lo_u32 v15, s11, v13
	v_lshlrev_b64 v[7:8], 2, v[9:10]
	v_lshlrev_b64 v[9:10], 2, v[11:12]
	v_mul_lo_u32 v14, s10, v14
	v_mad_u64_u32 v[11:12], null, s10, v13, 0
	v_add_co_u32 v115, vcc_lo, s12, v7
	v_add_co_ci_u32_e64 v116, null, s13, v8, vcc_lo
	v_add_co_u32 v117, vcc_lo, s14, v7
	v_add3_u32 v12, v12, v14, v15
	v_add_co_ci_u32_e64 v118, null, s15, v8, vcc_lo
	v_add_co_u32 v119, vcc_lo, s12, v9
	v_add_co_ci_u32_e64 v120, null, s13, v10, vcc_lo
	v_add_co_u32 v13, vcc_lo, v5, 10
	v_add_co_u32 v121, s2, s14, v9
	v_lshlrev_b64 v[7:8], 2, v[11:12]
	v_add_co_ci_u32_e64 v9, null, 0, v6, vcc_lo
	v_add_co_u32 v11, vcc_lo, v5, 9
	v_add_co_ci_u32_e64 v12, null, 0, v6, vcc_lo
	v_add_co_ci_u32_e64 v122, null, s15, v10, s2
	v_mul_lo_u32 v14, s11, v13
	v_mul_lo_u32 v15, s10, v9
	v_mad_u64_u32 v[9:10], null, s10, v13, 0
	v_mul_lo_u32 v13, s11, v11
	v_mul_lo_u32 v16, s10, v12
	v_mad_u64_u32 v[11:12], null, s10, v11, 0
	v_add_co_u32 v123, vcc_lo, s12, v7
	v_add_co_ci_u32_e64 v124, null, s13, v8, vcc_lo
	v_add_co_u32 v125, vcc_lo, s14, v7
	v_add3_u32 v10, v10, v15, v14
	v_add_co_ci_u32_e64 v126, null, s15, v8, vcc_lo
	v_add3_u32 v12, v12, v16, v13
	v_add_co_u32 v13, vcc_lo, v5, 8
	v_add_co_ci_u32_e64 v14, null, 0, v6, vcc_lo
	v_lshlrev_b64 v[7:8], 2, v[9:10]
	v_lshlrev_b64 v[9:10], 2, v[11:12]
	v_mul_lo_u32 v15, s11, v13
	v_mul_lo_u32 v14, s10, v14
	v_mad_u64_u32 v[11:12], null, s10, v13, 0
	v_add_co_u32 v127, vcc_lo, s12, v7
	v_add_co_ci_u32_e64 v128, null, s13, v8, vcc_lo
	v_add_co_u32 v129, vcc_lo, s14, v7
	v_add_co_ci_u32_e64 v130, null, s15, v8, vcc_lo
	v_add_co_u32 v131, vcc_lo, s12, v9
	v_add3_u32 v12, v12, v14, v15
	v_add_co_ci_u32_e64 v132, null, s13, v10, vcc_lo
	v_add_co_u32 v13, vcc_lo, v5, 7
	v_add_co_u32 v133, s2, s14, v9
	v_add_co_ci_u32_e64 v9, null, 0, v6, vcc_lo
	v_lshlrev_b64 v[7:8], 2, v[11:12]
	v_add_co_u32 v11, vcc_lo, v5, 6
	v_add_co_ci_u32_e64 v12, null, 0, v6, vcc_lo
	v_add_co_ci_u32_e64 v134, null, s15, v10, s2
	v_mul_lo_u32 v14, s11, v13
	v_mul_lo_u32 v15, s10, v9
	v_mad_u64_u32 v[9:10], null, s10, v13, 0
	v_mul_lo_u32 v13, s11, v11
	v_mul_lo_u32 v16, s10, v12
	v_mad_u64_u32 v[11:12], null, s10, v11, 0
	v_add_co_u32 v135, vcc_lo, s12, v7
	v_add3_u32 v10, v10, v15, v14
	v_add_co_ci_u32_e64 v136, null, s13, v8, vcc_lo
	v_add_co_u32 v137, vcc_lo, s14, v7
	v_add_co_ci_u32_e64 v138, null, s15, v8, vcc_lo
	v_add3_u32 v12, v12, v16, v13
	v_add_co_u32 v13, vcc_lo, v5, 5
	v_lshlrev_b64 v[7:8], 2, v[9:10]
	v_add_co_ci_u32_e64 v14, null, 0, v6, vcc_lo
	v_lshlrev_b64 v[9:10], 2, v[11:12]
	v_mul_lo_u32 v15, s11, v13
	v_mad_u64_u32 v[11:12], null, s10, v13, 0
	v_add_co_u32 v139, vcc_lo, s12, v7
	v_mul_lo_u32 v14, s10, v14
	v_add_co_ci_u32_e64 v140, null, s13, v8, vcc_lo
	v_add_co_u32 v141, vcc_lo, s14, v7
	v_add_co_ci_u32_e64 v142, null, s15, v8, vcc_lo
	v_add_co_u32 v143, vcc_lo, s12, v9
	;; [unrolled: 2-line block ×3, first 2 shown]
	v_add3_u32 v12, v12, v14, v15
	v_add_co_u32 v145, s2, s14, v9
	v_add_co_ci_u32_e64 v9, null, 0, v6, vcc_lo
	v_add_co_ci_u32_e64 v146, null, s15, v10, s2
	v_lshlrev_b64 v[7:8], 2, v[11:12]
	v_mul_lo_u32 v14, s11, v13
	v_add_co_u32 v11, vcc_lo, v5, 3
	v_mul_lo_u32 v15, s10, v9
	v_mad_u64_u32 v[9:10], null, s10, v13, 0
	v_add_co_ci_u32_e64 v12, null, 0, v6, vcc_lo
	v_mul_lo_u32 v13, s11, v11
	v_add_co_u32 v147, vcc_lo, s12, v7
	v_mul_lo_u32 v16, s10, v12
	v_mad_u64_u32 v[11:12], null, s10, v11, 0
	v_add3_u32 v10, v10, v15, v14
	v_add_co_ci_u32_e64 v148, null, s13, v8, vcc_lo
	v_add_co_u32 v149, vcc_lo, s14, v7
	v_add_co_ci_u32_e64 v150, null, s15, v8, vcc_lo
	v_lshlrev_b64 v[7:8], 2, v[9:10]
	v_add_co_u32 v9, vcc_lo, v5, 2
	v_add3_u32 v12, v12, v16, v13
	v_add_co_ci_u32_e64 v10, null, 0, v6, vcc_lo
	v_add_co_u32 v151, vcc_lo, s12, v7
	v_lshlrev_b64 v[5:6], 2, v[11:12]
	v_mul_lo_u32 v11, s11, v9
	v_mul_lo_u32 v12, s10, v10
	v_mad_u64_u32 v[9:10], null, s10, v9, 0
	v_add_co_ci_u32_e64 v152, null, s13, v8, vcc_lo
	v_add_co_u32 v153, vcc_lo, s14, v7
	v_add_co_ci_u32_e64 v154, null, s15, v8, vcc_lo
	v_add_co_u32 v155, vcc_lo, s12, v5
	v_add_co_ci_u32_e64 v156, null, s13, v6, vcc_lo
	v_add3_u32 v10, v10, v12, v11
	v_add_co_u32 v157, vcc_lo, s14, v5
	v_add_co_ci_u32_e64 v158, null, s15, v6, vcc_lo
	v_add_co_u32 v3, vcc_lo, v3, s10
	v_add_co_ci_u32_e64 v4, null, s11, v4, vcc_lo
	v_lshlrev_b64 v[5:6], 2, v[9:10]
	s_lshl_b64 s[2:3], s[24:25], 2
	s_mov_b64 s[24:25], 31
	v_lshlrev_b64 v[3:4], 2, v[3:4]
	v_add_co_u32 v159, vcc_lo, s12, v5
	v_add_co_ci_u32_e64 v160, null, s13, v6, vcc_lo
	v_add_co_u32 v161, vcc_lo, s14, v5
	v_add_co_ci_u32_e64 v162, null, s15, v6, vcc_lo
	;; [unrolled: 2-line block ×4, first 2 shown]
.LBB61_3:                               ; =>This Inner Loop Header: Depth=1
	s_add_u32 s30, s20, s24
	s_addc_u32 s31, 0, s25
	v_add_co_u32 v37, vcc_lo, s20, v39
	v_cmp_ge_i64_e64 s30, s[30:31], s[8:9]
	v_add_co_ci_u32_e64 v38, null, 0, v40, vcc_lo
                                        ; implicit-def: $vgpr3_vgpr4_vgpr5_vgpr6_vgpr7_vgpr8_vgpr9_vgpr10_vgpr11_vgpr12_vgpr13_vgpr14_vgpr15_vgpr16_vgpr17_vgpr18_vgpr19_vgpr20_vgpr21_vgpr22_vgpr23_vgpr24_vgpr25_vgpr26_vgpr27_vgpr28_vgpr29_vgpr30_vgpr31_vgpr32_vgpr33_vgpr34
                                        ; implicit-def: $vgpr165
                                        ; implicit-def: $vgpr184
                                        ; implicit-def: $vgpr3
                                        ; implicit-def: $vgpr4
                                        ; implicit-def: $vgpr168
	s_and_b32 vcc_lo, exec_lo, s30
	s_mov_b32 s30, -1
	s_cbranch_vccz .LBB61_71
; %bb.4:                                ;   in Loop: Header=BB61_3 Depth=1
	s_load_dword s30, s[22:23], 0xc
	v_mov_b32_e32 v165, 0
	v_mov_b32_e32 v170, 0
	v_mov_b32_e32 v169, 0
	s_waitcnt lgkmcnt(0)
	s_and_b32 s30, s30, 0xffff
	v_mad_u32_u24 v3, v1, s30, v228
	s_mov_b32 s30, exec_lo
	v_and_b32_e32 v3, 31, v3
	v_add_co_u32 v3, vcc_lo, v37, v3
	v_add_co_ci_u32_e64 v4, null, 0, v38, vcc_lo
	v_cmpx_gt_i64_e64 s[8:9], v[3:4]
	s_cbranch_execz .LBB61_6
; %bb.5:                                ;   in Loop: Header=BB61_3 Depth=1
	v_lshlrev_b64 v[3:4], 2, v[3:4]
	v_add_co_u32 v5, vcc_lo, s16, v3
	v_add_co_ci_u32_e64 v6, null, s17, v4, vcc_lo
	v_add_co_u32 v3, vcc_lo, s18, v3
	v_add_co_ci_u32_e64 v4, null, s19, v4, vcc_lo
	global_load_dword v169, v[5:6], off
	global_load_dword v170, v[3:4], off
.LBB61_6:                               ;   in Loop: Header=BB61_3 Depth=1
	s_or_b32 exec_lo, exec_lo, s30
	v_mov_b32_e32 v33, v2
	v_cmp_gt_i64_e32 vcc_lo, s[8:9], v[37:38]
	v_mov_b32_e32 v3, v2
	v_mov_b32_e32 v4, v2
	;; [unrolled: 1-line block ×62, first 2 shown]
	s_and_b32 s31, s1, vcc_lo
	s_and_saveexec_b32 s30, s31
	s_cbranch_execz .LBB61_8
; %bb.7:                                ;   in Loop: Header=BB61_3 Depth=1
	v_add_co_u32 v3, vcc_lo, v41, v35
	v_add_co_ci_u32_e64 v4, null, v42, v36, vcc_lo
	v_add_co_u32 v5, vcc_lo, v43, v35
	v_add_co_ci_u32_e64 v6, null, v44, v36, vcc_lo
	global_load_dword v3, v[3:4], off
	global_load_dword v165, v[5:6], off
	v_mov_b32_e32 v4, v2
	v_mov_b32_e32 v5, v2
	;; [unrolled: 1-line block ×31, first 2 shown]
.LBB61_8:                               ;   in Loop: Header=BB61_3 Depth=1
	s_or_b32 exec_lo, exec_lo, s30
	v_add_co_u32 v171, vcc_lo, v37, 1
	v_add_co_ci_u32_e64 v172, null, 0, v38, vcc_lo
	v_cmp_gt_i64_e32 vcc_lo, s[8:9], v[171:172]
	v_mov_b32_e32 v171, 0
	v_mov_b32_e32 v172, 0
	s_and_b32 s31, s1, vcc_lo
	s_and_saveexec_b32 s30, s31
	s_cbranch_execz .LBB61_10
; %bb.9:                                ;   in Loop: Header=BB61_3 Depth=1
	v_add_co_u32 v172, vcc_lo, v163, v35
	v_add_co_ci_u32_e64 v173, null, v164, v36, vcc_lo
	v_add_co_u32 v174, vcc_lo, v166, v35
	v_add_co_ci_u32_e64 v175, null, v167, v36, vcc_lo
	global_load_dword v4, v[172:173], off
	global_load_dword v172, v[174:175], off
.LBB61_10:                              ;   in Loop: Header=BB61_3 Depth=1
	s_or_b32 exec_lo, exec_lo, s30
	v_add_co_u32 v173, vcc_lo, v37, 2
	v_add_co_ci_u32_e64 v174, null, 0, v38, vcc_lo
	v_cmp_gt_i64_e32 vcc_lo, s[8:9], v[173:174]
	s_and_b32 s31, s1, vcc_lo
	s_and_saveexec_b32 s30, s31
	s_cbranch_execz .LBB61_12
; %bb.11:                               ;   in Loop: Header=BB61_3 Depth=1
	v_add_co_u32 v173, vcc_lo, v159, v35
	v_add_co_ci_u32_e64 v174, null, v160, v36, vcc_lo
	v_add_co_u32 v175, vcc_lo, v161, v35
	v_add_co_ci_u32_e64 v176, null, v162, v36, vcc_lo
	global_load_dword v5, v[173:174], off
	global_load_dword v171, v[175:176], off
.LBB61_12:                              ;   in Loop: Header=BB61_3 Depth=1
	s_or_b32 exec_lo, exec_lo, s30
	v_add_co_u32 v173, vcc_lo, v37, 3
	v_add_co_ci_u32_e64 v174, null, 0, v38, vcc_lo
	v_cmp_gt_i64_e32 vcc_lo, s[8:9], v[173:174]
	v_mov_b32_e32 v173, 0
	v_mov_b32_e32 v174, 0
	s_and_b32 s31, s1, vcc_lo
	s_and_saveexec_b32 s30, s31
	s_cbranch_execz .LBB61_14
; %bb.13:                               ;   in Loop: Header=BB61_3 Depth=1
	v_add_co_u32 v174, vcc_lo, v155, v35
	v_add_co_ci_u32_e64 v175, null, v156, v36, vcc_lo
	v_add_co_u32 v176, vcc_lo, v157, v35
	v_add_co_ci_u32_e64 v177, null, v158, v36, vcc_lo
	global_load_dword v6, v[174:175], off
	global_load_dword v174, v[176:177], off
.LBB61_14:                              ;   in Loop: Header=BB61_3 Depth=1
	s_or_b32 exec_lo, exec_lo, s30
	v_add_co_u32 v175, vcc_lo, v37, 4
	v_add_co_ci_u32_e64 v176, null, 0, v38, vcc_lo
	v_cmp_gt_i64_e32 vcc_lo, s[8:9], v[175:176]
	s_and_b32 s31, s1, vcc_lo
	s_and_saveexec_b32 s30, s31
	s_cbranch_execz .LBB61_16
; %bb.15:                               ;   in Loop: Header=BB61_3 Depth=1
	v_add_co_u32 v175, vcc_lo, v151, v35
	v_add_co_ci_u32_e64 v176, null, v152, v36, vcc_lo
	v_add_co_u32 v177, vcc_lo, v153, v35
	v_add_co_ci_u32_e64 v178, null, v154, v36, vcc_lo
	global_load_dword v7, v[175:176], off
	global_load_dword v173, v[177:178], off
.LBB61_16:                              ;   in Loop: Header=BB61_3 Depth=1
	s_or_b32 exec_lo, exec_lo, s30
	v_add_co_u32 v175, vcc_lo, v37, 5
	v_add_co_ci_u32_e64 v176, null, 0, v38, vcc_lo
	v_cmp_gt_i64_e32 vcc_lo, s[8:9], v[175:176]
	v_mov_b32_e32 v175, 0
	v_mov_b32_e32 v176, 0
	s_and_b32 s31, s1, vcc_lo
	s_and_saveexec_b32 s30, s31
	s_cbranch_execz .LBB61_18
; %bb.17:                               ;   in Loop: Header=BB61_3 Depth=1
	v_add_co_u32 v176, vcc_lo, v147, v35
	v_add_co_ci_u32_e64 v177, null, v148, v36, vcc_lo
	v_add_co_u32 v178, vcc_lo, v149, v35
	v_add_co_ci_u32_e64 v179, null, v150, v36, vcc_lo
	global_load_dword v8, v[176:177], off
	global_load_dword v176, v[178:179], off
.LBB61_18:                              ;   in Loop: Header=BB61_3 Depth=1
	;; [unrolled: 32-line block ×5, first 2 shown]
	s_or_b32 exec_lo, exec_lo, s30
	v_add_co_u32 v183, vcc_lo, v37, 12
	v_add_co_ci_u32_e64 v184, null, 0, v38, vcc_lo
	v_cmp_gt_i64_e32 vcc_lo, s[8:9], v[183:184]
	s_and_b32 s31, s1, vcc_lo
	s_and_saveexec_b32 s30, s31
	s_cbranch_execz .LBB61_32
; %bb.31:                               ;   in Loop: Header=BB61_3 Depth=1
	v_add_co_u32 v183, vcc_lo, v119, v35
	v_add_co_ci_u32_e64 v184, null, v120, v36, vcc_lo
	v_add_co_u32 v185, vcc_lo, v121, v35
	v_add_co_ci_u32_e64 v186, null, v122, v36, vcc_lo
	global_load_dword v15, v[183:184], off
	global_load_dword v181, v[185:186], off
.LBB61_32:                              ;   in Loop: Header=BB61_3 Depth=1
	s_or_b32 exec_lo, exec_lo, s30
	v_add_co_u32 v183, vcc_lo, v37, 13
	v_add_co_ci_u32_e64 v184, null, 0, v38, vcc_lo
	v_mov_b32_e32 v185, 0
	v_cmp_gt_i64_e32 vcc_lo, s[8:9], v[183:184]
	v_mov_b32_e32 v183, 0
	s_and_b32 s31, s1, vcc_lo
	s_and_saveexec_b32 s30, s31
	s_cbranch_execz .LBB61_34
; %bb.33:                               ;   in Loop: Header=BB61_3 Depth=1
	v_add_co_u32 v184, vcc_lo, v115, v35
	v_add_co_ci_u32_e64 v185, null, v116, v36, vcc_lo
	v_add_co_u32 v186, vcc_lo, v117, v35
	v_add_co_ci_u32_e64 v187, null, v118, v36, vcc_lo
	global_load_dword v16, v[184:185], off
	global_load_dword v185, v[186:187], off
.LBB61_34:                              ;   in Loop: Header=BB61_3 Depth=1
	s_or_b32 exec_lo, exec_lo, s30
	v_add_co_u32 v186, vcc_lo, v37, 14
	v_add_co_ci_u32_e64 v187, null, 0, v38, vcc_lo
	v_cmp_gt_i64_e32 vcc_lo, s[8:9], v[186:187]
	s_and_b32 s31, s1, vcc_lo
	s_and_saveexec_b32 s30, s31
	s_cbranch_execz .LBB61_36
; %bb.35:                               ;   in Loop: Header=BB61_3 Depth=1
	v_add_co_u32 v183, vcc_lo, v111, v35
	v_add_co_ci_u32_e64 v184, null, v112, v36, vcc_lo
	v_add_co_u32 v186, vcc_lo, v113, v35
	v_add_co_ci_u32_e64 v187, null, v114, v36, vcc_lo
	global_load_dword v17, v[183:184], off
	global_load_dword v183, v[186:187], off
.LBB61_36:                              ;   in Loop: Header=BB61_3 Depth=1
	s_or_b32 exec_lo, exec_lo, s30
	v_add_co_u32 v186, vcc_lo, v37, 15
	v_add_co_ci_u32_e64 v187, null, 0, v38, vcc_lo
	v_cmp_gt_i64_e32 vcc_lo, s[8:9], v[186:187]
	v_mov_b32_e32 v186, 0
	v_mov_b32_e32 v187, 0
	s_and_b32 s31, s1, vcc_lo
	s_and_saveexec_b32 s30, s31
	s_cbranch_execz .LBB61_38
; %bb.37:                               ;   in Loop: Header=BB61_3 Depth=1
	v_add_co_u32 v187, vcc_lo, v107, v35
	v_add_co_ci_u32_e64 v188, null, v108, v36, vcc_lo
	v_add_co_u32 v189, vcc_lo, v109, v35
	v_add_co_ci_u32_e64 v190, null, v110, v36, vcc_lo
	global_load_dword v18, v[187:188], off
	global_load_dword v187, v[189:190], off
.LBB61_38:                              ;   in Loop: Header=BB61_3 Depth=1
	s_or_b32 exec_lo, exec_lo, s30
	v_add_co_u32 v188, vcc_lo, v37, 16
	v_add_co_ci_u32_e64 v189, null, 0, v38, vcc_lo
	v_cmp_gt_i64_e32 vcc_lo, s[8:9], v[188:189]
	s_and_b32 s31, s1, vcc_lo
	s_and_saveexec_b32 s30, s31
	s_cbranch_execz .LBB61_40
; %bb.39:                               ;   in Loop: Header=BB61_3 Depth=1
	v_add_co_u32 v188, vcc_lo, v103, v35
	v_add_co_ci_u32_e64 v189, null, v104, v36, vcc_lo
	v_add_co_u32 v190, vcc_lo, v105, v35
	v_add_co_ci_u32_e64 v191, null, v106, v36, vcc_lo
	global_load_dword v19, v[188:189], off
	global_load_dword v186, v[190:191], off
.LBB61_40:                              ;   in Loop: Header=BB61_3 Depth=1
	s_or_b32 exec_lo, exec_lo, s30
	v_add_co_u32 v188, vcc_lo, v37, 17
	v_add_co_ci_u32_e64 v189, null, 0, v38, vcc_lo
	v_cmp_gt_i64_e32 vcc_lo, s[8:9], v[188:189]
	v_mov_b32_e32 v188, 0
	;; [unrolled: 32-line block ×3, first 2 shown]
	v_mov_b32_e32 v191, 0
	s_and_b32 s31, s1, vcc_lo
	s_and_saveexec_b32 s30, s31
	s_cbranch_execz .LBB61_46
; %bb.45:                               ;   in Loop: Header=BB61_3 Depth=1
	v_add_co_u32 v191, vcc_lo, v91, v35
	v_add_co_ci_u32_e64 v192, null, v92, v36, vcc_lo
	v_add_co_u32 v194, vcc_lo, v93, v35
	v_add_co_ci_u32_e64 v195, null, v94, v36, vcc_lo
	global_load_dword v22, v[191:192], off
	global_load_dword v191, v[194:195], off
.LBB61_46:                              ;   in Loop: Header=BB61_3 Depth=1
	s_or_b32 exec_lo, exec_lo, s30
	v_add_co_u32 v194, vcc_lo, v37, 20
	v_add_co_ci_u32_e64 v195, null, 0, v38, vcc_lo
	v_cmp_gt_i64_e32 vcc_lo, s[8:9], v[194:195]
	s_and_b32 s31, s1, vcc_lo
	s_and_saveexec_b32 s30, s31
	s_cbranch_execz .LBB61_48
; %bb.47:                               ;   in Loop: Header=BB61_3 Depth=1
	v_add_co_u32 v194, vcc_lo, v87, v35
	v_add_co_ci_u32_e64 v195, null, v88, v36, vcc_lo
	v_add_co_u32 v196, vcc_lo, v89, v35
	v_add_co_ci_u32_e64 v197, null, v90, v36, vcc_lo
	global_load_dword v23, v[194:195], off
	global_load_dword v190, v[196:197], off
.LBB61_48:                              ;   in Loop: Header=BB61_3 Depth=1
	s_or_b32 exec_lo, exec_lo, s30
	v_add_co_u32 v194, vcc_lo, v37, 21
	v_add_co_ci_u32_e64 v195, null, 0, v38, vcc_lo
	v_mov_b32_e32 v192, 0
	v_cmp_gt_i64_e32 vcc_lo, s[8:9], v[194:195]
	v_mov_b32_e32 v194, 0
	s_and_b32 s31, s1, vcc_lo
	s_and_saveexec_b32 s30, s31
	s_cbranch_execz .LBB61_50
; %bb.49:                               ;   in Loop: Header=BB61_3 Depth=1
	v_add_co_u32 v194, vcc_lo, v83, v35
	v_add_co_ci_u32_e64 v195, null, v84, v36, vcc_lo
	v_add_co_u32 v196, vcc_lo, v85, v35
	v_add_co_ci_u32_e64 v197, null, v86, v36, vcc_lo
	global_load_dword v24, v[194:195], off
	global_load_dword v194, v[196:197], off
.LBB61_50:                              ;   in Loop: Header=BB61_3 Depth=1
	s_or_b32 exec_lo, exec_lo, s30
	v_add_co_u32 v195, vcc_lo, v37, 22
	v_add_co_ci_u32_e64 v196, null, 0, v38, vcc_lo
	v_cmp_gt_i64_e32 vcc_lo, s[8:9], v[195:196]
	s_and_b32 s31, s1, vcc_lo
	s_and_saveexec_b32 s30, s31
	s_cbranch_execz .LBB61_52
; %bb.51:                               ;   in Loop: Header=BB61_3 Depth=1
	v_add_co_u32 v195, vcc_lo, v79, v35
	v_add_co_ci_u32_e64 v196, null, v80, v36, vcc_lo
	v_add_co_u32 v197, vcc_lo, v81, v35
	v_add_co_ci_u32_e64 v198, null, v82, v36, vcc_lo
	global_load_dword v25, v[195:196], off
	global_load_dword v192, v[197:198], off
.LBB61_52:                              ;   in Loop: Header=BB61_3 Depth=1
	s_or_b32 exec_lo, exec_lo, s30
	v_add_co_u32 v195, vcc_lo, v37, 23
	v_add_co_ci_u32_e64 v196, null, 0, v38, vcc_lo
	v_cmp_gt_i64_e32 vcc_lo, s[8:9], v[195:196]
	v_mov_b32_e32 v195, 0
	v_mov_b32_e32 v196, 0
	s_and_b32 s31, s1, vcc_lo
	s_and_saveexec_b32 s30, s31
	s_cbranch_execz .LBB61_54
; %bb.53:                               ;   in Loop: Header=BB61_3 Depth=1
	v_add_co_u32 v196, vcc_lo, v75, v35
	v_add_co_ci_u32_e64 v197, null, v76, v36, vcc_lo
	v_add_co_u32 v198, vcc_lo, v77, v35
	v_add_co_ci_u32_e64 v199, null, v78, v36, vcc_lo
	global_load_dword v26, v[196:197], off
	global_load_dword v196, v[198:199], off
.LBB61_54:                              ;   in Loop: Header=BB61_3 Depth=1
	s_or_b32 exec_lo, exec_lo, s30
	v_add_co_u32 v197, vcc_lo, v37, 24
	v_add_co_ci_u32_e64 v198, null, 0, v38, vcc_lo
	v_cmp_gt_i64_e32 vcc_lo, s[8:9], v[197:198]
	s_and_b32 s31, s1, vcc_lo
	s_and_saveexec_b32 s30, s31
	s_cbranch_execz .LBB61_56
; %bb.55:                               ;   in Loop: Header=BB61_3 Depth=1
	v_add_co_u32 v197, vcc_lo, v71, v35
	v_add_co_ci_u32_e64 v198, null, v72, v36, vcc_lo
	v_add_co_u32 v199, vcc_lo, v73, v35
	v_add_co_ci_u32_e64 v200, null, v74, v36, vcc_lo
	global_load_dword v27, v[197:198], off
	global_load_dword v195, v[199:200], off
.LBB61_56:                              ;   in Loop: Header=BB61_3 Depth=1
	s_or_b32 exec_lo, exec_lo, s30
	v_add_co_u32 v197, vcc_lo, v37, 25
	v_add_co_ci_u32_e64 v198, null, 0, v38, vcc_lo
	v_cmp_gt_i64_e32 vcc_lo, s[8:9], v[197:198]
	v_mov_b32_e32 v197, 0
	;; [unrolled: 32-line block ×4, first 2 shown]
	v_mov_b32_e32 v202, 0
	s_and_b32 s31, s1, vcc_lo
	s_and_saveexec_b32 s30, s31
	s_cbranch_execz .LBB61_66
; %bb.65:                               ;   in Loop: Header=BB61_3 Depth=1
	v_add_co_u32 v202, vcc_lo, v53, v35
	v_add_co_ci_u32_e64 v203, null, v54, v36, vcc_lo
	v_add_co_u32 v204, vcc_lo, v55, v35
	v_add_co_ci_u32_e64 v205, null, v56, v36, vcc_lo
	global_load_dword v32, v[202:203], off
	global_load_dword v202, v[204:205], off
.LBB61_66:                              ;   in Loop: Header=BB61_3 Depth=1
	s_or_b32 exec_lo, exec_lo, s30
	v_add_co_u32 v203, vcc_lo, v37, 30
	v_add_co_ci_u32_e64 v204, null, 0, v38, vcc_lo
	v_cmp_gt_i64_e32 vcc_lo, s[8:9], v[203:204]
	s_and_b32 s31, s1, vcc_lo
	s_and_saveexec_b32 s30, s31
	s_cbranch_execz .LBB61_68
; %bb.67:                               ;   in Loop: Header=BB61_3 Depth=1
	v_add_co_u32 v203, vcc_lo, v49, v35
	v_add_co_ci_u32_e64 v204, null, v50, v36, vcc_lo
	v_add_co_u32 v205, vcc_lo, v51, v35
	v_add_co_ci_u32_e64 v206, null, v52, v36, vcc_lo
	global_load_dword v33, v[203:204], off
	global_load_dword v201, v[205:206], off
.LBB61_68:                              ;   in Loop: Header=BB61_3 Depth=1
	s_or_b32 exec_lo, exec_lo, s30
	v_add_co_u32 v203, vcc_lo, v37, 31
	v_add_co_ci_u32_e64 v204, null, 0, v38, vcc_lo
	v_mov_b32_e32 v184, 0
	v_cmp_gt_i64_e32 vcc_lo, s[8:9], v[203:204]
	s_and_b32 s31, s1, vcc_lo
	s_and_saveexec_b32 s30, s31
	s_cbranch_execz .LBB61_70
; %bb.69:                               ;   in Loop: Header=BB61_3 Depth=1
	v_add_co_u32 v203, vcc_lo, v45, v35
	v_add_co_ci_u32_e64 v204, null, v46, v36, vcc_lo
	v_add_co_u32 v205, vcc_lo, v47, v35
	v_add_co_ci_u32_e64 v206, null, v48, v36, vcc_lo
	global_load_dword v34, v[203:204], off
	global_load_dword v184, v[205:206], off
.LBB61_70:                              ;   in Loop: Header=BB61_3 Depth=1
	s_or_b32 exec_lo, exec_lo, s30
	s_waitcnt vmcnt(1)
	ds_bpermute_b32 v168, v2, v169
	ds_bpermute_b32 v206, v2, v169 offset:4
	s_waitcnt vmcnt(0)
	ds_bpermute_b32 v203, v2, v170
	ds_bpermute_b32 v208, v2, v169 offset:8
	ds_bpermute_b32 v205, v2, v170 offset:4
	;; [unrolled: 1-line block ×5, first 2 shown]
	v_add_f32_e32 v204, v230, v3
	ds_bpermute_b32 v209, v2, v170 offset:12
	ds_bpermute_b32 v214, v2, v169 offset:20
	;; [unrolled: 1-line block ×11, first 2 shown]
	s_waitcnt lgkmcnt(18)
	v_sub_f32_e32 v165, v165, v168
	s_waitcnt lgkmcnt(17)
	v_sub_f32_e32 v168, v172, v206
	ds_bpermute_b32 v224, v2, v169 offset:40
	s_waitcnt lgkmcnt(16)
	v_sub_f32_e32 v171, v171, v208
	ds_bpermute_b32 v221, v2, v170 offset:36
	v_mul_f32_e32 v3, v3, v165
	v_mul_f32_e32 v206, v4, v168
	v_add_f32_e32 v4, v4, v204
	s_waitcnt lgkmcnt(15)
	v_sub_f32_e32 v174, v174, v210
	v_mul_f32_e32 v171, v5, v171
	v_fma_f32 v168, v3, v203, v193
	ds_bpermute_b32 v172, v2, v169 offset:44
	v_add_f32_e32 v4, v5, v4
	s_waitcnt lgkmcnt(14)
	v_sub_f32_e32 v5, v173, v212
	v_mul_f32_e32 v173, v6, v174
	v_fmac_f32_e32 v168, v206, v205
	s_waitcnt lgkmcnt(8)
	v_sub_f32_e32 v174, v178, v218
	v_add_f32_e32 v4, v6, v4
	v_sub_f32_e32 v6, v176, v214
	v_mul_f32_e32 v5, v7, v5
	v_fmac_f32_e32 v168, v171, v207
	ds_bpermute_b32 v223, v2, v170 offset:40
	v_add_f32_e32 v4, v7, v4
	v_sub_f32_e32 v7, v175, v216
	v_mul_f32_e32 v6, v8, v6
	v_fmac_f32_e32 v168, v173, v209
	ds_bpermute_b32 v203, v2, v169 offset:48
	v_add_f32_e32 v4, v8, v4
	v_mul_f32_e32 v7, v9, v7
	s_waitcnt lgkmcnt(8)
	v_sub_f32_e32 v8, v177, v220
	v_fmac_f32_e32 v168, v5, v211
	v_mul_f32_e32 v174, v10, v174
	ds_bpermute_b32 v165, v2, v170 offset:44
	ds_bpermute_b32 v173, v2, v169 offset:52
	v_add_f32_e32 v4, v9, v4
	v_fmac_f32_e32 v168, v6, v213
	s_waitcnt lgkmcnt(8)
	v_sub_f32_e32 v9, v180, v222
	v_mul_f32_e32 v8, v11, v8
	ds_bpermute_b32 v3, v2, v170 offset:48
	ds_bpermute_b32 v6, v2, v169 offset:56
	v_fmac_f32_e32 v168, v7, v215
	v_add_f32_e32 v4, v10, v4
	v_mul_f32_e32 v9, v12, v9
	ds_bpermute_b32 v171, v2, v170 offset:52
	ds_bpermute_b32 v10, v2, v169 offset:60
	v_fmac_f32_e32 v168, v174, v217
	s_waitcnt lgkmcnt(10)
	v_sub_f32_e32 v174, v179, v224
	v_add_f32_e32 v4, v11, v4
	s_waitcnt lgkmcnt(8)
	v_sub_f32_e32 v11, v182, v172
	ds_bpermute_b32 v5, v2, v170 offset:56
	v_fmac_f32_e32 v168, v8, v219
	v_mul_f32_e32 v172, v13, v174
	v_add_f32_e32 v4, v12, v4
	s_waitcnt lgkmcnt(7)
	v_sub_f32_e32 v12, v181, v203
	v_mul_f32_e32 v11, v14, v11
	v_fmac_f32_e32 v168, v9, v221
	ds_bpermute_b32 v9, v2, v169 offset:64
	ds_bpermute_b32 v7, v2, v170 offset:60
	v_add_f32_e32 v4, v13, v4
	ds_bpermute_b32 v13, v2, v169 offset:68
	v_fmac_f32_e32 v168, v172, v223
	s_waitcnt lgkmcnt(8)
	v_sub_f32_e32 v172, v185, v173
	v_mul_f32_e32 v12, v15, v12
	ds_bpermute_b32 v8, v2, v170 offset:64
	v_add_f32_e32 v4, v14, v4
	v_fmac_f32_e32 v168, v11, v165
	ds_bpermute_b32 v11, v2, v169 offset:72
	s_waitcnt lgkmcnt(8)
	v_sub_f32_e32 v6, v183, v6
	v_mul_f32_e32 v14, v16, v172
	s_waitcnt lgkmcnt(6)
	v_sub_f32_e32 v10, v187, v10
	v_fmac_f32_e32 v168, v12, v3
	ds_bpermute_b32 v3, v2, v170 offset:68
	v_mul_f32_e32 v6, v17, v6
	ds_bpermute_b32 v12, v2, v170 offset:72
	v_mul_f32_e32 v10, v18, v10
	v_fmac_f32_e32 v168, v14, v171
	ds_bpermute_b32 v14, v2, v169 offset:76
	v_add_f32_e32 v4, v15, v4
	ds_bpermute_b32 v165, v2, v170 offset:124
	s_mov_b32 s30, 0
	s_waitcnt lgkmcnt(9)
	v_fmac_f32_e32 v168, v6, v5
	s_waitcnt lgkmcnt(8)
	v_sub_f32_e32 v5, v186, v9
	ds_bpermute_b32 v6, v2, v169 offset:80
	s_waitcnt lgkmcnt(7)
	v_sub_f32_e32 v9, v189, v13
	v_add_f32_e32 v4, v16, v4
	v_fmac_f32_e32 v168, v10, v7
	v_mul_f32_e32 v5, v19, v5
	ds_bpermute_b32 v7, v2, v170 offset:76
	v_mul_f32_e32 v9, v20, v9
	s_waitcnt lgkmcnt(6)
	v_sub_f32_e32 v10, v188, v11
	ds_bpermute_b32 v11, v2, v169 offset:84
	v_fmac_f32_e32 v168, v5, v8
	v_add_f32_e32 v4, v17, v4
	ds_bpermute_b32 v5, v2, v170 offset:80
	v_mul_f32_e32 v8, v21, v10
	ds_bpermute_b32 v10, v2, v170 offset:84
	s_waitcnt lgkmcnt(8)
	v_fmac_f32_e32 v168, v9, v3
	s_waitcnt lgkmcnt(6)
	v_sub_f32_e32 v3, v191, v14
	ds_bpermute_b32 v9, v2, v169 offset:88
	v_add_f32_e32 v4, v18, v4
	v_fmac_f32_e32 v168, v8, v12
	v_mul_f32_e32 v3, v22, v3
	ds_bpermute_b32 v8, v2, v169 offset:92
	v_add_f32_e32 v4, v19, v4
	s_waitcnt lgkmcnt(6)
	v_sub_f32_e32 v6, v190, v6
	ds_bpermute_b32 v12, v2, v170 offset:116
	s_waitcnt lgkmcnt(6)
	v_fmac_f32_e32 v168, v3, v7
	ds_bpermute_b32 v3, v2, v170 offset:88
	v_add_f32_e32 v4, v20, v4
	v_mul_f32_e32 v6, v23, v6
	s_waitcnt lgkmcnt(6)
	v_sub_f32_e32 v7, v194, v11
	ds_bpermute_b32 v11, v2, v169 offset:96
	v_add_f32_e32 v4, v21, v4
	s_waitcnt lgkmcnt(6)
	v_fmac_f32_e32 v168, v6, v5
	ds_bpermute_b32 v5, v2, v170 offset:92
	v_mul_f32_e32 v6, v24, v7
	s_waitcnt lgkmcnt(5)
	v_sub_f32_e32 v7, v192, v9
	ds_bpermute_b32 v9, v2, v169 offset:100
	v_add_f32_e32 v4, v22, v4
	v_fmac_f32_e32 v168, v6, v10
	ds_bpermute_b32 v6, v2, v170 offset:96
	v_mul_f32_e32 v7, v25, v7
	ds_bpermute_b32 v10, v2, v169 offset:104
	v_add_f32_e32 v4, v23, v4
	s_waitcnt lgkmcnt(7)
	v_sub_f32_e32 v8, v196, v8
	s_waitcnt lgkmcnt(5)
	v_fmac_f32_e32 v168, v7, v3
	ds_bpermute_b32 v3, v2, v170 offset:100
	v_add_f32_e32 v4, v24, v4
	v_mul_f32_e32 v7, v26, v8
	s_waitcnt lgkmcnt(5)
	v_sub_f32_e32 v8, v195, v11
	ds_bpermute_b32 v11, v2, v169 offset:108
	v_add_f32_e32 v4, v25, v4
	s_waitcnt lgkmcnt(5)
	v_fmac_f32_e32 v168, v7, v5
	v_mul_f32_e32 v5, v27, v8
	ds_bpermute_b32 v7, v2, v170 offset:104
	s_waitcnt lgkmcnt(5)
	v_sub_f32_e32 v8, v198, v9
	ds_bpermute_b32 v9, v2, v169 offset:112
	v_add_f32_e32 v4, v26, v4
	s_waitcnt lgkmcnt(5)
	v_fmac_f32_e32 v168, v5, v6
	ds_bpermute_b32 v5, v2, v170 offset:108
	v_mul_f32_e32 v6, v28, v8
	s_waitcnt lgkmcnt(5)
	v_sub_f32_e32 v8, v197, v10
	ds_bpermute_b32 v10, v2, v169 offset:116
	v_add_f32_e32 v4, v27, v4
	s_waitcnt lgkmcnt(5)
	v_fmac_f32_e32 v168, v6, v3
	ds_bpermute_b32 v6, v2, v170 offset:112
	v_mul_f32_e32 v3, v29, v8
	ds_bpermute_b32 v8, v2, v169 offset:120
	s_waitcnt lgkmcnt(6)
	v_sub_f32_e32 v11, v200, v11
	v_add_f32_e32 v4, v28, v4
	s_waitcnt lgkmcnt(5)
	v_fmac_f32_e32 v168, v3, v7
	v_mul_f32_e32 v3, v30, v11
	v_add_f32_e32 v4, v29, v4
	s_waitcnt lgkmcnt(4)
	v_sub_f32_e32 v7, v199, v9
	ds_bpermute_b32 v9, v2, v170 offset:120
	s_waitcnt lgkmcnt(4)
	v_fmac_f32_e32 v168, v3, v5
	v_add_f32_e32 v4, v30, v4
	v_mul_f32_e32 v5, v31, v7
	s_waitcnt lgkmcnt(3)
	v_sub_f32_e32 v7, v202, v10
	ds_bpermute_b32 v3, v2, v169 offset:124
	v_add_f32_e32 v4, v31, v4
	s_waitcnt lgkmcnt(3)
	v_fmac_f32_e32 v168, v5, v6
	v_mul_f32_e32 v5, v32, v7
	s_waitcnt lgkmcnt(2)
	v_sub_f32_e32 v6, v201, v8
	v_add_f32_e32 v4, v32, v4
	v_fmac_f32_e32 v168, v5, v12
	v_mul_f32_e32 v5, v33, v6
	v_add_f32_e32 v4, v33, v4
	s_waitcnt lgkmcnt(1)
	v_fmac_f32_e32 v168, v5, v9
.LBB61_71:                              ;   in Loop: Header=BB61_3 Depth=1
	s_and_b32 vcc_lo, exec_lo, s30
	s_cbranch_vccz .LBB61_137
; %bb.72:                               ;   in Loop: Header=BB61_3 Depth=1
	s_load_dword s30, s[22:23], 0x0
	v_mov_b32_e32 v165, 0
	s_waitcnt lgkmcnt(0)
	s_cmp_lt_u32 s6, s30
	s_cselect_b32 s30, 12, 18
	s_add_u32 s30, s22, s30
	s_addc_u32 s31, s23, 0
	global_load_ushort v3, v2, s[30:31]
	s_mov_b32 s30, exec_lo
	s_waitcnt vmcnt(0)
	v_mad_u32_u24 v3, v1, v3, v228
	v_and_b32_e32 v3, 31, v3
	v_add_co_u32 v3, vcc_lo, v37, v3
	v_add_co_ci_u32_e64 v4, null, 0, v38, vcc_lo
	v_mov_b32_e32 v38, 0
	v_mov_b32_e32 v37, 0
	v_cmpx_gt_i64_e64 s[8:9], v[3:4]
	s_cbranch_execz .LBB61_74
; %bb.73:                               ;   in Loop: Header=BB61_3 Depth=1
	v_lshlrev_b64 v[3:4], 2, v[3:4]
	v_add_co_u32 v5, vcc_lo, s16, v3
	v_add_co_ci_u32_e64 v6, null, s17, v4, vcc_lo
	v_add_co_u32 v3, vcc_lo, s18, v3
	v_add_co_ci_u32_e64 v4, null, s19, v4, vcc_lo
	global_load_dword v37, v[5:6], off
	global_load_dword v38, v[3:4], off
.LBB61_74:                              ;   in Loop: Header=BB61_3 Depth=1
	s_or_b32 exec_lo, exec_lo, s30
	v_mov_b32_e32 v33, v2
	v_mov_b32_e32 v3, v2
	;; [unrolled: 1-line block ×63, first 2 shown]
	s_and_saveexec_b32 s30, s1
	s_cbranch_execz .LBB61_76
; %bb.75:                               ;   in Loop: Header=BB61_3 Depth=1
	v_add_co_u32 v3, vcc_lo, v41, v35
	v_add_co_ci_u32_e64 v4, null, v42, v36, vcc_lo
	v_add_co_u32 v5, vcc_lo, v43, v35
	v_add_co_ci_u32_e64 v6, null, v44, v36, vcc_lo
	global_load_dword v3, v[3:4], off
	global_load_dword v165, v[5:6], off
	v_mov_b32_e32 v4, v2
	v_mov_b32_e32 v5, v2
	;; [unrolled: 1-line block ×31, first 2 shown]
.LBB61_76:                              ;   in Loop: Header=BB61_3 Depth=1
	s_or_b32 exec_lo, exec_lo, s30
	v_mov_b32_e32 v169, 0
	v_mov_b32_e32 v170, 0
	s_and_saveexec_b32 s30, s1
	s_cbranch_execz .LBB61_78
; %bb.77:                               ;   in Loop: Header=BB61_3 Depth=1
	v_add_co_u32 v170, vcc_lo, v163, v35
	v_add_co_ci_u32_e64 v171, null, v164, v36, vcc_lo
	v_add_co_u32 v172, vcc_lo, v166, v35
	v_add_co_ci_u32_e64 v173, null, v167, v36, vcc_lo
	global_load_dword v4, v[170:171], off
	global_load_dword v170, v[172:173], off
.LBB61_78:                              ;   in Loop: Header=BB61_3 Depth=1
	s_or_b32 exec_lo, exec_lo, s30
	s_and_saveexec_b32 s30, s1
	s_cbranch_execz .LBB61_80
; %bb.79:                               ;   in Loop: Header=BB61_3 Depth=1
	v_add_co_u32 v168, vcc_lo, v159, v35
	v_add_co_ci_u32_e64 v169, null, v160, v36, vcc_lo
	v_add_co_u32 v171, vcc_lo, v161, v35
	v_add_co_ci_u32_e64 v172, null, v162, v36, vcc_lo
	global_load_dword v5, v[168:169], off
	global_load_dword v169, v[171:172], off
.LBB61_80:                              ;   in Loop: Header=BB61_3 Depth=1
	s_or_b32 exec_lo, exec_lo, s30
	v_mov_b32_e32 v171, 0
	v_mov_b32_e32 v172, 0
	s_and_saveexec_b32 s30, s1
	s_cbranch_execz .LBB61_82
; %bb.81:                               ;   in Loop: Header=BB61_3 Depth=1
	v_add_co_u32 v172, vcc_lo, v155, v35
	v_add_co_ci_u32_e64 v173, null, v156, v36, vcc_lo
	v_add_co_u32 v174, vcc_lo, v157, v35
	v_add_co_ci_u32_e64 v175, null, v158, v36, vcc_lo
	global_load_dword v6, v[172:173], off
	global_load_dword v172, v[174:175], off
.LBB61_82:                              ;   in Loop: Header=BB61_3 Depth=1
	s_or_b32 exec_lo, exec_lo, s30
	s_and_saveexec_b32 s30, s1
	s_cbranch_execz .LBB61_84
; %bb.83:                               ;   in Loop: Header=BB61_3 Depth=1
	v_add_co_u32 v173, vcc_lo, v151, v35
	v_add_co_ci_u32_e64 v174, null, v152, v36, vcc_lo
	v_add_co_u32 v175, vcc_lo, v153, v35
	v_add_co_ci_u32_e64 v176, null, v154, v36, vcc_lo
	global_load_dword v7, v[173:174], off
	global_load_dword v171, v[175:176], off
.LBB61_84:                              ;   in Loop: Header=BB61_3 Depth=1
	;; [unrolled: 24-line block ×5, first 2 shown]
	s_or_b32 exec_lo, exec_lo, s30
	v_mov_b32_e32 v179, 0
	v_mov_b32_e32 v180, 0
	s_and_saveexec_b32 s30, s1
	s_cbranch_execz .LBB61_98
; %bb.97:                               ;   in Loop: Header=BB61_3 Depth=1
	v_add_co_u32 v180, vcc_lo, v123, v35
	v_add_co_ci_u32_e64 v181, null, v124, v36, vcc_lo
	v_add_co_u32 v182, vcc_lo, v125, v35
	v_add_co_ci_u32_e64 v183, null, v126, v36, vcc_lo
	global_load_dword v14, v[180:181], off
	global_load_dword v180, v[182:183], off
.LBB61_98:                              ;   in Loop: Header=BB61_3 Depth=1
	s_or_b32 exec_lo, exec_lo, s30
	s_and_saveexec_b32 s30, s1
	s_cbranch_execz .LBB61_100
; %bb.99:                               ;   in Loop: Header=BB61_3 Depth=1
	v_add_co_u32 v181, vcc_lo, v119, v35
	v_add_co_ci_u32_e64 v182, null, v120, v36, vcc_lo
	v_add_co_u32 v183, vcc_lo, v121, v35
	v_add_co_ci_u32_e64 v184, null, v122, v36, vcc_lo
	global_load_dword v15, v[181:182], off
	global_load_dword v179, v[183:184], off
.LBB61_100:                             ;   in Loop: Header=BB61_3 Depth=1
	s_or_b32 exec_lo, exec_lo, s30
	v_mov_b32_e32 v181, 0
	v_mov_b32_e32 v182, 0
	s_and_saveexec_b32 s30, s1
	s_cbranch_execz .LBB61_102
; %bb.101:                              ;   in Loop: Header=BB61_3 Depth=1
	v_add_co_u32 v182, vcc_lo, v115, v35
	v_add_co_ci_u32_e64 v183, null, v116, v36, vcc_lo
	v_add_co_u32 v184, vcc_lo, v117, v35
	v_add_co_ci_u32_e64 v185, null, v118, v36, vcc_lo
	global_load_dword v16, v[182:183], off
	global_load_dword v182, v[184:185], off
.LBB61_102:                             ;   in Loop: Header=BB61_3 Depth=1
	s_or_b32 exec_lo, exec_lo, s30
	s_and_saveexec_b32 s30, s1
	s_cbranch_execz .LBB61_104
; %bb.103:                              ;   in Loop: Header=BB61_3 Depth=1
	v_add_co_u32 v183, vcc_lo, v111, v35
	v_add_co_ci_u32_e64 v184, null, v112, v36, vcc_lo
	v_add_co_u32 v185, vcc_lo, v113, v35
	v_add_co_ci_u32_e64 v186, null, v114, v36, vcc_lo
	global_load_dword v17, v[183:184], off
	global_load_dword v181, v[185:186], off
.LBB61_104:                             ;   in Loop: Header=BB61_3 Depth=1
	s_or_b32 exec_lo, exec_lo, s30
	v_mov_b32_e32 v183, 0
	v_mov_b32_e32 v185, 0
	s_and_saveexec_b32 s30, s1
	s_cbranch_execz .LBB61_106
; %bb.105:                              ;   in Loop: Header=BB61_3 Depth=1
	v_add_co_u32 v184, vcc_lo, v107, v35
	v_add_co_ci_u32_e64 v185, null, v108, v36, vcc_lo
	v_add_co_u32 v186, vcc_lo, v109, v35
	v_add_co_ci_u32_e64 v187, null, v110, v36, vcc_lo
	global_load_dword v18, v[184:185], off
	global_load_dword v185, v[186:187], off
.LBB61_106:                             ;   in Loop: Header=BB61_3 Depth=1
	s_or_b32 exec_lo, exec_lo, s30
	s_and_saveexec_b32 s30, s1
	s_cbranch_execz .LBB61_108
; %bb.107:                              ;   in Loop: Header=BB61_3 Depth=1
	v_add_co_u32 v183, vcc_lo, v103, v35
	v_add_co_ci_u32_e64 v184, null, v104, v36, vcc_lo
	v_add_co_u32 v186, vcc_lo, v105, v35
	v_add_co_ci_u32_e64 v187, null, v106, v36, vcc_lo
	global_load_dword v19, v[183:184], off
	global_load_dword v183, v[186:187], off
.LBB61_108:                             ;   in Loop: Header=BB61_3 Depth=1
	;; [unrolled: 24-line block ×8, first 2 shown]
	s_or_b32 exec_lo, exec_lo, s30
	v_mov_b32_e32 v198, 0
	v_mov_b32_e32 v199, 0
	s_and_saveexec_b32 s30, s1
	s_cbranch_execnz .LBB61_139
; %bb.133:                              ;   in Loop: Header=BB61_3 Depth=1
	s_or_b32 exec_lo, exec_lo, s30
	s_and_saveexec_b32 s30, s1
	s_cbranch_execnz .LBB61_140
.LBB61_134:                             ;   in Loop: Header=BB61_3 Depth=1
	s_or_b32 exec_lo, exec_lo, s30
	v_mov_b32_e32 v184, 0
	s_and_saveexec_b32 s30, s1
	s_cbranch_execz .LBB61_136
.LBB61_135:                             ;   in Loop: Header=BB61_3 Depth=1
	v_add_co_u32 v200, vcc_lo, v45, v35
	v_add_co_ci_u32_e64 v201, null, v46, v36, vcc_lo
	v_add_co_u32 v202, vcc_lo, v47, v35
	v_add_co_ci_u32_e64 v203, null, v48, v36, vcc_lo
	global_load_dword v34, v[200:201], off
	global_load_dword v184, v[202:203], off
.LBB61_136:                             ;   in Loop: Header=BB61_3 Depth=1
	s_or_b32 exec_lo, exec_lo, s30
	s_waitcnt vmcnt(1)
	ds_bpermute_b32 v200, v2, v37
	ds_bpermute_b32 v204, v2, v37 offset:4
	s_waitcnt vmcnt(0)
	ds_bpermute_b32 v201, v2, v38
	ds_bpermute_b32 v206, v2, v37 offset:8
	ds_bpermute_b32 v203, v2, v38 offset:4
	;; [unrolled: 1-line block ×5, first 2 shown]
	v_add_f32_e32 v202, v230, v3
	ds_bpermute_b32 v207, v2, v38 offset:12
	ds_bpermute_b32 v212, v2, v37 offset:20
	;; [unrolled: 1-line block ×11, first 2 shown]
	s_waitcnt lgkmcnt(18)
	v_sub_f32_e32 v165, v165, v200
	s_waitcnt lgkmcnt(17)
	v_sub_f32_e32 v170, v170, v204
	ds_bpermute_b32 v200, v2, v37 offset:36
	s_waitcnt lgkmcnt(16)
	v_sub_f32_e32 v169, v169, v206
	ds_bpermute_b32 v219, v2, v38 offset:36
	v_mul_f32_e32 v3, v3, v165
	v_mul_f32_e32 v170, v4, v170
	v_add_f32_e32 v4, v4, v202
	s_waitcnt lgkmcnt(15)
	v_sub_f32_e32 v172, v172, v208
	v_mul_f32_e32 v169, v5, v169
	v_fmac_f32_e32 v193, v3, v201
	ds_bpermute_b32 v204, v2, v37 offset:44
	v_add_f32_e32 v4, v5, v4
	s_waitcnt lgkmcnt(14)
	v_sub_f32_e32 v5, v171, v210
	v_mul_f32_e32 v171, v6, v172
	v_fmac_f32_e32 v193, v170, v203
	s_waitcnt lgkmcnt(8)
	v_sub_f32_e32 v172, v176, v216
	v_add_f32_e32 v4, v6, v4
	v_sub_f32_e32 v6, v174, v212
	v_mul_f32_e32 v5, v7, v5
	v_fmac_f32_e32 v193, v169, v205
	ds_bpermute_b32 v220, v2, v38 offset:40
	v_add_f32_e32 v4, v7, v4
	v_sub_f32_e32 v7, v173, v214
	v_mul_f32_e32 v6, v8, v6
	v_fmac_f32_e32 v193, v171, v207
	ds_bpermute_b32 v170, v2, v37 offset:48
	v_add_f32_e32 v4, v8, v4
	v_mul_f32_e32 v7, v9, v7
	s_waitcnt lgkmcnt(8)
	v_sub_f32_e32 v8, v175, v218
	v_fmac_f32_e32 v193, v5, v209
	v_mul_f32_e32 v172, v10, v172
	ds_bpermute_b32 v165, v2, v38 offset:44
	ds_bpermute_b32 v171, v2, v37 offset:52
	v_add_f32_e32 v4, v9, v4
	v_fmac_f32_e32 v193, v6, v211
	s_waitcnt lgkmcnt(6)
	v_sub_f32_e32 v9, v178, v200
	v_mul_f32_e32 v8, v11, v8
	ds_bpermute_b32 v3, v2, v38 offset:48
	ds_bpermute_b32 v6, v2, v37 offset:56
	v_fmac_f32_e32 v193, v7, v213
	v_add_f32_e32 v4, v10, v4
	v_mul_f32_e32 v9, v12, v9
	ds_bpermute_b32 v169, v2, v38 offset:52
	ds_bpermute_b32 v10, v2, v37 offset:60
	v_fmac_f32_e32 v193, v172, v215
	v_sub_f32_e32 v172, v177, v221
	v_add_f32_e32 v4, v11, v4
	s_waitcnt lgkmcnt(8)
	v_sub_f32_e32 v11, v180, v204
	ds_bpermute_b32 v5, v2, v38 offset:56
	v_fmac_f32_e32 v193, v8, v217
	v_mul_f32_e32 v172, v13, v172
	v_add_f32_e32 v4, v12, v4
	s_waitcnt lgkmcnt(7)
	v_sub_f32_e32 v12, v179, v170
	v_mul_f32_e32 v11, v14, v11
	v_fmac_f32_e32 v193, v9, v219
	ds_bpermute_b32 v9, v2, v37 offset:64
	ds_bpermute_b32 v7, v2, v38 offset:60
	v_add_f32_e32 v4, v13, v4
	ds_bpermute_b32 v13, v2, v37 offset:68
	v_fmac_f32_e32 v193, v172, v220
	s_waitcnt lgkmcnt(8)
	v_sub_f32_e32 v170, v182, v171
	v_mul_f32_e32 v12, v15, v12
	ds_bpermute_b32 v8, v2, v38 offset:64
	v_add_f32_e32 v4, v14, v4
	v_fmac_f32_e32 v193, v11, v165
	ds_bpermute_b32 v11, v2, v37 offset:72
	s_waitcnt lgkmcnt(8)
	v_sub_f32_e32 v6, v181, v6
	v_mul_f32_e32 v14, v16, v170
	s_waitcnt lgkmcnt(6)
	v_sub_f32_e32 v10, v185, v10
	v_fmac_f32_e32 v193, v12, v3
	ds_bpermute_b32 v3, v2, v38 offset:68
	v_mul_f32_e32 v6, v17, v6
	ds_bpermute_b32 v12, v2, v38 offset:72
	v_mul_f32_e32 v10, v18, v10
	v_fmac_f32_e32 v193, v14, v169
	ds_bpermute_b32 v14, v2, v37 offset:76
	v_add_f32_e32 v4, v15, v4
	ds_bpermute_b32 v165, v2, v38 offset:124
	s_waitcnt lgkmcnt(9)
	v_fmac_f32_e32 v193, v6, v5
	s_waitcnt lgkmcnt(8)
	v_sub_f32_e32 v5, v183, v9
	ds_bpermute_b32 v9, v2, v37 offset:80
	s_waitcnt lgkmcnt(7)
	v_sub_f32_e32 v6, v168, v13
	v_add_f32_e32 v4, v16, v4
	v_fmac_f32_e32 v193, v10, v7
	v_mul_f32_e32 v5, v19, v5
	ds_bpermute_b32 v7, v2, v38 offset:76
	s_waitcnt lgkmcnt(6)
	v_sub_f32_e32 v10, v186, v11
	ds_bpermute_b32 v11, v2, v37 offset:84
	v_mul_f32_e32 v6, v20, v6
	v_fmac_f32_e32 v193, v5, v8
	ds_bpermute_b32 v5, v2, v38 offset:80
	v_mul_f32_e32 v8, v21, v10
	ds_bpermute_b32 v10, v2, v38 offset:84
	v_add_f32_e32 v4, v17, v4
	s_waitcnt lgkmcnt(8)
	v_fmac_f32_e32 v193, v6, v3
	ds_bpermute_b32 v3, v2, v37 offset:88
	s_waitcnt lgkmcnt(7)
	v_sub_f32_e32 v6, v188, v14
	v_add_f32_e32 v4, v18, v4
	v_fmac_f32_e32 v193, v8, v12
	ds_bpermute_b32 v8, v2, v37 offset:92
	v_mul_f32_e32 v6, v22, v6
	s_waitcnt lgkmcnt(6)
	v_sub_f32_e32 v9, v187, v9
	v_add_f32_e32 v4, v19, v4
	s_waitcnt lgkmcnt(5)
	v_fmac_f32_e32 v193, v6, v7
	ds_bpermute_b32 v6, v2, v38 offset:88
	v_mul_f32_e32 v7, v23, v9
	s_waitcnt lgkmcnt(5)
	v_sub_f32_e32 v9, v190, v11
	ds_bpermute_b32 v11, v2, v37 offset:96
	v_add_f32_e32 v4, v20, v4
	s_waitcnt lgkmcnt(5)
	v_fmac_f32_e32 v193, v7, v5
	ds_bpermute_b32 v5, v2, v38 offset:92
	v_mul_f32_e32 v7, v24, v9
	s_waitcnt lgkmcnt(4)
	v_sub_f32_e32 v3, v189, v3
	ds_bpermute_b32 v9, v2, v37 offset:100
	v_add_f32_e32 v4, v21, v4
	v_fmac_f32_e32 v193, v7, v10
	ds_bpermute_b32 v7, v2, v38 offset:96
	v_mul_f32_e32 v3, v25, v3
	s_waitcnt lgkmcnt(5)
	v_sub_f32_e32 v8, v192, v8
	ds_bpermute_b32 v10, v2, v37 offset:104
	v_add_f32_e32 v4, v22, v4
	s_waitcnt lgkmcnt(5)
	v_fmac_f32_e32 v193, v3, v6
	ds_bpermute_b32 v3, v2, v38 offset:100
	v_mul_f32_e32 v6, v26, v8
	s_waitcnt lgkmcnt(5)
	v_sub_f32_e32 v8, v191, v11
	ds_bpermute_b32 v11, v2, v37 offset:108
	v_add_f32_e32 v4, v23, v4
	s_waitcnt lgkmcnt(5)
	v_fmac_f32_e32 v193, v6, v5
	v_mul_f32_e32 v5, v27, v8
	ds_bpermute_b32 v6, v2, v38 offset:104
	v_add_f32_e32 v4, v24, v4
	s_waitcnt lgkmcnt(5)
	v_sub_f32_e32 v8, v195, v9
	ds_bpermute_b32 v9, v2, v37 offset:112
	s_waitcnt lgkmcnt(5)
	v_fmac_f32_e32 v193, v5, v7
	ds_bpermute_b32 v7, v2, v38 offset:108
	v_add_f32_e32 v4, v25, v4
	v_mul_f32_e32 v5, v28, v8
	s_waitcnt lgkmcnt(5)
	v_sub_f32_e32 v8, v194, v10
	ds_bpermute_b32 v10, v2, v37 offset:116
	v_add_f32_e32 v4, v26, v4
	s_waitcnt lgkmcnt(5)
	v_fmac_f32_e32 v193, v5, v3
	v_mul_f32_e32 v3, v29, v8
	ds_bpermute_b32 v5, v2, v38 offset:112
	s_waitcnt lgkmcnt(5)
	v_sub_f32_e32 v8, v197, v11
	ds_bpermute_b32 v11, v2, v37 offset:120
	v_add_f32_e32 v4, v27, v4
	s_waitcnt lgkmcnt(5)
	v_fmac_f32_e32 v193, v3, v6
	v_mul_f32_e32 v3, v30, v8
	ds_bpermute_b32 v6, v2, v38 offset:116
	v_add_f32_e32 v4, v28, v4
	s_waitcnt lgkmcnt(5)
	v_sub_f32_e32 v8, v196, v9
	s_waitcnt lgkmcnt(4)
	v_fmac_f32_e32 v193, v3, v7
	ds_bpermute_b32 v7, v2, v38 offset:120
	v_add_f32_e32 v4, v29, v4
	v_mul_f32_e32 v3, v31, v8
	s_waitcnt lgkmcnt(4)
	v_sub_f32_e32 v8, v199, v10
	v_add_f32_e32 v4, v30, v4
	s_waitcnt lgkmcnt(3)
	v_fmac_f32_e32 v193, v3, v5
	v_mul_f32_e32 v5, v32, v8
	s_waitcnt lgkmcnt(2)
	v_sub_f32_e32 v8, v198, v11
	ds_bpermute_b32 v3, v2, v37 offset:124
	v_add_f32_e32 v4, v31, v4
	s_waitcnt lgkmcnt(2)
	v_fmac_f32_e32 v193, v5, v6
	v_mul_f32_e32 v5, v33, v8
	v_add_f32_e32 v4, v32, v4
	s_waitcnt lgkmcnt(1)
	v_fmac_f32_e32 v193, v5, v7
	v_add_f32_e32 v4, v33, v4
	v_mov_b32_e32 v168, v193
.LBB61_137:                             ;   in Loop: Header=BB61_3 Depth=1
	v_add_co_u32 v41, vcc_lo, v41, s2
	v_add_co_ci_u32_e64 v42, null, s3, v42, vcc_lo
	v_add_co_u32 v43, vcc_lo, v43, s2
	v_add_co_ci_u32_e64 v44, null, s3, v44, vcc_lo
	;; [unrolled: 2-line block ×59, first 2 shown]
	v_add_co_u32 v157, vcc_lo, v157, s2
	s_waitcnt lgkmcnt(0)
	v_sub_f32_e32 v3, v184, v3
	v_add_co_ci_u32_e64 v158, null, s3, v158, vcc_lo
	v_add_co_u32 v159, vcc_lo, v159, s2
	v_add_co_ci_u32_e64 v160, null, s3, v160, vcc_lo
	v_add_co_u32 v161, vcc_lo, v161, s2
	s_add_u32 s26, s26, s29
	v_add_co_ci_u32_e64 v162, null, s3, v162, vcc_lo
	v_add_co_u32 v163, vcc_lo, v163, s2
	v_mul_f32_e32 v3, v34, v3
	s_addc_u32 s27, s27, 0
	v_add_co_ci_u32_e64 v164, null, s3, v164, vcc_lo
	v_add_co_u32 v166, vcc_lo, v166, s2
	v_cmp_lt_i64_e64 s30, s[26:27], s[8:9]
	v_add_co_ci_u32_e64 v167, null, s3, v167, vcc_lo
	v_add_co_u32 v39, vcc_lo, v39, s29
	v_add_f32_e32 v230, v4, v34
	v_fmac_f32_e32 v168, v3, v165
	v_add_co_ci_u32_e64 v40, null, 0, v40, vcc_lo
	s_add_u32 s24, s24, s29
	s_addc_u32 s25, 0, s25
	s_and_b32 vcc_lo, exec_lo, s30
	s_cbranch_vccz .LBB61_142
; %bb.138:                              ;   in Loop: Header=BB61_3 Depth=1
	v_mov_b32_e32 v193, v168
	s_branch .LBB61_3
.LBB61_139:                             ;   in Loop: Header=BB61_3 Depth=1
	v_add_co_u32 v199, vcc_lo, v53, v35
	v_add_co_ci_u32_e64 v200, null, v54, v36, vcc_lo
	v_add_co_u32 v201, vcc_lo, v55, v35
	v_add_co_ci_u32_e64 v202, null, v56, v36, vcc_lo
	global_load_dword v32, v[199:200], off
	global_load_dword v199, v[201:202], off
	s_or_b32 exec_lo, exec_lo, s30
	s_and_saveexec_b32 s30, s1
	s_cbranch_execz .LBB61_134
.LBB61_140:                             ;   in Loop: Header=BB61_3 Depth=1
	v_add_co_u32 v200, vcc_lo, v49, v35
	v_add_co_ci_u32_e64 v201, null, v50, v36, vcc_lo
	v_add_co_u32 v202, vcc_lo, v51, v35
	v_add_co_ci_u32_e64 v203, null, v52, v36, vcc_lo
	global_load_dword v33, v[200:201], off
	global_load_dword v198, v[202:203], off
	s_or_b32 exec_lo, exec_lo, s30
	v_mov_b32_e32 v184, 0
	s_and_saveexec_b32 s30, s1
	s_cbranch_execnz .LBB61_135
	s_branch .LBB61_136
.LBB61_141:
                                        ; implicit-def: $vgpr230
                                        ; implicit-def: $vgpr168
	s_branch .LBB61_143
.LBB61_142:
	s_cbranch_execnz .LBB61_219
.LBB61_143:
	v_mov_b32_e32 v230, 0
	v_mov_b32_e32 v168, 0
	s_andn2_b32 vcc_lo, exec_lo, s28
	s_cbranch_vccnz .LBB61_219
; %bb.144:
	v_mov_b32_e32 v0, v1
	v_lshlrev_b32_e32 v168, 5, v1
	s_add_u32 s2, s4, 64
	s_addc_u32 s3, s5, 0
	s_lshl_b64 s[22:23], s[20:21], 2
	buffer_store_dword v0, off, s[36:39], 0 offset:300 ; 4-byte Folded Spill
	buffer_store_dword v1, off, s[36:39], 0 offset:304 ; 4-byte Folded Spill
	v_add_co_u32 v0, s1, v168, s20
	v_mov_b32_e32 v230, 0
	buffer_store_dword v228, off, s[36:39], 0 offset:308 ; 4-byte Folded Spill
	v_mul_lo_u32 v6, s11, v0
	v_lshlrev_b32_e32 v2, 7, v1
	v_add_co_ci_u32_e64 v1, null, 0, 0, s1
	v_add_co_u32 v4, s1, v2, s22
	v_add_co_ci_u32_e64 v5, null, 0, s23, s1
	v_mul_lo_u32 v7, s10, v1
	v_add_co_u32 v8, vcc_lo, v4, 4
	v_add_co_ci_u32_e64 v9, null, 0, v5, vcc_lo
	v_mad_u64_u32 v[2:3], null, s10, v0, 0
	v_add_co_u32 v10, vcc_lo, v4, 8
	v_add_co_ci_u32_e64 v12, null, 0, v5, vcc_lo
	v_add_co_u32 v13, vcc_lo, v4, 12
	v_add_co_ci_u32_e64 v14, null, 0, v5, vcc_lo
	;; [unrolled: 2-line block ×4, first 2 shown]
	v_add3_u32 v3, v3, v7, v6
	v_add_co_u32 v6, vcc_lo, v4, 24
	v_mad_u64_u32 v[35:36], null, s10, v8, s[12:13]
	v_mul_lo_u32 v9, s10, v9
	v_mul_lo_u32 v11, s11, v8
	v_mad_u64_u32 v[49:50], null, s10, v8, s[14:15]
	v_add_co_ci_u32_e64 v7, null, 0, v5, vcc_lo
	v_add_co_u32 v23, vcc_lo, v4, 28
	v_mad_u64_u32 v[37:38], null, s10, v10, s[12:13]
	v_mul_lo_u32 v12, s10, v12
	v_mul_lo_u32 v15, s11, v10
	v_mad_u64_u32 v[53:54], null, s10, v10, s[14:15]
	v_add_co_ci_u32_e64 v24, null, 0, v5, vcc_lo
	v_add_co_u32 v26, vcc_lo, v4, 32
	v_add_co_ci_u32_e64 v27, null, 0, v5, vcc_lo
	v_mad_u64_u32 v[45:46], null, s10, v6, s[12:13]
	v_mul_lo_u32 v7, s10, v7
	v_mul_lo_u32 v25, s11, v6
	v_mad_u64_u32 v[63:64], null, s10, v6, s[14:15]
	v_add3_u32 v36, v11, v36, v9
	v_mad_u64_u32 v[47:48], null, s10, v23, s[12:13]
	v_mul_lo_u32 v24, s10, v24
	v_mul_lo_u32 v8, s11, v23
	v_add3_u32 v50, v11, v50, v9
	v_add_co_u32 v9, vcc_lo, v4, 36
	v_mad_u64_u32 v[65:66], null, s10, v23, s[14:15]
	v_add3_u32 v38, v15, v38, v12
	v_mad_u64_u32 v[51:52], null, s10, v26, s[12:13]
	v_add_co_ci_u32_e64 v10, null, 0, v5, vcc_lo
	v_mul_lo_u32 v11, s10, v27
	v_add3_u32 v54, v15, v54, v12
	v_mul_lo_u32 v12, s11, v26
	v_mad_u64_u32 v[67:68], null, s10, v26, s[14:15]
	v_add3_u32 v46, v25, v46, v7
	v_add3_u32 v64, v25, v64, v7
	v_add_co_u32 v7, vcc_lo, v4, 40
	v_mad_u64_u32 v[59:60], null, s10, v9, s[12:13]
	v_mul_lo_u32 v10, s10, v10
	v_mul_lo_u32 v6, s11, v9
	v_mad_u64_u32 v[69:70], null, s10, v9, s[14:15]
	v_add3_u32 v48, v8, v48, v24
	v_add3_u32 v66, v8, v66, v24
	v_add_co_ci_u32_e64 v8, null, 0, v5, vcc_lo
	v_add_co_u32 v9, vcc_lo, v4, 44
	v_add3_u32 v52, v12, v52, v11
	v_add3_u32 v68, v12, v68, v11
	v_add_co_ci_u32_e64 v11, null, 0, v5, vcc_lo
	v_mad_u64_u32 v[71:72], null, s10, v7, s[12:13]
	v_mul_lo_u32 v8, s10, v8
	v_mul_lo_u32 v12, s11, v7
	v_mad_u64_u32 v[73:74], null, s10, v7, s[14:15]
	v_add3_u32 v60, v6, v60, v10
	v_add3_u32 v70, v6, v70, v10
	v_mul_lo_u32 v6, s10, v11
	v_mul_lo_u32 v7, s11, v9
	v_mad_u64_u32 v[75:76], null, s10, v9, s[12:13]
	v_mad_u64_u32 v[77:78], null, s10, v9, s[14:15]
	v_add_co_u32 v9, vcc_lo, v4, 48
	v_add_co_ci_u32_e64 v10, null, 0, v5, vcc_lo
	v_add3_u32 v72, v12, v72, v8
	v_add3_u32 v74, v12, v74, v8
	v_add_co_u32 v8, vcc_lo, v4, 52
	v_add3_u32 v76, v7, v76, v6
	v_add3_u32 v78, v7, v78, v6
	v_mul_lo_u32 v6, s10, v10
	v_add_co_ci_u32_e64 v10, null, 0, v5, vcc_lo
	v_mul_lo_u32 v7, s11, v9
	v_mad_u64_u32 v[79:80], null, s10, v9, s[12:13]
	v_mad_u64_u32 v[81:82], null, s10, v9, s[14:15]
	v_mul_lo_u32 v9, s10, v10
	v_mul_lo_u32 v10, s11, v8
	v_mad_u64_u32 v[83:84], null, s10, v8, s[12:13]
	v_mad_u64_u32 v[85:86], null, s10, v8, s[14:15]
	v_add_co_u32 v8, vcc_lo, v4, 56
	v_add_co_ci_u32_e64 v11, null, 0, v5, vcc_lo
	v_add3_u32 v84, v10, v84, v9
	v_add3_u32 v80, v7, v80, v6
	;; [unrolled: 1-line block ×3, first 2 shown]
	v_add_co_u32 v9, vcc_lo, v4, 60
	v_add_co_ci_u32_e64 v10, null, 0, v5, vcc_lo
	v_add3_u32 v82, v7, v82, v6
	v_mul_lo_u32 v6, s10, v11
	v_mul_lo_u32 v7, s11, v8
	v_mad_u64_u32 v[87:88], null, s10, v8, s[12:13]
	v_mad_u64_u32 v[89:90], null, s10, v8, s[14:15]
	v_mul_lo_u32 v8, s10, v10
	v_mul_lo_u32 v10, s11, v9
	v_mad_u64_u32 v[91:92], null, s10, v9, s[12:13]
	v_mad_u64_u32 v[93:94], null, s10, v9, s[14:15]
	v_add_co_u32 v9, vcc_lo, v4, 64
	v_add_co_ci_u32_e64 v11, null, 0, v5, vcc_lo
	v_add3_u32 v88, v7, v88, v6
	v_add3_u32 v90, v7, v90, v6
	v_mul_lo_u32 v7, s11, v9
	v_mul_lo_u32 v6, s10, v11
	v_mad_u64_u32 v[95:96], null, s10, v9, s[12:13]
	v_mad_u64_u32 v[97:98], null, s10, v9, s[14:15]
	v_add3_u32 v92, v10, v92, v8
	v_add3_u32 v94, v10, v94, v8
	v_mad_u64_u32 v[39:40], null, s10, v13, s[12:13]
	v_add3_u32 v96, v7, v96, v6
	v_mul_lo_u32 v17, s11, v13
	v_add3_u32 v98, v7, v98, v6
	v_add_co_u32 v6, vcc_lo, 0x44, v4
	v_add_co_ci_u32_e64 v7, null, 0, v5, vcc_lo
	v_mad_u64_u32 v[55:56], null, s10, v13, s[14:15]
	v_mul_lo_u32 v8, s11, v6
	v_mul_lo_u32 v7, s10, v7
	v_mad_u64_u32 v[99:100], null, s10, v6, s[12:13]
	v_mad_u64_u32 v[101:102], null, s10, v6, s[14:15]
	v_add_co_u32 v6, vcc_lo, 0x48, v4
	v_mul_lo_u32 v14, s10, v14
	v_mad_u64_u32 v[41:42], null, s10, v16, s[12:13]
	v_add3_u32 v100, v8, v100, v7
	v_add3_u32 v102, v8, v102, v7
	v_add_co_ci_u32_e64 v7, null, 0, v5, vcc_lo
	v_mul_lo_u32 v8, s11, v6
	v_mad_u64_u32 v[103:104], null, s10, v6, s[12:13]
	v_mul_lo_u32 v7, s10, v7
	v_mad_u64_u32 v[105:106], null, s10, v6, s[14:15]
	v_add_co_u32 v6, vcc_lo, 0x4c, v4
	v_add3_u32 v40, v17, v40, v14
	v_add3_u32 v56, v17, v56, v14
	v_mul_lo_u32 v21, s11, v16
	v_add3_u32 v104, v8, v104, v7
	v_add3_u32 v106, v8, v106, v7
	v_add_co_ci_u32_e64 v7, null, 0, v5, vcc_lo
	v_mul_lo_u32 v8, s11, v6
	v_mad_u64_u32 v[107:108], null, s10, v6, s[12:13]
	v_mul_lo_u32 v7, s10, v7
	v_mad_u64_u32 v[109:110], null, s10, v6, s[14:15]
	v_add_co_u32 v6, vcc_lo, 0x50, v4
	v_mad_u64_u32 v[57:58], null, s10, v16, s[14:15]
	v_mul_lo_u32 v18, s10, v18
	v_add3_u32 v108, v8, v108, v7
	v_add3_u32 v110, v8, v110, v7
	v_add_co_ci_u32_e64 v7, null, 0, v5, vcc_lo
	v_mul_lo_u32 v8, s11, v6
	v_mad_u64_u32 v[111:112], null, s10, v6, s[12:13]
	v_mul_lo_u32 v7, s10, v7
	v_mad_u64_u32 v[113:114], null, s10, v6, s[14:15]
	v_add_co_u32 v6, vcc_lo, 0x54, v4
	v_mad_u64_u32 v[43:44], null, s10, v19, s[12:13]
	v_mul_lo_u32 v22, s11, v19
	v_add3_u32 v112, v8, v112, v7
	v_add3_u32 v114, v8, v114, v7
	v_add_co_ci_u32_e64 v7, null, 0, v5, vcc_lo
	v_mul_lo_u32 v8, s11, v6
	v_mad_u64_u32 v[115:116], null, s10, v6, s[12:13]
	v_mul_lo_u32 v7, s10, v7
	v_mad_u64_u32 v[117:118], null, s10, v6, s[14:15]
	v_add_co_u32 v6, vcc_lo, 0x58, v4
	v_add3_u32 v42, v21, v42, v18
	v_mad_u64_u32 v[61:62], null, s10, v19, s[14:15]
	v_add3_u32 v116, v8, v116, v7
	v_add3_u32 v118, v8, v118, v7
	v_add_co_ci_u32_e64 v7, null, 0, v5, vcc_lo
	v_mul_lo_u32 v8, s11, v6
	v_mad_u64_u32 v[119:120], null, s10, v6, s[12:13]
	v_mul_lo_u32 v7, s10, v7
	v_mad_u64_u32 v[121:122], null, s10, v6, s[14:15]
	v_add_co_u32 v6, vcc_lo, 0x5c, v4
	v_add3_u32 v58, v21, v58, v18
	v_mul_lo_u32 v20, s10, v20
	s_load_dword s1, s[4:5], 0x44
	v_add3_u32 v120, v8, v120, v7
	v_add3_u32 v122, v8, v122, v7
	v_add_co_ci_u32_e64 v7, null, 0, v5, vcc_lo
	v_mul_lo_u32 v8, s11, v6
	v_mad_u64_u32 v[123:124], null, s10, v6, s[12:13]
	v_mul_lo_u32 v7, s10, v7
	v_mad_u64_u32 v[125:126], null, s10, v6, s[14:15]
	v_add_co_u32 v6, vcc_lo, 0x60, v4
	v_add3_u32 v44, v22, v44, v20
	v_add3_u32 v62, v22, v62, v20
	s_mov_b64 s[22:23], s[20:21]
	v_add3_u32 v124, v8, v124, v7
	v_add3_u32 v126, v8, v126, v7
	v_add_co_ci_u32_e64 v7, null, 0, v5, vcc_lo
	v_mul_lo_u32 v8, s11, v6
	v_mad_u64_u32 v[127:128], null, s10, v6, s[12:13]
	v_mul_lo_u32 v7, s10, v7
	v_mad_u64_u32 v[129:130], null, s10, v6, s[14:15]
	v_add_co_u32 v6, vcc_lo, 0x64, v4
	s_waitcnt lgkmcnt(0)
	s_lshl_b32 s1, s1, 5
	v_add3_u32 v128, v8, v128, v7
	v_add3_u32 v130, v8, v130, v7
	v_add_co_ci_u32_e64 v7, null, 0, v5, vcc_lo
	v_mul_lo_u32 v8, s11, v6
	v_mad_u64_u32 v[131:132], null, s10, v6, s[12:13]
	v_mul_lo_u32 v7, s10, v7
	v_mad_u64_u32 v[133:134], null, s10, v6, s[14:15]
	v_add_co_u32 v6, vcc_lo, 0x68, v4
	v_add3_u32 v132, v8, v132, v7
	v_add3_u32 v134, v8, v134, v7
	v_add_co_ci_u32_e64 v7, null, 0, v5, vcc_lo
	v_mul_lo_u32 v8, s11, v6
	v_mad_u64_u32 v[135:136], null, s10, v6, s[12:13]
	v_mul_lo_u32 v7, s10, v7
	v_mad_u64_u32 v[137:138], null, s10, v6, s[14:15]
	v_add_co_u32 v6, vcc_lo, 0x6c, v4
	;; [unrolled: 8-line block ×5, first 2 shown]
	v_add3_u32 v148, v8, v148, v7
	v_add3_u32 v150, v8, v150, v7
	v_add_co_ci_u32_e64 v7, null, 0, v5, vcc_lo
	v_add_co_u32 v4, vcc_lo, 0x7c, v4
	v_add_co_ci_u32_e64 v5, null, 0, v5, vcc_lo
	v_mul_lo_u32 v8, s11, v6
	v_mad_u64_u32 v[151:152], null, s10, v6, s[12:13]
	v_mad_u64_u32 v[153:154], null, s10, v6, s[14:15]
	v_mul_lo_u32 v5, s10, v5
	v_mul_lo_u32 v6, s11, v4
	v_mad_u64_u32 v[155:156], null, s10, v4, s[12:13]
	v_mad_u64_u32 v[157:158], null, s10, v4, s[14:15]
	v_mul_lo_u32 v7, s10, v7
	v_add_co_u32 v4, vcc_lo, v0, 31
	v_add3_u32 v156, v6, v156, v5
	v_add3_u32 v158, v6, v158, v5
	v_add_co_ci_u32_e64 v5, null, 0, v1, vcc_lo
	v_add3_u32 v152, v8, v152, v7
	v_add3_u32 v154, v8, v154, v7
	v_mul_lo_u32 v7, s11, v4
	v_mul_lo_u32 v6, s10, v5
	v_mad_u64_u32 v[4:5], null, s10, v4, 0
	v_add3_u32 v5, v5, v6, v7
	v_add_co_u32 v6, vcc_lo, v0, 30
	v_add_co_ci_u32_e64 v7, null, 0, v1, vcc_lo
	v_mul_lo_u32 v9, s11, v6
	v_mul_lo_u32 v8, s10, v7
	v_mad_u64_u32 v[6:7], null, s10, v6, 0
	v_add3_u32 v7, v7, v8, v9
	v_add_co_u32 v8, vcc_lo, v0, 29
	v_add_co_ci_u32_e64 v9, null, 0, v1, vcc_lo
	;; [unrolled: 6-line block ×15, first 2 shown]
	v_mul_lo_u32 v162, s11, v34
	v_mul_lo_u32 v161, s10, v159
	v_mad_u64_u32 v[159:160], null, s10, v34, 0
	v_add_co_u32 v34, vcc_lo, v0, 15
	v_mul_lo_u32 v164, s11, v34
	v_add3_u32 v160, v160, v161, v162
	v_add_co_ci_u32_e64 v161, null, 0, v1, vcc_lo
	v_mul_lo_u32 v163, s10, v161
	v_mad_u64_u32 v[161:162], null, s10, v34, 0
	v_add_co_u32 v34, vcc_lo, v0, 14
	v_mul_lo_u32 v166, s11, v34
	v_add3_u32 v162, v162, v163, v164
	v_add_co_ci_u32_e64 v163, null, 0, v1, vcc_lo
	v_mul_lo_u32 v165, s10, v163
	v_mad_u64_u32 v[163:164], null, s10, v34, 0
	v_add_co_u32 v34, vcc_lo, v0, 13
	v_mad_u64_u32 v[170:171], null, s10, v34, 0
	v_add3_u32 v164, v164, v165, v166
	v_add_co_ci_u32_e64 v165, null, 0, v1, vcc_lo
	v_mul_lo_u32 v166, s11, v34
	v_add_co_u32 v34, vcc_lo, v0, 12
	v_mul_lo_u32 v165, s10, v165
	v_mad_u64_u32 v[172:173], null, s10, v34, 0
	v_add3_u32 v171, v171, v165, v166
	v_add_co_ci_u32_e64 v165, null, 0, v1, vcc_lo
	v_mul_lo_u32 v166, s11, v34
	v_add_co_u32 v34, vcc_lo, v0, 11
	v_mul_lo_u32 v165, s10, v165
	v_mad_u64_u32 v[174:175], null, s10, v34, 0
	v_add3_u32 v173, v173, v165, v166
	v_add_co_ci_u32_e64 v165, null, 0, v1, vcc_lo
	v_mul_lo_u32 v166, s11, v34
	v_add_co_u32 v34, vcc_lo, v0, 10
	v_mul_lo_u32 v165, s10, v165
	v_mad_u64_u32 v[176:177], null, s10, v34, 0
	v_add3_u32 v175, v175, v165, v166
	v_add_co_ci_u32_e64 v165, null, 0, v1, vcc_lo
	v_mul_lo_u32 v166, s11, v34
	v_add_co_u32 v34, vcc_lo, v0, 9
	v_mul_lo_u32 v165, s10, v165
	v_mad_u64_u32 v[178:179], null, s10, v34, 0
	v_add3_u32 v177, v177, v165, v166
	v_add_co_ci_u32_e64 v165, null, 0, v1, vcc_lo
	v_mul_lo_u32 v166, s11, v34
	v_add_co_u32 v34, vcc_lo, v0, 8
	v_mul_lo_u32 v165, s10, v165
	v_mad_u64_u32 v[180:181], null, s10, v34, 0
	v_add3_u32 v179, v179, v165, v166
	v_add_co_ci_u32_e64 v165, null, 0, v1, vcc_lo
	v_mul_lo_u32 v166, s11, v34
	v_add_co_u32 v34, vcc_lo, v0, 7
	v_mul_lo_u32 v165, s10, v165
	v_mad_u64_u32 v[182:183], null, s10, v34, 0
	v_add3_u32 v181, v181, v165, v166
	v_add_co_ci_u32_e64 v165, null, 0, v1, vcc_lo
	v_mul_lo_u32 v166, s11, v34
	v_add_co_u32 v34, vcc_lo, v0, 6
	v_mul_lo_u32 v165, s10, v165
	v_mad_u64_u32 v[184:185], null, s10, v34, 0
	v_add3_u32 v183, v183, v165, v166
	v_add_co_ci_u32_e64 v165, null, 0, v1, vcc_lo
	v_mul_lo_u32 v166, s11, v34
	v_add_co_u32 v34, vcc_lo, v0, 5
	v_mul_lo_u32 v165, s10, v165
	v_mad_u64_u32 v[186:187], null, s10, v34, 0
	v_add3_u32 v185, v185, v165, v166
	v_add_co_ci_u32_e64 v165, null, 0, v1, vcc_lo
	v_mul_lo_u32 v166, s11, v34
	v_add_co_u32 v34, vcc_lo, v0, 4
	v_mul_lo_u32 v165, s10, v165
	v_mad_u64_u32 v[188:189], null, s10, v34, 0
	v_add3_u32 v187, v187, v165, v166
	v_add_co_ci_u32_e64 v165, null, 0, v1, vcc_lo
	v_mul_lo_u32 v166, s11, v34
	v_add_co_u32 v34, vcc_lo, v0, 3
	v_mul_lo_u32 v165, s10, v165
	v_mad_u64_u32 v[192:193], null, s10, v34, 0
	v_add3_u32 v189, v189, v165, v166
	v_add_co_ci_u32_e64 v165, null, 0, v1, vcc_lo
	v_add_co_u32 v0, vcc_lo, v0, 2
	v_add_co_ci_u32_e64 v1, null, 0, v1, vcc_lo
	v_mul_lo_u32 v166, s11, v34
	v_mul_lo_u32 v34, s11, v0
	v_mad_u64_u32 v[196:197], null, s10, v0, 0
	v_mul_lo_u32 v1, s10, v1
	v_mul_lo_u32 v165, s10, v165
	v_add_co_u32 v200, vcc_lo, v2, s10
	v_add_co_ci_u32_e64 v201, null, s11, v3, vcc_lo
	v_add3_u32 v197, v197, v1, v34
	v_lshlrev_b64 v[0:1], 2, v[2:3]
	v_add3_u32 v193, v193, v165, v166
	v_add_co_u32 v166, vcc_lo, s12, v0
	v_add_co_ci_u32_e64 v167, null, s13, v1, vcc_lo
	v_add_co_u32 v225, vcc_lo, s14, v0
	v_add_co_ci_u32_e64 v169, null, s15, v1, vcc_lo
	v_lshlrev_b64 v[0:1], 2, v[4:5]
	v_add_co_u32 v2, vcc_lo, s12, v0
	buffer_store_dword v2, off, s[36:39], 0 ; 4-byte Folded Spill
	v_add_co_ci_u32_e64 v2, null, s13, v1, vcc_lo
	v_add_co_u32 v0, vcc_lo, s14, v0
	buffer_store_dword v2, off, s[36:39], 0 offset:4 ; 4-byte Folded Spill
	buffer_store_dword v0, off, s[36:39], 0 offset:8 ; 4-byte Folded Spill
	v_add_co_ci_u32_e64 v0, null, s15, v1, vcc_lo
	buffer_store_dword v0, off, s[36:39], 0 offset:12 ; 4-byte Folded Spill
	v_lshlrev_b64 v[0:1], 2, v[6:7]
	v_add_co_u32 v2, vcc_lo, s12, v0
	buffer_store_dword v2, off, s[36:39], 0 offset:16 ; 4-byte Folded Spill
	v_add_co_ci_u32_e64 v2, null, s13, v1, vcc_lo
	v_add_co_u32 v0, vcc_lo, s14, v0
	buffer_store_dword v2, off, s[36:39], 0 offset:20 ; 4-byte Folded Spill
	buffer_store_dword v0, off, s[36:39], 0 offset:24 ; 4-byte Folded Spill
	v_add_co_ci_u32_e64 v0, null, s15, v1, vcc_lo
	buffer_store_dword v0, off, s[36:39], 0 offset:28 ; 4-byte Folded Spill
	v_lshlrev_b64 v[0:1], 2, v[8:9]
	v_add_co_u32 v2, vcc_lo, s12, v0
	buffer_store_dword v2, off, s[36:39], 0 offset:32 ; 4-byte Folded Spill
	;; [unrolled: 9-line block ×15, first 2 shown]
	v_add_co_ci_u32_e64 v2, null, s13, v1, vcc_lo
	v_add_co_u32 v232, vcc_lo, s14, v0
	v_add_co_ci_u32_e64 v233, null, s15, v1, vcc_lo
	v_lshlrev_b64 v[0:1], 2, v[161:162]
	buffer_store_dword v2, off, s[36:39], 0 offset:244 ; 4-byte Folded Spill
	v_lshlrev_b64 v[2:3], 2, v[178:179]
	v_add_co_u32 v234, vcc_lo, s12, v0
	v_add_co_ci_u32_e64 v235, null, s13, v1, vcc_lo
	v_add_co_u32 v236, vcc_lo, s14, v0
	v_add_co_ci_u32_e64 v237, null, s15, v1, vcc_lo
	v_lshlrev_b64 v[0:1], 2, v[163:164]
	v_add_co_u32 v238, vcc_lo, s12, v0
	v_add_co_ci_u32_e64 v239, null, s13, v1, vcc_lo
	v_add_co_u32 v240, vcc_lo, s14, v0
	v_add_co_ci_u32_e64 v241, null, s15, v1, vcc_lo
	;; [unrolled: 5-line block ×6, first 2 shown]
	v_add_co_u32 v0, vcc_lo, s12, v2
	v_add_co_ci_u32_e64 v1, null, s13, v3, vcc_lo
	v_add_co_u32 v170, vcc_lo, s14, v2
	v_add_co_ci_u32_e64 v171, null, s15, v3, vcc_lo
	v_lshlrev_b64 v[2:3], 2, v[180:181]
	v_add_co_u32 v172, vcc_lo, s12, v2
	v_add_co_ci_u32_e64 v173, null, s13, v3, vcc_lo
	v_add_co_u32 v174, vcc_lo, s14, v2
	v_add_co_ci_u32_e64 v175, null, s15, v3, vcc_lo
	v_lshlrev_b64 v[2:3], 2, v[182:183]
	;; [unrolled: 5-line block ×8, first 2 shown]
	v_add_co_u32 v200, vcc_lo, s12, v2
	v_add_co_ci_u32_e64 v201, null, s13, v3, vcc_lo
	v_add_co_u32 v202, vcc_lo, s14, v2
	v_mov_b32_e32 v2, 0
	v_add_co_ci_u32_e64 v203, null, s15, v3, vcc_lo
	v_add_nc_u32_e32 v3, s7, v228
	s_mul_i32 s7, s11, s1
	v_mov_b32_e32 v4, v2
	s_mul_hi_u32 s12, s10, s1
	v_mov_b32_e32 v204, v2
	s_add_i32 s13, s12, s7
	s_mul_i32 s12, s10, s1
	v_lshlrev_b64 v[159:160], 2, v[3:4]
	v_mov_b32_e32 v3, v168
	v_mov_b32_e32 v168, 0
	s_lshl_b64 s[12:13], s[12:13], 2
	s_mov_b64 s[14:15], 31
	s_branch .LBB61_147
.LBB61_145:                             ;   in Loop: Header=BB61_147 Depth=1
	s_or_b32 exec_lo, exec_lo, s7
	v_add_co_u32 v3, vcc_lo, v225, v159
	v_add_co_ci_u32_e64 v4, null, v169, v160, vcc_lo
	global_load_dword v7, v[3:4], off
	v_add_co_u32 v3, vcc_lo, v166, v159
	v_add_co_ci_u32_e64 v4, null, v167, v160, vcc_lo
	global_load_dword v3, v[3:4], off
	s_waitcnt vmcnt(3)
	ds_bpermute_b32 v4, v2, v6
	s_waitcnt vmcnt(1) lgkmcnt(0)
	v_sub_f32_e32 v4, v7, v4
	ds_bpermute_b32 v7, v2, v5
	s_waitcnt vmcnt(0)
	v_mul_f32_e32 v4, v3, v4
	v_add_f32_e32 v3, v230, v3
	s_waitcnt lgkmcnt(0)
	v_fmac_f32_e32 v168, v4, v7
	v_add_co_u32 v7, vcc_lo, v49, v159
	v_add_co_ci_u32_e64 v8, null, v50, v160, vcc_lo
	global_load_dword v9, v[7:8], off
	v_add_co_u32 v7, vcc_lo, v35, v159
	v_add_co_ci_u32_e64 v8, null, v36, v160, vcc_lo
	global_load_dword v4, v[7:8], off
	ds_bpermute_b32 v7, v2, v6 offset:4
	ds_bpermute_b32 v8, v2, v5 offset:4
	s_waitcnt vmcnt(1) lgkmcnt(1)
	v_sub_f32_e32 v7, v9, v7
	s_waitcnt vmcnt(0)
	v_mul_f32_e32 v7, v4, v7
	v_add_f32_e32 v3, v3, v4
	ds_bpermute_b32 v4, v2, v6 offset:124
	s_waitcnt lgkmcnt(1)
	v_fmac_f32_e32 v168, v7, v8
	v_add_co_u32 v7, vcc_lo, v53, v159
	v_add_co_ci_u32_e64 v8, null, v54, v160, vcc_lo
	global_load_dword v9, v[7:8], off
	v_add_co_u32 v7, vcc_lo, v37, v159
	v_add_co_ci_u32_e64 v8, null, v38, v160, vcc_lo
	global_load_dword v7, v[7:8], off
	ds_bpermute_b32 v8, v2, v6 offset:8
	s_waitcnt vmcnt(1) lgkmcnt(0)
	v_sub_f32_e32 v8, v9, v8
	ds_bpermute_b32 v9, v2, v5 offset:8
	s_waitcnt vmcnt(0)
	v_mul_f32_e32 v8, v7, v8
	v_add_f32_e32 v3, v3, v7
	s_waitcnt lgkmcnt(0)
	v_fmac_f32_e32 v168, v8, v9
	v_add_co_u32 v8, vcc_lo, v55, v159
	v_add_co_ci_u32_e64 v9, null, v56, v160, vcc_lo
	global_load_dword v10, v[8:9], off
	v_add_co_u32 v8, vcc_lo, v39, v159
	v_add_co_ci_u32_e64 v9, null, v40, v160, vcc_lo
	global_load_dword v8, v[8:9], off
	ds_bpermute_b32 v9, v2, v6 offset:12
	s_waitcnt vmcnt(1) lgkmcnt(0)
	v_sub_f32_e32 v9, v10, v9
	ds_bpermute_b32 v10, v2, v5 offset:12
	s_waitcnt vmcnt(0)
	v_mul_f32_e32 v9, v8, v9
	v_add_f32_e32 v3, v3, v8
	;; [unrolled: 15-line block ×8, first 2 shown]
	s_waitcnt lgkmcnt(0)
	v_fmac_f32_e32 v168, v15, v16
	v_add_co_u32 v15, vcc_lo, v73, v159
	v_add_co_ci_u32_e64 v16, null, v74, v160, vcc_lo
	global_load_dword v17, v[15:16], off
	v_add_co_u32 v15, vcc_lo, v71, v159
	v_add_co_ci_u32_e64 v16, null, v72, v160, vcc_lo
	global_load_dword v18, v[15:16], off
	ds_bpermute_b32 v15, v2, v6 offset:40
	ds_bpermute_b32 v16, v2, v5 offset:40
	s_waitcnt vmcnt(1) lgkmcnt(1)
	v_sub_f32_e32 v15, v17, v15
	s_waitcnt vmcnt(0)
	v_mul_f32_e32 v15, v18, v15
	v_add_f32_e32 v3, v3, v18
	s_waitcnt lgkmcnt(0)
	v_fmac_f32_e32 v168, v15, v16
	v_add_co_u32 v15, vcc_lo, v77, v159
	v_add_co_ci_u32_e64 v16, null, v78, v160, vcc_lo
	global_load_dword v17, v[15:16], off
	v_add_co_u32 v15, vcc_lo, v75, v159
	v_add_co_ci_u32_e64 v16, null, v76, v160, vcc_lo
	global_load_dword v19, v[15:16], off
	ds_bpermute_b32 v15, v2, v6 offset:44
	ds_bpermute_b32 v16, v2, v5 offset:44
	s_waitcnt vmcnt(1) lgkmcnt(1)
	v_sub_f32_e32 v15, v17, v15
	s_waitcnt vmcnt(0)
	v_mul_f32_e32 v15, v19, v15
	v_add_f32_e32 v3, v3, v19
	s_waitcnt lgkmcnt(0)
	v_fmac_f32_e32 v168, v15, v16
	v_add_co_u32 v15, vcc_lo, v81, v159
	v_add_co_ci_u32_e64 v16, null, v82, v160, vcc_lo
	global_load_dword v17, v[15:16], off
	v_add_co_u32 v15, vcc_lo, v79, v159
	v_add_co_ci_u32_e64 v16, null, v80, v160, vcc_lo
	global_load_dword v20, v[15:16], off
	ds_bpermute_b32 v15, v2, v6 offset:48
	ds_bpermute_b32 v16, v2, v5 offset:48
	s_waitcnt vmcnt(1) lgkmcnt(1)
	v_sub_f32_e32 v15, v17, v15
	s_waitcnt vmcnt(0)
	v_mul_f32_e32 v15, v20, v15
	v_add_f32_e32 v3, v3, v20
	s_waitcnt lgkmcnt(0)
	v_fmac_f32_e32 v168, v15, v16
	v_add_co_u32 v15, vcc_lo, v85, v159
	v_add_co_ci_u32_e64 v16, null, v86, v160, vcc_lo
	global_load_dword v17, v[15:16], off
	v_add_co_u32 v15, vcc_lo, v83, v159
	v_add_co_ci_u32_e64 v16, null, v84, v160, vcc_lo
	global_load_dword v21, v[15:16], off
	ds_bpermute_b32 v15, v2, v6 offset:52
	ds_bpermute_b32 v16, v2, v5 offset:52
	s_waitcnt vmcnt(1) lgkmcnt(1)
	v_sub_f32_e32 v15, v17, v15
	s_waitcnt vmcnt(0)
	v_mul_f32_e32 v15, v21, v15
	v_add_f32_e32 v3, v3, v21
	s_waitcnt lgkmcnt(0)
	v_fmac_f32_e32 v168, v15, v16
	v_add_co_u32 v15, vcc_lo, v89, v159
	v_add_co_ci_u32_e64 v16, null, v90, v160, vcc_lo
	global_load_dword v17, v[15:16], off
	v_add_co_u32 v15, vcc_lo, v87, v159
	v_add_co_ci_u32_e64 v16, null, v88, v160, vcc_lo
	global_load_dword v22, v[15:16], off
	ds_bpermute_b32 v15, v2, v6 offset:56
	ds_bpermute_b32 v16, v2, v5 offset:56
	s_waitcnt vmcnt(1) lgkmcnt(1)
	v_sub_f32_e32 v15, v17, v15
	s_waitcnt vmcnt(0)
	v_mul_f32_e32 v15, v22, v15
	v_add_f32_e32 v3, v3, v22
	s_waitcnt lgkmcnt(0)
	v_fmac_f32_e32 v168, v15, v16
	v_add_co_u32 v15, vcc_lo, v93, v159
	v_add_co_ci_u32_e64 v16, null, v94, v160, vcc_lo
	global_load_dword v17, v[15:16], off
	v_add_co_u32 v15, vcc_lo, v91, v159
	v_add_co_ci_u32_e64 v16, null, v92, v160, vcc_lo
	global_load_dword v23, v[15:16], off
	ds_bpermute_b32 v15, v2, v6 offset:60
	ds_bpermute_b32 v16, v2, v5 offset:60
	s_waitcnt vmcnt(1) lgkmcnt(1)
	v_sub_f32_e32 v15, v17, v15
	s_waitcnt vmcnt(0)
	v_mul_f32_e32 v15, v23, v15
	v_add_f32_e32 v3, v3, v23
	s_waitcnt lgkmcnt(0)
	v_fmac_f32_e32 v168, v15, v16
	v_add_co_u32 v15, vcc_lo, v97, v159
	v_add_co_ci_u32_e64 v16, null, v98, v160, vcc_lo
	global_load_dword v17, v[15:16], off
	v_add_co_u32 v15, vcc_lo, v95, v159
	v_add_co_ci_u32_e64 v16, null, v96, v160, vcc_lo
	global_load_dword v24, v[15:16], off
	ds_bpermute_b32 v15, v2, v6 offset:64
	ds_bpermute_b32 v16, v2, v5 offset:64
	s_waitcnt vmcnt(1) lgkmcnt(1)
	v_sub_f32_e32 v15, v17, v15
	s_waitcnt vmcnt(0)
	v_mul_f32_e32 v15, v24, v15
	v_add_f32_e32 v3, v3, v24
	s_waitcnt lgkmcnt(0)
	v_fmac_f32_e32 v168, v15, v16
	v_add_co_u32 v15, vcc_lo, v101, v159
	v_add_co_ci_u32_e64 v16, null, v102, v160, vcc_lo
	global_load_dword v17, v[15:16], off
	v_add_co_u32 v15, vcc_lo, v99, v159
	v_add_co_ci_u32_e64 v16, null, v100, v160, vcc_lo
	global_load_dword v25, v[15:16], off
	ds_bpermute_b32 v15, v2, v6 offset:68
	ds_bpermute_b32 v16, v2, v5 offset:68
	s_waitcnt vmcnt(1) lgkmcnt(1)
	v_sub_f32_e32 v15, v17, v15
	s_waitcnt vmcnt(0)
	v_mul_f32_e32 v15, v25, v15
	v_add_f32_e32 v3, v3, v25
	s_waitcnt lgkmcnt(0)
	v_fmac_f32_e32 v168, v15, v16
	v_add_co_u32 v15, vcc_lo, v105, v159
	v_add_co_ci_u32_e64 v16, null, v106, v160, vcc_lo
	global_load_dword v17, v[15:16], off
	v_add_co_u32 v15, vcc_lo, v103, v159
	v_add_co_ci_u32_e64 v16, null, v104, v160, vcc_lo
	global_load_dword v26, v[15:16], off
	ds_bpermute_b32 v15, v2, v6 offset:72
	ds_bpermute_b32 v16, v2, v5 offset:72
	s_waitcnt vmcnt(1) lgkmcnt(1)
	v_sub_f32_e32 v15, v17, v15
	s_waitcnt vmcnt(0)
	v_mul_f32_e32 v15, v26, v15
	v_add_f32_e32 v3, v3, v26
	s_waitcnt lgkmcnt(0)
	v_fmac_f32_e32 v168, v15, v16
	v_add_co_u32 v15, vcc_lo, v109, v159
	v_add_co_ci_u32_e64 v16, null, v110, v160, vcc_lo
	global_load_dword v17, v[15:16], off
	v_add_co_u32 v15, vcc_lo, v107, v159
	v_add_co_ci_u32_e64 v16, null, v108, v160, vcc_lo
	global_load_dword v27, v[15:16], off
	ds_bpermute_b32 v15, v2, v6 offset:76
	ds_bpermute_b32 v16, v2, v5 offset:76
	s_waitcnt vmcnt(1) lgkmcnt(1)
	v_sub_f32_e32 v15, v17, v15
	s_waitcnt vmcnt(0)
	v_mul_f32_e32 v15, v27, v15
	v_add_f32_e32 v3, v3, v27
	s_waitcnt lgkmcnt(0)
	v_fmac_f32_e32 v168, v15, v16
	v_add_co_u32 v15, vcc_lo, v113, v159
	v_add_co_ci_u32_e64 v16, null, v114, v160, vcc_lo
	global_load_dword v17, v[15:16], off
	v_add_co_u32 v15, vcc_lo, v111, v159
	v_add_co_ci_u32_e64 v16, null, v112, v160, vcc_lo
	global_load_dword v28, v[15:16], off
	ds_bpermute_b32 v15, v2, v6 offset:80
	ds_bpermute_b32 v16, v2, v5 offset:80
	s_waitcnt vmcnt(1) lgkmcnt(1)
	v_sub_f32_e32 v15, v17, v15
	s_waitcnt vmcnt(0)
	v_mul_f32_e32 v15, v28, v15
	v_add_f32_e32 v3, v3, v28
	s_waitcnt lgkmcnt(0)
	v_fmac_f32_e32 v168, v15, v16
	v_add_co_u32 v15, vcc_lo, v117, v159
	v_add_co_ci_u32_e64 v16, null, v118, v160, vcc_lo
	global_load_dword v17, v[15:16], off
	v_add_co_u32 v15, vcc_lo, v115, v159
	v_add_co_ci_u32_e64 v16, null, v116, v160, vcc_lo
	global_load_dword v29, v[15:16], off
	ds_bpermute_b32 v15, v2, v6 offset:84
	ds_bpermute_b32 v16, v2, v5 offset:84
	s_waitcnt vmcnt(1) lgkmcnt(1)
	v_sub_f32_e32 v15, v17, v15
	s_waitcnt vmcnt(0)
	v_mul_f32_e32 v15, v29, v15
	v_add_f32_e32 v3, v3, v29
	s_waitcnt lgkmcnt(0)
	v_fmac_f32_e32 v168, v15, v16
	v_add_co_u32 v15, vcc_lo, v121, v159
	v_add_co_ci_u32_e64 v16, null, v122, v160, vcc_lo
	global_load_dword v17, v[15:16], off
	v_add_co_u32 v15, vcc_lo, v119, v159
	v_add_co_ci_u32_e64 v16, null, v120, v160, vcc_lo
	global_load_dword v30, v[15:16], off
	ds_bpermute_b32 v15, v2, v6 offset:88
	ds_bpermute_b32 v16, v2, v5 offset:88
	s_waitcnt vmcnt(1) lgkmcnt(1)
	v_sub_f32_e32 v15, v17, v15
	s_waitcnt vmcnt(0)
	v_mul_f32_e32 v15, v30, v15
	v_add_f32_e32 v3, v3, v30
	s_waitcnt lgkmcnt(0)
	v_fmac_f32_e32 v168, v15, v16
	v_add_co_u32 v15, vcc_lo, v125, v159
	v_add_co_ci_u32_e64 v16, null, v126, v160, vcc_lo
	global_load_dword v17, v[15:16], off
	v_add_co_u32 v15, vcc_lo, v123, v159
	v_add_co_ci_u32_e64 v16, null, v124, v160, vcc_lo
	global_load_dword v31, v[15:16], off
	ds_bpermute_b32 v15, v2, v6 offset:92
	ds_bpermute_b32 v16, v2, v5 offset:92
	s_waitcnt vmcnt(1) lgkmcnt(1)
	v_sub_f32_e32 v15, v17, v15
	s_waitcnt vmcnt(0)
	v_mul_f32_e32 v15, v31, v15
	v_add_f32_e32 v3, v3, v31
	s_waitcnt lgkmcnt(0)
	v_fmac_f32_e32 v168, v15, v16
	v_add_co_u32 v15, vcc_lo, v129, v159
	v_add_co_ci_u32_e64 v16, null, v130, v160, vcc_lo
	global_load_dword v17, v[15:16], off
	v_add_co_u32 v15, vcc_lo, v127, v159
	v_add_co_ci_u32_e64 v16, null, v128, v160, vcc_lo
	global_load_dword v32, v[15:16], off
	ds_bpermute_b32 v15, v2, v6 offset:96
	ds_bpermute_b32 v16, v2, v5 offset:96
	s_waitcnt vmcnt(1) lgkmcnt(1)
	v_sub_f32_e32 v15, v17, v15
	s_waitcnt vmcnt(0)
	v_mul_f32_e32 v15, v32, v15
	v_add_f32_e32 v3, v3, v32
	s_waitcnt lgkmcnt(0)
	v_fmac_f32_e32 v168, v15, v16
	v_add_co_u32 v15, vcc_lo, v133, v159
	v_add_co_ci_u32_e64 v16, null, v134, v160, vcc_lo
	global_load_dword v17, v[15:16], off
	v_add_co_u32 v15, vcc_lo, v131, v159
	v_add_co_ci_u32_e64 v16, null, v132, v160, vcc_lo
	global_load_dword v33, v[15:16], off
	ds_bpermute_b32 v15, v2, v6 offset:100
	ds_bpermute_b32 v16, v2, v5 offset:100
	s_waitcnt vmcnt(1) lgkmcnt(1)
	v_sub_f32_e32 v15, v17, v15
	s_waitcnt vmcnt(0)
	v_mul_f32_e32 v15, v33, v15
	v_add_f32_e32 v3, v3, v33
	s_waitcnt lgkmcnt(0)
	v_fmac_f32_e32 v168, v15, v16
	v_add_co_u32 v15, vcc_lo, v137, v159
	v_add_co_ci_u32_e64 v16, null, v138, v160, vcc_lo
	global_load_dword v17, v[15:16], off
	v_add_co_u32 v15, vcc_lo, v135, v159
	v_add_co_ci_u32_e64 v16, null, v136, v160, vcc_lo
	global_load_dword v34, v[15:16], off
	ds_bpermute_b32 v15, v2, v6 offset:104
	ds_bpermute_b32 v16, v2, v5 offset:104
	s_waitcnt vmcnt(1) lgkmcnt(1)
	v_sub_f32_e32 v15, v17, v15
	s_waitcnt vmcnt(0)
	v_mul_f32_e32 v15, v34, v15
	v_add_f32_e32 v3, v3, v34
	s_waitcnt lgkmcnt(0)
	v_fmac_f32_e32 v168, v15, v16
	v_add_co_u32 v15, vcc_lo, v141, v159
	v_add_co_ci_u32_e64 v16, null, v142, v160, vcc_lo
	global_load_dword v17, v[15:16], off
	v_add_co_u32 v15, vcc_lo, v139, v159
	v_add_co_ci_u32_e64 v16, null, v140, v160, vcc_lo
	global_load_dword v161, v[15:16], off
	ds_bpermute_b32 v15, v2, v6 offset:108
	ds_bpermute_b32 v16, v2, v5 offset:108
	s_waitcnt vmcnt(1) lgkmcnt(1)
	v_sub_f32_e32 v15, v17, v15
	s_waitcnt vmcnt(0)
	v_mul_f32_e32 v15, v161, v15
	v_add_f32_e32 v3, v3, v161
	s_waitcnt lgkmcnt(0)
	v_fmac_f32_e32 v168, v15, v16
	v_add_co_u32 v15, vcc_lo, v145, v159
	v_add_co_ci_u32_e64 v16, null, v146, v160, vcc_lo
	global_load_dword v17, v[15:16], off
	v_add_co_u32 v15, vcc_lo, v143, v159
	v_add_co_ci_u32_e64 v16, null, v144, v160, vcc_lo
	global_load_dword v162, v[15:16], off
	ds_bpermute_b32 v15, v2, v6 offset:112
	ds_bpermute_b32 v16, v2, v5 offset:112
	s_waitcnt vmcnt(1) lgkmcnt(1)
	v_sub_f32_e32 v15, v17, v15
	s_waitcnt vmcnt(0)
	v_mul_f32_e32 v15, v162, v15
	v_add_f32_e32 v3, v3, v162
	s_waitcnt lgkmcnt(0)
	v_fmac_f32_e32 v168, v15, v16
	v_add_co_u32 v15, vcc_lo, v149, v159
	v_add_co_ci_u32_e64 v16, null, v150, v160, vcc_lo
	global_load_dword v17, v[15:16], off
	v_add_co_u32 v15, vcc_lo, v147, v159
	v_add_co_ci_u32_e64 v16, null, v148, v160, vcc_lo
	global_load_dword v165, v[15:16], off
	ds_bpermute_b32 v15, v2, v6 offset:116
	ds_bpermute_b32 v16, v2, v5 offset:116
	s_waitcnt vmcnt(1) lgkmcnt(1)
	v_sub_f32_e32 v15, v17, v15
	s_waitcnt vmcnt(0)
	v_mul_f32_e32 v15, v165, v15
	v_add_f32_e32 v3, v3, v165
	s_waitcnt lgkmcnt(0)
	v_fmac_f32_e32 v168, v15, v16
	v_add_co_u32 v15, vcc_lo, v153, v159
	v_add_co_ci_u32_e64 v16, null, v154, v160, vcc_lo
	global_load_dword v17, v[15:16], off
	v_add_co_u32 v15, vcc_lo, v151, v159
	v_add_co_ci_u32_e64 v16, null, v152, v160, vcc_lo
	global_load_dword v205, v[15:16], off
	ds_bpermute_b32 v15, v2, v6 offset:120
	ds_bpermute_b32 v16, v2, v5 offset:120
	;; [unrolled: 1-line block ×3, first 2 shown]
	s_waitcnt vmcnt(1) lgkmcnt(2)
	v_sub_f32_e32 v15, v17, v15
	s_waitcnt vmcnt(0)
	v_mul_f32_e32 v15, v205, v15
	v_add_f32_e32 v3, v3, v205
	s_waitcnt lgkmcnt(1)
	v_fmac_f32_e32 v168, v15, v16
	v_add_co_u32 v15, vcc_lo, v157, v159
	v_add_co_ci_u32_e64 v16, null, v158, v160, vcc_lo
	v_add_co_u32 v6, vcc_lo, v155, v159
	v_add_co_ci_u32_e64 v7, null, v156, v160, vcc_lo
	global_load_dword v15, v[15:16], off
	v_mov_b32_e32 v165, v168
	global_load_dword v34, v[6:7], off
	s_waitcnt vmcnt(1)
	v_sub_f32_e32 v4, v15, v4
	s_waitcnt vmcnt(0)
	v_mul_f32_e32 v4, v34, v4
	s_waitcnt lgkmcnt(0)
	v_mul_f32_e32 v4, v4, v5
.LBB61_146:                             ;   in Loop: Header=BB61_147 Depth=1
	v_add_f32_e32 v230, v3, v34
	buffer_load_dword v3, off, s[36:39], 0 offset:248 ; 4-byte Folded Reload
	v_add_f32_e32 v168, v165, v4
	buffer_load_dword v4, off, s[36:39], 0  ; 4-byte Folded Reload
	v_add_co_u32 v166, vcc_lo, v166, s12
	v_add_co_ci_u32_e64 v167, null, s13, v167, vcc_lo
	v_add_co_u32 v225, vcc_lo, v225, s12
	v_add_co_ci_u32_e64 v169, null, s13, v169, vcc_lo
	;; [unrolled: 2-line block ×64, first 2 shown]
	s_add_u32 s22, s22, s1
	s_addc_u32 s23, s23, 0
	s_add_u32 s14, s14, s1
	v_cmp_ge_i64_e64 s7, s[22:23], s[8:9]
	s_addc_u32 s15, 0, s15
	s_waitcnt vmcnt(1)
	v_add_co_u32 v3, vcc_lo, v3, s1
	v_add_co_ci_u32_e64 v204, null, 0, v204, vcc_lo
	s_waitcnt vmcnt(0)
	v_add_co_u32 v4, vcc_lo, v4, s12
	buffer_store_dword v4, off, s[36:39], 0 ; 4-byte Folded Spill
	buffer_load_dword v4, off, s[36:39], 0 offset:4 ; 4-byte Folded Reload
	s_waitcnt vmcnt(0)
	v_add_co_ci_u32_e64 v4, null, s13, v4, vcc_lo
	buffer_store_dword v4, off, s[36:39], 0 offset:4 ; 4-byte Folded Spill
	buffer_load_dword v4, off, s[36:39], 0 offset:8 ; 4-byte Folded Reload
	s_waitcnt vmcnt(0)
	v_add_co_u32 v4, vcc_lo, v4, s12
	buffer_store_dword v4, off, s[36:39], 0 offset:8 ; 4-byte Folded Spill
	buffer_load_dword v4, off, s[36:39], 0 offset:12 ; 4-byte Folded Reload
	s_waitcnt vmcnt(0)
	v_add_co_ci_u32_e64 v4, null, s13, v4, vcc_lo
	buffer_store_dword v4, off, s[36:39], 0 offset:12 ; 4-byte Folded Spill
	buffer_load_dword v4, off, s[36:39], 0 offset:16 ; 4-byte Folded Reload
	s_waitcnt vmcnt(0)
	v_add_co_u32 v4, vcc_lo, v4, s12
	buffer_store_dword v4, off, s[36:39], 0 offset:16 ; 4-byte Folded Spill
	;; [unrolled: 8-line block ×30, first 2 shown]
	buffer_load_dword v4, off, s[36:39], 0 offset:244 ; 4-byte Folded Reload
	s_waitcnt vmcnt(0)
	v_add_co_ci_u32_e64 v4, null, s13, v4, vcc_lo
	v_add_co_u32 v232, vcc_lo, v232, s12
	v_add_co_ci_u32_e64 v233, null, s13, v233, vcc_lo
	v_add_co_u32 v234, vcc_lo, v234, s12
	v_add_co_ci_u32_e64 v235, null, s13, v235, vcc_lo
	v_add_co_u32 v236, vcc_lo, v236, s12
	v_add_co_ci_u32_e64 v237, null, s13, v237, vcc_lo
	v_add_co_u32 v238, vcc_lo, v238, s12
	v_add_co_ci_u32_e64 v239, null, s13, v239, vcc_lo
	v_add_co_u32 v240, vcc_lo, v240, s12
	v_add_co_ci_u32_e64 v241, null, s13, v241, vcc_lo
	v_add_co_u32 v242, vcc_lo, v242, s12
	v_add_co_ci_u32_e64 v243, null, s13, v243, vcc_lo
	v_add_co_u32 v244, vcc_lo, v244, s12
	v_add_co_ci_u32_e64 v245, null, s13, v245, vcc_lo
	v_add_co_u32 v246, vcc_lo, v246, s12
	v_add_co_ci_u32_e64 v247, null, s13, v247, vcc_lo
	v_add_co_u32 v248, vcc_lo, v248, s12
	v_add_co_ci_u32_e64 v249, null, s13, v249, vcc_lo
	v_add_co_u32 v250, vcc_lo, v250, s12
	v_add_co_ci_u32_e64 v251, null, s13, v251, vcc_lo
	v_add_co_u32 v252, vcc_lo, v252, s12
	v_add_co_ci_u32_e64 v253, null, s13, v253, vcc_lo
	v_add_co_u32 v254, vcc_lo, v254, s12
	v_add_co_ci_u32_e64 v255, null, s13, v255, vcc_lo
	v_add_co_u32 v163, vcc_lo, v163, s12
	v_add_co_ci_u32_e64 v164, null, s13, v164, vcc_lo
	v_add_co_u32 v0, vcc_lo, v0, s12
	v_add_co_ci_u32_e64 v1, null, s13, v1, vcc_lo
	v_add_co_u32 v170, vcc_lo, v170, s12
	v_add_co_ci_u32_e64 v171, null, s13, v171, vcc_lo
	v_add_co_u32 v172, vcc_lo, v172, s12
	v_add_co_ci_u32_e64 v173, null, s13, v173, vcc_lo
	v_add_co_u32 v174, vcc_lo, v174, s12
	v_add_co_ci_u32_e64 v175, null, s13, v175, vcc_lo
	v_add_co_u32 v176, vcc_lo, v176, s12
	v_add_co_ci_u32_e64 v177, null, s13, v177, vcc_lo
	v_add_co_u32 v178, vcc_lo, v178, s12
	v_add_co_ci_u32_e64 v179, null, s13, v179, vcc_lo
	v_add_co_u32 v180, vcc_lo, v180, s12
	v_add_co_ci_u32_e64 v181, null, s13, v181, vcc_lo
	v_add_co_u32 v182, vcc_lo, v182, s12
	v_add_co_ci_u32_e64 v183, null, s13, v183, vcc_lo
	v_add_co_u32 v184, vcc_lo, v184, s12
	v_add_co_ci_u32_e64 v185, null, s13, v185, vcc_lo
	v_add_co_u32 v186, vcc_lo, v186, s12
	v_add_co_ci_u32_e64 v187, null, s13, v187, vcc_lo
	v_add_co_u32 v188, vcc_lo, v188, s12
	v_add_co_ci_u32_e64 v189, null, s13, v189, vcc_lo
	v_add_co_u32 v190, vcc_lo, v190, s12
	v_add_co_ci_u32_e64 v191, null, s13, v191, vcc_lo
	v_add_co_u32 v192, vcc_lo, v192, s12
	v_add_co_ci_u32_e64 v193, null, s13, v193, vcc_lo
	v_add_co_u32 v194, vcc_lo, v194, s12
	v_add_co_ci_u32_e64 v195, null, s13, v195, vcc_lo
	v_add_co_u32 v196, vcc_lo, v196, s12
	v_add_co_ci_u32_e64 v197, null, s13, v197, vcc_lo
	v_add_co_u32 v198, vcc_lo, v198, s12
	v_add_co_ci_u32_e64 v199, null, s13, v199, vcc_lo
	v_add_co_u32 v200, vcc_lo, v200, s12
	v_add_co_ci_u32_e64 v201, null, s13, v201, vcc_lo
	v_add_co_u32 v202, vcc_lo, v202, s12
	v_add_co_ci_u32_e64 v203, null, s13, v203, vcc_lo
	s_and_b32 vcc_lo, exec_lo, s7
	buffer_store_dword v4, off, s[36:39], 0 offset:244 ; 4-byte Folded Spill
	s_cbranch_vccnz .LBB61_218
.LBB61_147:                             ; =>This Inner Loop Header: Depth=1
	s_add_u32 s24, s20, s14
	s_addc_u32 s25, 0, s15
	v_add_co_u32 v161, vcc_lo, s20, v3
	v_cmp_ge_i64_e64 s7, s[24:25], s[8:9]
	v_add_co_ci_u32_e64 v162, null, 0, v204, vcc_lo
	buffer_store_dword v3, off, s[36:39], 0 offset:248 ; 4-byte Folded Spill
                                        ; implicit-def: $vgpr34
                                        ; implicit-def: $vgpr4
                                        ; implicit-def: $vgpr3
                                        ; implicit-def: $vgpr165
	s_and_b32 vcc_lo, exec_lo, s7
	s_mov_b32 s7, -1
	s_cbranch_vccz .LBB61_215
; %bb.148:                              ;   in Loop: Header=BB61_147 Depth=1
	s_load_dword s7, s[2:3], 0xc
	s_clause 0x1
	buffer_load_dword v3, off, s[36:39], 0 offset:300
	buffer_load_dword v4, off, s[36:39], 0 offset:304
	v_mov_b32_e32 v231, 0
	v_mov_b32_e32 v205, 0
	;; [unrolled: 1-line block ×3, first 2 shown]
	s_waitcnt lgkmcnt(0)
	s_and_b32 s7, s7, 0xffff
	s_waitcnt vmcnt(1)
	v_mad_u32_u24 v3, v3, s7, v228
	s_mov_b32 s7, exec_lo
	v_and_b32_e32 v3, 31, v3
	v_add_co_u32 v3, vcc_lo, v161, v3
	s_waitcnt vmcnt(0)
	v_add_co_ci_u32_e64 v4, null, 0, v162, vcc_lo
	v_cmpx_gt_i64_e64 s[8:9], v[3:4]
	s_cbranch_execz .LBB61_150
; %bb.149:                              ;   in Loop: Header=BB61_147 Depth=1
	v_lshlrev_b64 v[3:4], 2, v[3:4]
	v_add_co_u32 v5, vcc_lo, s16, v3
	v_add_co_ci_u32_e64 v6, null, s17, v4, vcc_lo
	v_add_co_u32 v3, vcc_lo, s18, v3
	v_add_co_ci_u32_e64 v4, null, s19, v4, vcc_lo
	global_load_dword v206, v[5:6], off
	global_load_dword v205, v[3:4], off
.LBB61_150:                             ;   in Loop: Header=BB61_147 Depth=1
	s_or_b32 exec_lo, exec_lo, s7
	v_mov_b32_e32 v33, v2
	v_mov_b32_e32 v3, v2
	;; [unrolled: 1-line block ×63, first 2 shown]
	s_mov_b32 s7, exec_lo
	v_cmpx_gt_i64_e64 s[8:9], v[161:162]
	s_cbranch_execz .LBB61_152
; %bb.151:                              ;   in Loop: Header=BB61_147 Depth=1
	v_add_co_u32 v3, vcc_lo, v225, v159
	v_add_co_ci_u32_e64 v4, null, v169, v160, vcc_lo
	v_add_co_u32 v5, vcc_lo, v166, v159
	v_add_co_ci_u32_e64 v6, null, v167, v160, vcc_lo
	global_load_dword v231, v[3:4], off
	global_load_dword v3, v[5:6], off
	v_mov_b32_e32 v4, v2
	v_mov_b32_e32 v5, v2
	;; [unrolled: 1-line block ×31, first 2 shown]
.LBB61_152:                             ;   in Loop: Header=BB61_147 Depth=1
	s_or_b32 exec_lo, exec_lo, s7
	v_add_co_u32 v207, vcc_lo, v161, 1
	v_add_co_ci_u32_e64 v208, null, 0, v162, vcc_lo
	v_cmp_gt_i64_e32 vcc_lo, s[8:9], v[207:208]
	v_mov_b32_e32 v207, 0
	buffer_store_dword v207, off, s[36:39], 0 offset:252 ; 4-byte Folded Spill
	v_mov_b32_e32 v207, 0
	buffer_store_dword v207, off, s[36:39], 0 offset:256 ; 4-byte Folded Spill
	s_and_saveexec_b32 s7, vcc_lo
	s_cbranch_execz .LBB61_154
; %bb.153:                              ;   in Loop: Header=BB61_147 Depth=1
	v_add_co_u32 v207, vcc_lo, v200, v159
	v_add_co_ci_u32_e64 v208, null, v201, v160, vcc_lo
	v_add_co_u32 v209, vcc_lo, v202, v159
	v_add_co_ci_u32_e64 v210, null, v203, v160, vcc_lo
	global_load_dword v4, v[207:208], off
	global_load_dword v207, v[209:210], off
	s_waitcnt vmcnt(0)
	buffer_store_dword v207, off, s[36:39], 0 offset:256 ; 4-byte Folded Spill
.LBB61_154:                             ;   in Loop: Header=BB61_147 Depth=1
	s_or_b32 exec_lo, exec_lo, s7
	v_add_co_u32 v207, vcc_lo, v161, 2
	v_add_co_ci_u32_e64 v208, null, 0, v162, vcc_lo
	s_mov_b32 s7, exec_lo
	v_cmpx_gt_i64_e64 s[8:9], v[207:208]
	s_cbranch_execz .LBB61_156
; %bb.155:                              ;   in Loop: Header=BB61_147 Depth=1
	v_add_co_u32 v207, vcc_lo, v196, v159
	v_add_co_ci_u32_e64 v208, null, v197, v160, vcc_lo
	v_add_co_u32 v209, vcc_lo, v198, v159
	v_add_co_ci_u32_e64 v210, null, v199, v160, vcc_lo
	global_load_dword v5, v[207:208], off
	global_load_dword v207, v[209:210], off
	s_waitcnt vmcnt(0)
	buffer_store_dword v207, off, s[36:39], 0 offset:252 ; 4-byte Folded Spill
.LBB61_156:                             ;   in Loop: Header=BB61_147 Depth=1
	s_or_b32 exec_lo, exec_lo, s7
	v_add_co_u32 v207, vcc_lo, v161, 3
	v_add_co_ci_u32_e64 v208, null, 0, v162, vcc_lo
	v_cmp_gt_i64_e32 vcc_lo, s[8:9], v[207:208]
	v_mov_b32_e32 v207, 0
	buffer_store_dword v207, off, s[36:39], 0 offset:260 ; 4-byte Folded Spill
	v_mov_b32_e32 v207, 0
	buffer_store_dword v207, off, s[36:39], 0 offset:264 ; 4-byte Folded Spill
	s_and_saveexec_b32 s7, vcc_lo
	s_cbranch_execz .LBB61_158
; %bb.157:                              ;   in Loop: Header=BB61_147 Depth=1
	v_add_co_u32 v207, vcc_lo, v192, v159
	v_add_co_ci_u32_e64 v208, null, v193, v160, vcc_lo
	v_add_co_u32 v209, vcc_lo, v194, v159
	v_add_co_ci_u32_e64 v210, null, v195, v160, vcc_lo
	global_load_dword v6, v[207:208], off
	global_load_dword v207, v[209:210], off
	s_waitcnt vmcnt(0)
	buffer_store_dword v207, off, s[36:39], 0 offset:264 ; 4-byte Folded Spill
.LBB61_158:                             ;   in Loop: Header=BB61_147 Depth=1
	s_or_b32 exec_lo, exec_lo, s7
	v_add_co_u32 v207, vcc_lo, v161, 4
	v_add_co_ci_u32_e64 v208, null, 0, v162, vcc_lo
	s_mov_b32 s7, exec_lo
	v_cmpx_gt_i64_e64 s[8:9], v[207:208]
	s_cbranch_execz .LBB61_160
; %bb.159:                              ;   in Loop: Header=BB61_147 Depth=1
	v_add_co_u32 v207, vcc_lo, v188, v159
	v_add_co_ci_u32_e64 v208, null, v189, v160, vcc_lo
	v_add_co_u32 v209, vcc_lo, v190, v159
	v_add_co_ci_u32_e64 v210, null, v191, v160, vcc_lo
	global_load_dword v7, v[207:208], off
	global_load_dword v207, v[209:210], off
	s_waitcnt vmcnt(0)
	buffer_store_dword v207, off, s[36:39], 0 offset:260 ; 4-byte Folded Spill
.LBB61_160:                             ;   in Loop: Header=BB61_147 Depth=1
	;; [unrolled: 36-line block ×6, first 2 shown]
	s_or_b32 exec_lo, exec_lo, s7
	v_add_co_u32 v207, vcc_lo, v161, 13
	v_add_co_ci_u32_e64 v208, null, 0, v162, vcc_lo
	v_mov_b32_e32 v209, 0
	v_cmp_gt_i64_e32 vcc_lo, s[8:9], v[207:208]
	v_mov_b32_e32 v208, 0
	s_and_saveexec_b32 s7, vcc_lo
	s_cbranch_execz .LBB61_178
; %bb.177:                              ;   in Loop: Header=BB61_147 Depth=1
	v_add_co_u32 v209, vcc_lo, v242, v159
	v_add_co_ci_u32_e64 v210, null, v243, v160, vcc_lo
	v_add_co_u32 v211, vcc_lo, v244, v159
	v_add_co_ci_u32_e64 v212, null, v245, v160, vcc_lo
	global_load_dword v16, v[209:210], off
	global_load_dword v209, v[211:212], off
.LBB61_178:                             ;   in Loop: Header=BB61_147 Depth=1
	s_or_b32 exec_lo, exec_lo, s7
	v_add_co_u32 v210, vcc_lo, v161, 14
	v_add_co_ci_u32_e64 v211, null, 0, v162, vcc_lo
	s_mov_b32 s7, exec_lo
	v_cmpx_gt_i64_e64 s[8:9], v[210:211]
	s_cbranch_execz .LBB61_180
; %bb.179:                              ;   in Loop: Header=BB61_147 Depth=1
	v_add_co_u32 v207, vcc_lo, v238, v159
	v_add_co_ci_u32_e64 v208, null, v239, v160, vcc_lo
	v_add_co_u32 v210, vcc_lo, v240, v159
	v_add_co_ci_u32_e64 v211, null, v241, v160, vcc_lo
	global_load_dword v17, v[207:208], off
	global_load_dword v208, v[210:211], off
.LBB61_180:                             ;   in Loop: Header=BB61_147 Depth=1
	s_or_b32 exec_lo, exec_lo, s7
	v_add_co_u32 v210, vcc_lo, v161, 15
	v_add_co_ci_u32_e64 v211, null, 0, v162, vcc_lo
	v_cmp_gt_i64_e32 vcc_lo, s[8:9], v[210:211]
	v_mov_b32_e32 v210, 0
	v_mov_b32_e32 v211, 0
	s_and_saveexec_b32 s7, vcc_lo
	s_cbranch_execz .LBB61_182
; %bb.181:                              ;   in Loop: Header=BB61_147 Depth=1
	v_add_co_u32 v211, vcc_lo, v234, v159
	v_add_co_ci_u32_e64 v212, null, v235, v160, vcc_lo
	v_add_co_u32 v213, vcc_lo, v236, v159
	v_add_co_ci_u32_e64 v214, null, v237, v160, vcc_lo
	global_load_dword v18, v[211:212], off
	global_load_dword v211, v[213:214], off
.LBB61_182:                             ;   in Loop: Header=BB61_147 Depth=1
	s_or_b32 exec_lo, exec_lo, s7
	v_add_co_u32 v212, vcc_lo, v161, 16
	v_add_co_ci_u32_e64 v213, null, 0, v162, vcc_lo
	s_mov_b32 s7, exec_lo
	v_cmpx_gt_i64_e64 s[8:9], v[212:213]
	s_cbranch_execz .LBB61_184
; %bb.183:                              ;   in Loop: Header=BB61_147 Depth=1
	buffer_load_dword v19, off, s[36:39], 0 offset:240 ; 4-byte Folded Reload
	s_waitcnt vmcnt(0)
	v_add_co_u32 v212, vcc_lo, v19, v159
	buffer_load_dword v19, off, s[36:39], 0 offset:244 ; 4-byte Folded Reload
	s_waitcnt vmcnt(0)
	v_add_co_ci_u32_e64 v213, null, v19, v160, vcc_lo
	v_add_co_u32 v214, vcc_lo, v232, v159
	v_add_co_ci_u32_e64 v215, null, v233, v160, vcc_lo
	global_load_dword v19, v[212:213], off
	global_load_dword v210, v[214:215], off
.LBB61_184:                             ;   in Loop: Header=BB61_147 Depth=1
	s_or_b32 exec_lo, exec_lo, s7
	v_add_co_u32 v212, vcc_lo, v161, 17
	v_add_co_ci_u32_e64 v213, null, 0, v162, vcc_lo
	v_cmp_gt_i64_e32 vcc_lo, s[8:9], v[212:213]
	v_mov_b32_e32 v212, 0
	v_mov_b32_e32 v213, 0
	s_and_saveexec_b32 s7, vcc_lo
	s_cbranch_execz .LBB61_186
; %bb.185:                              ;   in Loop: Header=BB61_147 Depth=1
	buffer_load_dword v20, off, s[36:39], 0 offset:224 ; 4-byte Folded Reload
	s_waitcnt vmcnt(0)
	v_add_co_u32 v213, vcc_lo, v20, v159
	buffer_load_dword v20, off, s[36:39], 0 offset:228 ; 4-byte Folded Reload
	s_waitcnt vmcnt(0)
	v_add_co_ci_u32_e64 v214, null, v20, v160, vcc_lo
	buffer_load_dword v20, off, s[36:39], 0 offset:232 ; 4-byte Folded Reload
	s_waitcnt vmcnt(0)
	v_add_co_u32 v215, vcc_lo, v20, v159
	buffer_load_dword v20, off, s[36:39], 0 offset:236 ; 4-byte Folded Reload
	s_waitcnt vmcnt(0)
	v_add_co_ci_u32_e64 v216, null, v20, v160, vcc_lo
	global_load_dword v20, v[213:214], off
	global_load_dword v213, v[215:216], off
.LBB61_186:                             ;   in Loop: Header=BB61_147 Depth=1
	s_or_b32 exec_lo, exec_lo, s7
	v_add_co_u32 v214, vcc_lo, v161, 18
	v_add_co_ci_u32_e64 v215, null, 0, v162, vcc_lo
	s_mov_b32 s7, exec_lo
	v_cmpx_gt_i64_e64 s[8:9], v[214:215]
	s_cbranch_execz .LBB61_188
; %bb.187:                              ;   in Loop: Header=BB61_147 Depth=1
	buffer_load_dword v21, off, s[36:39], 0 offset:208 ; 4-byte Folded Reload
	s_waitcnt vmcnt(0)
	v_add_co_u32 v214, vcc_lo, v21, v159
	buffer_load_dword v21, off, s[36:39], 0 offset:212 ; 4-byte Folded Reload
	s_waitcnt vmcnt(0)
	v_add_co_ci_u32_e64 v215, null, v21, v160, vcc_lo
	buffer_load_dword v21, off, s[36:39], 0 offset:216 ; 4-byte Folded Reload
	s_waitcnt vmcnt(0)
	v_add_co_u32 v216, vcc_lo, v21, v159
	buffer_load_dword v21, off, s[36:39], 0 offset:220 ; 4-byte Folded Reload
	s_waitcnt vmcnt(0)
	v_add_co_ci_u32_e64 v217, null, v21, v160, vcc_lo
	global_load_dword v21, v[214:215], off
	global_load_dword v212, v[216:217], off
.LBB61_188:                             ;   in Loop: Header=BB61_147 Depth=1
	s_or_b32 exec_lo, exec_lo, s7
	v_add_co_u32 v214, vcc_lo, v161, 19
	v_add_co_ci_u32_e64 v215, null, 0, v162, vcc_lo
	v_mov_b32_e32 v207, 0
	v_cmp_gt_i64_e32 vcc_lo, s[8:9], v[214:215]
	v_mov_b32_e32 v214, 0
	s_and_saveexec_b32 s7, vcc_lo
	s_cbranch_execz .LBB61_190
; %bb.189:                              ;   in Loop: Header=BB61_147 Depth=1
	buffer_load_dword v22, off, s[36:39], 0 offset:192 ; 4-byte Folded Reload
	s_waitcnt vmcnt(0)
	v_add_co_u32 v215, vcc_lo, v22, v159
	buffer_load_dword v22, off, s[36:39], 0 offset:196 ; 4-byte Folded Reload
	s_waitcnt vmcnt(0)
	v_add_co_ci_u32_e64 v216, null, v22, v160, vcc_lo
	buffer_load_dword v22, off, s[36:39], 0 offset:200 ; 4-byte Folded Reload
	s_waitcnt vmcnt(0)
	v_add_co_u32 v217, vcc_lo, v22, v159
	buffer_load_dword v22, off, s[36:39], 0 offset:204 ; 4-byte Folded Reload
	s_waitcnt vmcnt(0)
	v_add_co_ci_u32_e64 v218, null, v22, v160, vcc_lo
	global_load_dword v22, v[215:216], off
	global_load_dword v207, v[217:218], off
.LBB61_190:                             ;   in Loop: Header=BB61_147 Depth=1
	s_or_b32 exec_lo, exec_lo, s7
	v_add_co_u32 v215, vcc_lo, v161, 20
	v_add_co_ci_u32_e64 v216, null, 0, v162, vcc_lo
	s_mov_b32 s7, exec_lo
	v_cmpx_gt_i64_e64 s[8:9], v[215:216]
	s_cbranch_execz .LBB61_192
; %bb.191:                              ;   in Loop: Header=BB61_147 Depth=1
	buffer_load_dword v23, off, s[36:39], 0 offset:176 ; 4-byte Folded Reload
	s_waitcnt vmcnt(0)
	v_add_co_u32 v214, vcc_lo, v23, v159
	buffer_load_dword v23, off, s[36:39], 0 offset:180 ; 4-byte Folded Reload
	s_waitcnt vmcnt(0)
	v_add_co_ci_u32_e64 v215, null, v23, v160, vcc_lo
	buffer_load_dword v23, off, s[36:39], 0 offset:184 ; 4-byte Folded Reload
	s_waitcnt vmcnt(0)
	v_add_co_u32 v216, vcc_lo, v23, v159
	buffer_load_dword v23, off, s[36:39], 0 offset:188 ; 4-byte Folded Reload
	s_waitcnt vmcnt(0)
	v_add_co_ci_u32_e64 v217, null, v23, v160, vcc_lo
	global_load_dword v23, v[214:215], off
	global_load_dword v214, v[216:217], off
.LBB61_192:                             ;   in Loop: Header=BB61_147 Depth=1
	s_or_b32 exec_lo, exec_lo, s7
	v_add_co_u32 v215, vcc_lo, v161, 21
	v_add_co_ci_u32_e64 v216, null, 0, v162, vcc_lo
	v_mov_b32_e32 v217, 0
	v_mov_b32_e32 v218, 0
	s_mov_b32 s7, exec_lo
	v_cmpx_gt_i64_e64 s[8:9], v[215:216]
	s_cbranch_execz .LBB61_194
; %bb.193:                              ;   in Loop: Header=BB61_147 Depth=1
	buffer_load_dword v24, off, s[36:39], 0 offset:160 ; 4-byte Folded Reload
	s_waitcnt vmcnt(0)
	v_add_co_u32 v215, vcc_lo, v24, v159
	buffer_load_dword v24, off, s[36:39], 0 offset:164 ; 4-byte Folded Reload
	s_waitcnt vmcnt(0)
	v_add_co_ci_u32_e64 v216, null, v24, v160, vcc_lo
	buffer_load_dword v24, off, s[36:39], 0 offset:168 ; 4-byte Folded Reload
	s_waitcnt vmcnt(0)
	v_add_co_u32 v218, vcc_lo, v24, v159
	buffer_load_dword v24, off, s[36:39], 0 offset:172 ; 4-byte Folded Reload
	s_waitcnt vmcnt(0)
	v_add_co_ci_u32_e64 v219, null, v24, v160, vcc_lo
	global_load_dword v24, v[215:216], off
	global_load_dword v218, v[218:219], off
.LBB61_194:                             ;   in Loop: Header=BB61_147 Depth=1
	s_or_b32 exec_lo, exec_lo, s7
	v_add_co_u32 v215, vcc_lo, v161, 22
	v_add_co_ci_u32_e64 v216, null, 0, v162, vcc_lo
	s_mov_b32 s7, exec_lo
	v_cmpx_gt_i64_e64 s[8:9], v[215:216]
	s_cbranch_execz .LBB61_196
; %bb.195:                              ;   in Loop: Header=BB61_147 Depth=1
	buffer_load_dword v25, off, s[36:39], 0 offset:144 ; 4-byte Folded Reload
	s_waitcnt vmcnt(0)
	v_add_co_u32 v215, vcc_lo, v25, v159
	buffer_load_dword v25, off, s[36:39], 0 offset:148 ; 4-byte Folded Reload
	s_waitcnt vmcnt(0)
	v_add_co_ci_u32_e64 v216, null, v25, v160, vcc_lo
	buffer_load_dword v25, off, s[36:39], 0 offset:152 ; 4-byte Folded Reload
	s_waitcnt vmcnt(0)
	v_add_co_u32 v219, vcc_lo, v25, v159
	buffer_load_dword v25, off, s[36:39], 0 offset:156 ; 4-byte Folded Reload
	s_waitcnt vmcnt(0)
	v_add_co_ci_u32_e64 v220, null, v25, v160, vcc_lo
	global_load_dword v25, v[215:216], off
	global_load_dword v217, v[219:220], off
.LBB61_196:                             ;   in Loop: Header=BB61_147 Depth=1
	s_or_b32 exec_lo, exec_lo, s7
	v_add_co_u32 v215, vcc_lo, v161, 23
	v_add_co_ci_u32_e64 v216, null, 0, v162, vcc_lo
	v_mov_b32_e32 v219, 0
	v_mov_b32_e32 v222, 0
	s_mov_b32 s7, exec_lo
	v_cmpx_gt_i64_e64 s[8:9], v[215:216]
	;; [unrolled: 46-line block ×3, first 2 shown]
	s_cbranch_execz .LBB61_202
; %bb.201:                              ;   in Loop: Header=BB61_147 Depth=1
	buffer_load_dword v28, off, s[36:39], 0 offset:96 ; 4-byte Folded Reload
	s_waitcnt vmcnt(0)
	v_add_co_u32 v215, vcc_lo, v28, v159
	buffer_load_dword v28, off, s[36:39], 0 offset:100 ; 4-byte Folded Reload
	s_waitcnt vmcnt(0)
	v_add_co_ci_u32_e64 v216, null, v28, v160, vcc_lo
	buffer_load_dword v28, off, s[36:39], 0 offset:104 ; 4-byte Folded Reload
	s_waitcnt vmcnt(0)
	v_add_co_u32 v220, vcc_lo, v28, v159
	buffer_load_dword v28, off, s[36:39], 0 offset:108 ; 4-byte Folded Reload
	s_waitcnt vmcnt(0)
	v_add_co_ci_u32_e64 v221, null, v28, v160, vcc_lo
	global_load_dword v28, v[215:216], off
	global_load_dword v224, v[220:221], off
.LBB61_202:                             ;   in Loop: Header=BB61_147 Depth=1
	s_or_b32 exec_lo, exec_lo, s7
	v_add_co_u32 v215, vcc_lo, v161, 26
	v_add_co_ci_u32_e64 v216, null, 0, v162, vcc_lo
	s_mov_b32 s7, exec_lo
	v_cmpx_gt_i64_e64 s[8:9], v[215:216]
	s_cbranch_execz .LBB61_204
; %bb.203:                              ;   in Loop: Header=BB61_147 Depth=1
	buffer_load_dword v29, off, s[36:39], 0 offset:80 ; 4-byte Folded Reload
	s_waitcnt vmcnt(0)
	v_add_co_u32 v215, vcc_lo, v29, v159
	buffer_load_dword v29, off, s[36:39], 0 offset:84 ; 4-byte Folded Reload
	s_waitcnt vmcnt(0)
	v_add_co_ci_u32_e64 v216, null, v29, v160, vcc_lo
	buffer_load_dword v29, off, s[36:39], 0 offset:88 ; 4-byte Folded Reload
	s_waitcnt vmcnt(0)
	v_add_co_u32 v220, vcc_lo, v29, v159
	buffer_load_dword v29, off, s[36:39], 0 offset:92 ; 4-byte Folded Reload
	s_waitcnt vmcnt(0)
	v_add_co_ci_u32_e64 v221, null, v29, v160, vcc_lo
	global_load_dword v29, v[215:216], off
	global_load_dword v223, v[220:221], off
.LBB61_204:                             ;   in Loop: Header=BB61_147 Depth=1
	s_or_b32 exec_lo, exec_lo, s7
	v_add_co_u32 v215, vcc_lo, v161, 27
	v_add_co_ci_u32_e64 v216, null, 0, v162, vcc_lo
	v_cmp_gt_i64_e32 vcc_lo, s[8:9], v[215:216]
	v_mov_b32_e32 v215, 0
	v_mov_b32_e32 v216, 0
	s_and_saveexec_b32 s7, vcc_lo
	s_cbranch_execz .LBB61_206
; %bb.205:                              ;   in Loop: Header=BB61_147 Depth=1
	buffer_load_dword v30, off, s[36:39], 0 offset:64 ; 4-byte Folded Reload
	s_waitcnt vmcnt(0)
	v_add_co_u32 v220, vcc_lo, v30, v159
	buffer_load_dword v30, off, s[36:39], 0 offset:68 ; 4-byte Folded Reload
	s_waitcnt vmcnt(0)
	v_add_co_ci_u32_e64 v221, null, v30, v160, vcc_lo
	buffer_load_dword v30, off, s[36:39], 0 offset:72 ; 4-byte Folded Reload
	s_waitcnt vmcnt(0)
	v_add_co_u32 v226, vcc_lo, v30, v159
	buffer_load_dword v30, off, s[36:39], 0 offset:76 ; 4-byte Folded Reload
	s_waitcnt vmcnt(0)
	v_add_co_ci_u32_e64 v227, null, v30, v160, vcc_lo
	global_load_dword v30, v[220:221], off
	global_load_dword v216, v[226:227], off
.LBB61_206:                             ;   in Loop: Header=BB61_147 Depth=1
	s_or_b32 exec_lo, exec_lo, s7
	v_add_co_u32 v220, vcc_lo, v161, 28
	v_add_co_ci_u32_e64 v221, null, 0, v162, vcc_lo
	s_mov_b32 s7, exec_lo
	v_cmpx_gt_i64_e64 s[8:9], v[220:221]
	s_cbranch_execz .LBB61_208
; %bb.207:                              ;   in Loop: Header=BB61_147 Depth=1
	buffer_load_dword v31, off, s[36:39], 0 offset:48 ; 4-byte Folded Reload
	s_waitcnt vmcnt(0)
	v_add_co_u32 v220, vcc_lo, v31, v159
	buffer_load_dword v31, off, s[36:39], 0 offset:52 ; 4-byte Folded Reload
	s_waitcnt vmcnt(0)
	v_add_co_ci_u32_e64 v221, null, v31, v160, vcc_lo
	buffer_load_dword v31, off, s[36:39], 0 offset:56 ; 4-byte Folded Reload
	s_waitcnt vmcnt(0)
	v_add_co_u32 v226, vcc_lo, v31, v159
	buffer_load_dword v31, off, s[36:39], 0 offset:60 ; 4-byte Folded Reload
	s_waitcnt vmcnt(0)
	v_add_co_ci_u32_e64 v227, null, v31, v160, vcc_lo
	global_load_dword v31, v[220:221], off
	global_load_dword v215, v[226:227], off
.LBB61_208:                             ;   in Loop: Header=BB61_147 Depth=1
	s_or_b32 exec_lo, exec_lo, s7
	v_add_co_u32 v220, vcc_lo, v161, 29
	v_add_co_ci_u32_e64 v221, null, 0, v162, vcc_lo
	v_cmp_gt_i64_e32 vcc_lo, s[8:9], v[220:221]
	v_mov_b32_e32 v220, 0
	v_mov_b32_e32 v221, 0
	s_and_saveexec_b32 s7, vcc_lo
	s_cbranch_execz .LBB61_210
; %bb.209:                              ;   in Loop: Header=BB61_147 Depth=1
	buffer_load_dword v32, off, s[36:39], 0 offset:32 ; 4-byte Folded Reload
	s_waitcnt vmcnt(0)
	v_add_co_u32 v226, vcc_lo, v32, v159
	buffer_load_dword v32, off, s[36:39], 0 offset:36 ; 4-byte Folded Reload
	s_waitcnt vmcnt(0)
	v_add_co_ci_u32_e64 v227, null, v32, v160, vcc_lo
	buffer_load_dword v32, off, s[36:39], 0 offset:40 ; 4-byte Folded Reload
	s_waitcnt vmcnt(0)
	v_add_co_u32 v228, vcc_lo, v32, v159
	buffer_load_dword v32, off, s[36:39], 0 offset:44 ; 4-byte Folded Reload
	s_waitcnt vmcnt(0)
	v_add_co_ci_u32_e64 v229, null, v32, v160, vcc_lo
	global_load_dword v32, v[226:227], off
	global_load_dword v221, v[228:229], off
.LBB61_210:                             ;   in Loop: Header=BB61_147 Depth=1
	s_or_b32 exec_lo, exec_lo, s7
	v_add_co_u32 v226, vcc_lo, v161, 30
	v_add_co_ci_u32_e64 v227, null, 0, v162, vcc_lo
	s_mov_b32 s7, exec_lo
	v_cmpx_gt_i64_e64 s[8:9], v[226:227]
	s_cbranch_execz .LBB61_212
; %bb.211:                              ;   in Loop: Header=BB61_147 Depth=1
	buffer_load_dword v33, off, s[36:39], 0 offset:16 ; 4-byte Folded Reload
	s_waitcnt vmcnt(0)
	v_add_co_u32 v226, vcc_lo, v33, v159
	buffer_load_dword v33, off, s[36:39], 0 offset:20 ; 4-byte Folded Reload
	s_waitcnt vmcnt(0)
	v_add_co_ci_u32_e64 v227, null, v33, v160, vcc_lo
	buffer_load_dword v33, off, s[36:39], 0 offset:24 ; 4-byte Folded Reload
	s_waitcnt vmcnt(0)
	v_add_co_u32 v228, vcc_lo, v33, v159
	buffer_load_dword v33, off, s[36:39], 0 offset:28 ; 4-byte Folded Reload
	s_waitcnt vmcnt(0)
	v_add_co_ci_u32_e64 v229, null, v33, v160, vcc_lo
	global_load_dword v33, v[226:227], off
	global_load_dword v220, v[228:229], off
.LBB61_212:                             ;   in Loop: Header=BB61_147 Depth=1
	s_or_b32 exec_lo, exec_lo, s7
	v_add_co_u32 v226, vcc_lo, v161, 31
	v_add_co_ci_u32_e64 v227, null, 0, v162, vcc_lo
	v_cmp_gt_i64_e32 vcc_lo, s[8:9], v[226:227]
	v_mov_b32_e32 v226, 0
	s_and_saveexec_b32 s7, vcc_lo
	s_cbranch_execz .LBB61_214
; %bb.213:                              ;   in Loop: Header=BB61_147 Depth=1
	buffer_load_dword v34, off, s[36:39], 0 ; 4-byte Folded Reload
	s_waitcnt vmcnt(0)
	v_add_co_u32 v226, vcc_lo, v34, v159
	buffer_load_dword v34, off, s[36:39], 0 offset:4 ; 4-byte Folded Reload
	s_waitcnt vmcnt(0)
	v_add_co_ci_u32_e64 v227, null, v34, v160, vcc_lo
	buffer_load_dword v34, off, s[36:39], 0 offset:8 ; 4-byte Folded Reload
	s_waitcnt vmcnt(0)
	v_add_co_u32 v228, vcc_lo, v34, v159
	buffer_load_dword v34, off, s[36:39], 0 offset:12 ; 4-byte Folded Reload
	s_waitcnt vmcnt(0)
	v_add_co_ci_u32_e64 v229, null, v34, v160, vcc_lo
	global_load_dword v34, v[226:227], off
	global_load_dword v226, v[228:229], off
.LBB61_214:                             ;   in Loop: Header=BB61_147 Depth=1
	s_or_b32 exec_lo, exec_lo, s7
	buffer_load_dword v228, off, s[36:39], 0 offset:256 ; 4-byte Folded Reload
	s_waitcnt vmcnt(2)
	ds_bpermute_b32 v227, v2, v206 offset:4
	ds_bpermute_b32 v165, v2, v206
	s_mov_b32 s7, 0
	s_waitcnt lgkmcnt(0)
	v_sub_f32_e32 v165, v231, v165
	s_waitcnt vmcnt(1)
	v_mul_f32_e32 v165, v3, v165
	v_add_f32_e32 v3, v230, v3
	v_add_f32_e32 v3, v4, v3
	;; [unrolled: 1-line block ×31, first 2 shown]
	s_waitcnt vmcnt(0)
	v_sub_f32_e32 v227, v228, v227
	ds_bpermute_b32 v228, v2, v205
	v_mul_f32_e32 v227, v4, v227
	ds_bpermute_b32 v4, v2, v206 offset:108
	s_waitcnt lgkmcnt(1)
	v_fma_f32 v165, v165, v228, v168
	ds_bpermute_b32 v228, v2, v205 offset:4
	s_waitcnt lgkmcnt(1)
	v_sub_f32_e32 v4, v216, v4
	v_mul_f32_e32 v4, v30, v4
	s_waitcnt lgkmcnt(0)
	v_fmac_f32_e32 v165, v227, v228
	buffer_load_dword v228, off, s[36:39], 0 offset:252 ; 4-byte Folded Reload
	ds_bpermute_b32 v227, v2, v206 offset:8
	s_waitcnt vmcnt(0) lgkmcnt(0)
	v_sub_f32_e32 v227, v228, v227
	ds_bpermute_b32 v228, v2, v205 offset:8
	v_mul_f32_e32 v227, v5, v227
	ds_bpermute_b32 v5, v2, v205 offset:108
	s_waitcnt lgkmcnt(1)
	v_fmac_f32_e32 v165, v227, v228
	buffer_load_dword v228, off, s[36:39], 0 offset:264 ; 4-byte Folded Reload
	ds_bpermute_b32 v227, v2, v206 offset:12
	s_waitcnt vmcnt(0) lgkmcnt(0)
	v_sub_f32_e32 v227, v228, v227
	ds_bpermute_b32 v228, v2, v205 offset:12
	v_mul_f32_e32 v227, v6, v227
	ds_bpermute_b32 v6, v2, v206 offset:116
	s_waitcnt lgkmcnt(1)
	v_fmac_f32_e32 v165, v227, v228
	buffer_load_dword v228, off, s[36:39], 0 offset:260 ; 4-byte Folded Reload
	ds_bpermute_b32 v227, v2, v206 offset:16
	s_waitcnt lgkmcnt(1)
	v_sub_f32_e32 v6, v221, v6
	v_mul_f32_e32 v6, v32, v6
	s_waitcnt vmcnt(0) lgkmcnt(0)
	v_sub_f32_e32 v227, v228, v227
	ds_bpermute_b32 v228, v2, v205 offset:16
	v_mul_f32_e32 v227, v7, v227
	ds_bpermute_b32 v7, v2, v205 offset:116
	s_waitcnt lgkmcnt(1)
	v_fmac_f32_e32 v165, v227, v228
	buffer_load_dword v228, off, s[36:39], 0 offset:272 ; 4-byte Folded Reload
	ds_bpermute_b32 v227, v2, v206 offset:20
	s_waitcnt vmcnt(0) lgkmcnt(0)
	v_sub_f32_e32 v227, v228, v227
	ds_bpermute_b32 v228, v2, v205 offset:20
	v_mul_f32_e32 v227, v8, v227
	ds_bpermute_b32 v8, v2, v205 offset:120
	s_waitcnt lgkmcnt(1)
	v_fmac_f32_e32 v165, v227, v228
	buffer_load_dword v228, off, s[36:39], 0 offset:268 ; 4-byte Folded Reload
	ds_bpermute_b32 v227, v2, v206 offset:24
	;; [unrolled: 9-line block ×3, first 2 shown]
	s_waitcnt vmcnt(0) lgkmcnt(0)
	v_sub_f32_e32 v227, v228, v227
	ds_bpermute_b32 v228, v2, v205 offset:28
	v_mul_f32_e32 v227, v10, v227
	s_waitcnt lgkmcnt(0)
	v_fmac_f32_e32 v165, v227, v228
	buffer_load_dword v228, off, s[36:39], 0 offset:276 ; 4-byte Folded Reload
	ds_bpermute_b32 v227, v2, v206 offset:32
	s_waitcnt vmcnt(0) lgkmcnt(0)
	v_sub_f32_e32 v227, v228, v227
	ds_bpermute_b32 v228, v2, v205 offset:32
	v_mul_f32_e32 v227, v11, v227
	s_waitcnt lgkmcnt(0)
	v_fmac_f32_e32 v165, v227, v228
	buffer_load_dword v228, off, s[36:39], 0 offset:288 ; 4-byte Folded Reload
	ds_bpermute_b32 v227, v2, v206 offset:36
	;; [unrolled: 8-line block ×5, first 2 shown]
	s_waitcnt vmcnt(0) lgkmcnt(0)
	v_sub_f32_e32 v227, v228, v227
	ds_bpermute_b32 v228, v2, v205 offset:48
	v_mul_f32_e32 v227, v15, v227
	s_waitcnt lgkmcnt(0)
	v_fmac_f32_e32 v165, v227, v228
	ds_bpermute_b32 v227, v2, v206 offset:52
	buffer_load_dword v228, off, s[36:39], 0 offset:308 ; 4-byte Folded Reload
	s_waitcnt lgkmcnt(0)
	v_sub_f32_e32 v209, v209, v227
	ds_bpermute_b32 v227, v2, v205 offset:52
	v_mul_f32_e32 v209, v16, v209
	s_waitcnt lgkmcnt(0)
	v_fmac_f32_e32 v165, v209, v227
	ds_bpermute_b32 v209, v2, v206 offset:56
	s_waitcnt lgkmcnt(0)
	v_sub_f32_e32 v208, v208, v209
	ds_bpermute_b32 v209, v2, v205 offset:56
	v_mul_f32_e32 v208, v17, v208
	s_waitcnt lgkmcnt(0)
	v_fmac_f32_e32 v165, v208, v209
	ds_bpermute_b32 v208, v2, v206 offset:60
	ds_bpermute_b32 v209, v2, v205 offset:60
	s_waitcnt lgkmcnt(1)
	v_sub_f32_e32 v208, v211, v208
	v_mul_f32_e32 v208, v18, v208
	s_waitcnt lgkmcnt(0)
	v_fmac_f32_e32 v165, v208, v209
	ds_bpermute_b32 v208, v2, v206 offset:64
	ds_bpermute_b32 v209, v2, v205 offset:64
	s_waitcnt lgkmcnt(1)
	v_sub_f32_e32 v208, v210, v208
	;; [unrolled: 7-line block ×4, first 2 shown]
	v_mul_f32_e32 v208, v21, v208
	s_waitcnt lgkmcnt(0)
	v_fmac_f32_e32 v165, v208, v209
	ds_bpermute_b32 v208, v2, v206 offset:76
	s_waitcnt lgkmcnt(0)
	v_sub_f32_e32 v207, v207, v208
	ds_bpermute_b32 v208, v2, v205 offset:76
	v_mul_f32_e32 v207, v22, v207
	s_waitcnt lgkmcnt(0)
	v_fmac_f32_e32 v165, v207, v208
	ds_bpermute_b32 v207, v2, v206 offset:80
	ds_bpermute_b32 v208, v2, v205 offset:80
	s_waitcnt lgkmcnt(1)
	v_sub_f32_e32 v207, v214, v207
	v_mul_f32_e32 v207, v23, v207
	s_waitcnt lgkmcnt(0)
	v_fmac_f32_e32 v165, v207, v208
	ds_bpermute_b32 v207, v2, v206 offset:84
	ds_bpermute_b32 v208, v2, v205 offset:84
	s_waitcnt lgkmcnt(1)
	v_sub_f32_e32 v207, v218, v207
	;; [unrolled: 7-line block ×7, first 2 shown]
	v_mul_f32_e32 v207, v29, v207
	s_waitcnt lgkmcnt(0)
	v_fmac_f32_e32 v165, v207, v208
	v_fmac_f32_e32 v165, v4, v5
	ds_bpermute_b32 v4, v2, v206 offset:112
	ds_bpermute_b32 v5, v2, v205 offset:112
	s_waitcnt lgkmcnt(1)
	v_sub_f32_e32 v4, v215, v4
	v_mul_f32_e32 v4, v31, v4
	s_waitcnt lgkmcnt(0)
	v_fmac_f32_e32 v165, v4, v5
	ds_bpermute_b32 v4, v2, v206 offset:120
	ds_bpermute_b32 v5, v2, v206 offset:124
	v_fmac_f32_e32 v165, v6, v7
	s_waitcnt lgkmcnt(1)
	v_sub_f32_e32 v4, v220, v4
	s_waitcnt lgkmcnt(0)
	v_sub_f32_e32 v5, v226, v5
	v_mul_f32_e32 v4, v33, v4
	v_mul_f32_e32 v5, v34, v5
	v_fmac_f32_e32 v165, v4, v8
	v_mul_f32_e32 v4, v5, v9
.LBB61_215:                             ;   in Loop: Header=BB61_147 Depth=1
	s_and_b32 vcc_lo, exec_lo, s7
	s_cbranch_vccz .LBB61_146
; %bb.216:                              ;   in Loop: Header=BB61_147 Depth=1
	s_load_dword s7, s[2:3], 0x0
	v_mov_b32_e32 v6, 0
	s_waitcnt lgkmcnt(0)
	s_cmp_lt_u32 s6, s7
	s_cselect_b32 s7, 12, 18
	s_add_u32 s24, s2, s7
	s_addc_u32 s25, s3, 0
	s_mov_b32 s7, exec_lo
	global_load_ushort v3, v2, s[24:25]
	s_clause 0x1
	buffer_load_dword v4, off, s[36:39], 0 offset:300
	buffer_load_dword v5, off, s[36:39], 0 offset:304
	s_waitcnt vmcnt(0)
	v_mov_b32_e32 v5, 0
	v_mad_u32_u24 v3, v4, v3, v228
	v_and_b32_e32 v3, 31, v3
	v_add_co_u32 v3, vcc_lo, v161, v3
	v_add_co_ci_u32_e64 v4, null, 0, v162, vcc_lo
	v_cmpx_gt_i64_e64 s[8:9], v[3:4]
	s_cbranch_execz .LBB61_145
; %bb.217:                              ;   in Loop: Header=BB61_147 Depth=1
	v_lshlrev_b64 v[3:4], 2, v[3:4]
	v_add_co_u32 v5, vcc_lo, s16, v3
	v_add_co_ci_u32_e64 v6, null, s17, v4, vcc_lo
	v_add_co_u32 v3, vcc_lo, s18, v3
	v_add_co_ci_u32_e64 v4, null, s19, v4, vcc_lo
	global_load_dword v6, v[5:6], off
	global_load_dword v5, v[3:4], off
	s_branch .LBB61_145
.LBB61_218:
	s_clause 0x1
	buffer_load_dword v1, off, s[36:39], 0 offset:300
	buffer_load_dword v2, off, s[36:39], 0 offset:304
.LBB61_219:
	s_mov_b32 s7, 0
	s_mov_b32 s1, exec_lo
	s_lshl_b64 s[2:3], s[6:7], 5
	v_or_b32_e32 v4, s2, v228
	v_mov_b32_e32 v5, s3
	v_cmpx_gt_i64_e64 s[10:11], v[4:5]
	s_cbranch_execz .LBB61_224
; %bb.220:
	s_clause 0x1
	s_load_dword s1, s[4:5], 0x4c
	s_load_dwordx4 s[4:7], s[4:5], 0x30
	s_waitcnt vmcnt(0)
	v_mov_b32_e32 v2, 0
	s_waitcnt lgkmcnt(0)
	s_lshr_b32 s1, s1, 16
	s_cmp_eq_u64 s[4:5], 0
	v_mad_u64_u32 v[2:3], null, s1, s0, v[1:2]
	v_lshlrev_b64 v[0:1], 2, v[4:5]
	v_mul_lo_u32 v3, v3, s10
	v_mul_lo_u32 v6, v2, s11
	s_cbranch_scc1 .LBB61_222
; %bb.221:
	v_mad_u64_u32 v[4:5], null, v2, s10, 0
	v_add3_u32 v5, v5, v6, v3
	v_lshlrev_b64 v[4:5], 2, v[4:5]
	v_add_co_u32 v4, vcc_lo, s4, v4
	v_add_co_ci_u32_e64 v5, null, s5, v5, vcc_lo
	v_add_co_u32 v4, vcc_lo, v4, v0
	v_add_co_ci_u32_e64 v5, null, v5, v1, vcc_lo
	global_store_dword v[4:5], v168, off
.LBB61_222:
	s_cmp_eq_u64 s[6:7], 0
	s_cbranch_scc1 .LBB61_224
; %bb.223:
	v_mad_u64_u32 v[4:5], null, v2, s10, 0
	v_add3_u32 v5, v5, v6, v3
	v_lshlrev_b64 v[2:3], 2, v[4:5]
	v_add_co_u32 v2, vcc_lo, s6, v2
	v_add_co_ci_u32_e64 v3, null, s7, v3, vcc_lo
	v_add_co_u32 v0, vcc_lo, v2, v0
	v_add_co_ci_u32_e64 v1, null, v3, v1, vcc_lo
	global_store_dword v[0:1], v230, off
.LBB61_224:
	s_endpgm
	.section	.rodata,"a",@progbits
	.p2align	6, 0x0
	.amdhsa_kernel _ZN2at6native12_GLOBAL__N_135GammaBetaBackwardCUDAKernelTemplateIffLj32ELj1ELj32ELb1ELb0ELb0EEEvllPKT_S5_PKT0_S8_PS3_S9_
		.amdhsa_group_segment_fixed_size 0
		.amdhsa_private_segment_fixed_size 316
		.amdhsa_kernarg_size 320
		.amdhsa_user_sgpr_count 6
		.amdhsa_user_sgpr_private_segment_buffer 1
		.amdhsa_user_sgpr_dispatch_ptr 0
		.amdhsa_user_sgpr_queue_ptr 0
		.amdhsa_user_sgpr_kernarg_segment_ptr 1
		.amdhsa_user_sgpr_dispatch_id 0
		.amdhsa_user_sgpr_flat_scratch_init 0
		.amdhsa_user_sgpr_private_segment_size 0
		.amdhsa_wavefront_size32 1
		.amdhsa_uses_dynamic_stack 0
		.amdhsa_system_sgpr_private_segment_wavefront_offset 1
		.amdhsa_system_sgpr_workgroup_id_x 1
		.amdhsa_system_sgpr_workgroup_id_y 1
		.amdhsa_system_sgpr_workgroup_id_z 0
		.amdhsa_system_sgpr_workgroup_info 0
		.amdhsa_system_vgpr_workitem_id 1
		.amdhsa_next_free_vgpr 256
		.amdhsa_next_free_sgpr 40
		.amdhsa_reserve_vcc 1
		.amdhsa_reserve_flat_scratch 0
		.amdhsa_float_round_mode_32 0
		.amdhsa_float_round_mode_16_64 0
		.amdhsa_float_denorm_mode_32 3
		.amdhsa_float_denorm_mode_16_64 3
		.amdhsa_dx10_clamp 1
		.amdhsa_ieee_mode 1
		.amdhsa_fp16_overflow 0
		.amdhsa_workgroup_processor_mode 1
		.amdhsa_memory_ordered 1
		.amdhsa_forward_progress 1
		.amdhsa_shared_vgpr_count 0
		.amdhsa_exception_fp_ieee_invalid_op 0
		.amdhsa_exception_fp_denorm_src 0
		.amdhsa_exception_fp_ieee_div_zero 0
		.amdhsa_exception_fp_ieee_overflow 0
		.amdhsa_exception_fp_ieee_underflow 0
		.amdhsa_exception_fp_ieee_inexact 0
		.amdhsa_exception_int_div_zero 0
	.end_amdhsa_kernel
	.section	.text._ZN2at6native12_GLOBAL__N_135GammaBetaBackwardCUDAKernelTemplateIffLj32ELj1ELj32ELb1ELb0ELb0EEEvllPKT_S5_PKT0_S8_PS3_S9_,"axG",@progbits,_ZN2at6native12_GLOBAL__N_135GammaBetaBackwardCUDAKernelTemplateIffLj32ELj1ELj32ELb1ELb0ELb0EEEvllPKT_S5_PKT0_S8_PS3_S9_,comdat
.Lfunc_end61:
	.size	_ZN2at6native12_GLOBAL__N_135GammaBetaBackwardCUDAKernelTemplateIffLj32ELj1ELj32ELb1ELb0ELb0EEEvllPKT_S5_PKT0_S8_PS3_S9_, .Lfunc_end61-_ZN2at6native12_GLOBAL__N_135GammaBetaBackwardCUDAKernelTemplateIffLj32ELj1ELj32ELb1ELb0ELb0EEEvllPKT_S5_PKT0_S8_PS3_S9_
                                        ; -- End function
	.set _ZN2at6native12_GLOBAL__N_135GammaBetaBackwardCUDAKernelTemplateIffLj32ELj1ELj32ELb1ELb0ELb0EEEvllPKT_S5_PKT0_S8_PS3_S9_.num_vgpr, 256
	.set _ZN2at6native12_GLOBAL__N_135GammaBetaBackwardCUDAKernelTemplateIffLj32ELj1ELj32ELb1ELb0ELb0EEEvllPKT_S5_PKT0_S8_PS3_S9_.num_agpr, 0
	.set _ZN2at6native12_GLOBAL__N_135GammaBetaBackwardCUDAKernelTemplateIffLj32ELj1ELj32ELb1ELb0ELb0EEEvllPKT_S5_PKT0_S8_PS3_S9_.numbered_sgpr, 40
	.set _ZN2at6native12_GLOBAL__N_135GammaBetaBackwardCUDAKernelTemplateIffLj32ELj1ELj32ELb1ELb0ELb0EEEvllPKT_S5_PKT0_S8_PS3_S9_.num_named_barrier, 0
	.set _ZN2at6native12_GLOBAL__N_135GammaBetaBackwardCUDAKernelTemplateIffLj32ELj1ELj32ELb1ELb0ELb0EEEvllPKT_S5_PKT0_S8_PS3_S9_.private_seg_size, 316
	.set _ZN2at6native12_GLOBAL__N_135GammaBetaBackwardCUDAKernelTemplateIffLj32ELj1ELj32ELb1ELb0ELb0EEEvllPKT_S5_PKT0_S8_PS3_S9_.uses_vcc, 1
	.set _ZN2at6native12_GLOBAL__N_135GammaBetaBackwardCUDAKernelTemplateIffLj32ELj1ELj32ELb1ELb0ELb0EEEvllPKT_S5_PKT0_S8_PS3_S9_.uses_flat_scratch, 0
	.set _ZN2at6native12_GLOBAL__N_135GammaBetaBackwardCUDAKernelTemplateIffLj32ELj1ELj32ELb1ELb0ELb0EEEvllPKT_S5_PKT0_S8_PS3_S9_.has_dyn_sized_stack, 0
	.set _ZN2at6native12_GLOBAL__N_135GammaBetaBackwardCUDAKernelTemplateIffLj32ELj1ELj32ELb1ELb0ELb0EEEvllPKT_S5_PKT0_S8_PS3_S9_.has_recursion, 0
	.set _ZN2at6native12_GLOBAL__N_135GammaBetaBackwardCUDAKernelTemplateIffLj32ELj1ELj32ELb1ELb0ELb0EEEvllPKT_S5_PKT0_S8_PS3_S9_.has_indirect_call, 0
	.section	.AMDGPU.csdata,"",@progbits
; Kernel info:
; codeLenInByte = 30360
; TotalNumSgprs: 42
; NumVgprs: 256
; ScratchSize: 316
; MemoryBound: 0
; FloatMode: 240
; IeeeMode: 1
; LDSByteSize: 0 bytes/workgroup (compile time only)
; SGPRBlocks: 0
; VGPRBlocks: 31
; NumSGPRsForWavesPerEU: 42
; NumVGPRsForWavesPerEU: 256
; Occupancy: 4
; WaveLimiterHint : 0
; COMPUTE_PGM_RSRC2:SCRATCH_EN: 1
; COMPUTE_PGM_RSRC2:USER_SGPR: 6
; COMPUTE_PGM_RSRC2:TRAP_HANDLER: 0
; COMPUTE_PGM_RSRC2:TGID_X_EN: 1
; COMPUTE_PGM_RSRC2:TGID_Y_EN: 1
; COMPUTE_PGM_RSRC2:TGID_Z_EN: 0
; COMPUTE_PGM_RSRC2:TIDIG_COMP_CNT: 1
	.section	.text._ZN2at6native12_GLOBAL__N_135GammaBetaBackwardCUDAKernelTemplateIffLj32ELj1ELj8ELb1ELb1ELb0EEEvllPKT_S5_PKT0_S8_PS3_S9_,"axG",@progbits,_ZN2at6native12_GLOBAL__N_135GammaBetaBackwardCUDAKernelTemplateIffLj32ELj1ELj8ELb1ELb1ELb0EEEvllPKT_S5_PKT0_S8_PS3_S9_,comdat
	.globl	_ZN2at6native12_GLOBAL__N_135GammaBetaBackwardCUDAKernelTemplateIffLj32ELj1ELj8ELb1ELb1ELb0EEEvllPKT_S5_PKT0_S8_PS3_S9_ ; -- Begin function _ZN2at6native12_GLOBAL__N_135GammaBetaBackwardCUDAKernelTemplateIffLj32ELj1ELj8ELb1ELb1ELb0EEEvllPKT_S5_PKT0_S8_PS3_S9_
	.p2align	8
	.type	_ZN2at6native12_GLOBAL__N_135GammaBetaBackwardCUDAKernelTemplateIffLj32ELj1ELj8ELb1ELb1ELb0EEEvllPKT_S5_PKT0_S8_PS3_S9_,@function
_ZN2at6native12_GLOBAL__N_135GammaBetaBackwardCUDAKernelTemplateIffLj32ELj1ELj8ELb1ELb1ELb0EEEvllPKT_S5_PKT0_S8_PS3_S9_: ; @_ZN2at6native12_GLOBAL__N_135GammaBetaBackwardCUDAKernelTemplateIffLj32ELj1ELj8ELb1ELb1ELb0EEEvllPKT_S5_PKT0_S8_PS3_S9_
; %bb.0:
	s_load_dwordx4 s[16:19], s[4:5], 0x0
	s_lshl_b32 s2, s7, 3
	s_mov_b32 s3, 0
	s_waitcnt lgkmcnt(0)
	v_cmp_gt_i64_e64 s0, s[16:17], s[2:3]
	s_and_b32 vcc_lo, exec_lo, s0
	s_cbranch_vccnz .LBB62_2
; %bb.1:
	s_add_u32 s24, s4, 64
	s_addc_u32 s25, s5, 0
	s_mov_b32 s0, s3
	s_branch .LBB62_3
.LBB62_2:
	s_mov_b32 s0, -1
                                        ; implicit-def: $sgpr24_sgpr25
.LBB62_3:
	s_load_dwordx4 s[20:23], s[4:5], 0x30
	v_mov_b32_e32 v17, 0
	v_mov_b32_e32 v9, 0
	s_andn2_b32 vcc_lo, exec_lo, s0
	s_cbranch_vccnz .LBB62_10
; %bb.4:
	s_clause 0x2
	s_load_dword s0, s[4:5], 0x4c
	s_load_dword s1, s[4:5], 0x44
	s_load_dwordx8 s[8:15], s[4:5], 0x10
	v_lshlrev_b32_e32 v2, 3, v1
	s_add_u32 s24, s4, 64
	s_addc_u32 s25, s5, 0
	v_mov_b32_e32 v3, 0
	v_mov_b32_e32 v8, 8
	v_add_co_u32 v4, s4, v2, s2
	v_add_co_ci_u32_e64 v5, null, 0, 0, s4
	v_lshl_or_b32 v2, s6, 5, v0
	v_mul_lo_u32 v9, s19, v4
	v_mad_u64_u32 v[6:7], null, s18, v4, 0
	v_mul_lo_u32 v18, s18, v5
	v_lshlrev_b64 v[16:17], 2, v[2:3]
	v_mov_b32_e32 v10, 4
	v_mov_b32_e32 v11, 12
	s_waitcnt lgkmcnt(0)
	s_and_b32 s0, s0, 0xffff
	s_lshl_b32 s26, s1, 3
	v_mad_u32_u24 v15, v1, s0, v0
	s_mul_i32 s1, s19, s26
	v_add3_u32 v7, v7, v18, v9
	s_mul_hi_u32 s4, s18, s26
	v_mov_b32_e32 v12, 16
	v_and_b32_e32 v20, 31, v15
	v_mov_b32_e32 v13, 20
	v_lshlrev_b64 v[18:19], 2, v[6:7]
	v_mov_b32_e32 v14, 24
	v_mov_b32_e32 v15, 28
	v_add_co_u32 v4, vcc_lo, v4, v20
	v_add_co_ci_u32_e64 v5, null, 0, v5, vcc_lo
	v_add_co_u32 v2, vcc_lo, v18, v16
	v_cmp_gt_u32_e64 s0, 8, v20
	v_lshlrev_b64 v[6:7], 2, v[4:5]
	v_add_co_ci_u32_e64 v16, null, v19, v17, vcc_lo
	v_mov_b32_e32 v9, 0
	v_mov_b32_e32 v17, 0
	s_mov_b32 s27, 0
	s_add_i32 s29, s4, s1
	s_mul_i32 s28, s18, s26
	s_lshl_b64 s[4:5], s[26:27], 2
	s_lshl_b64 s[28:29], s[28:29], 2
	;; [unrolled: 1-line block ×3, first 2 shown]
	s_branch .LBB62_7
.LBB62_5:                               ;   in Loop: Header=BB62_7 Depth=1
	s_or_b32 exec_lo, exec_lo, s27
.LBB62_6:                               ;   in Loop: Header=BB62_7 Depth=1
	s_or_b32 exec_lo, exec_lo, s1
	v_add_co_u32 v20, vcc_lo, s8, v2
	v_add_co_ci_u32_e64 v21, null, s9, v16, vcc_lo
	v_add_co_u32 v22, vcc_lo, s10, v2
	v_add_co_ci_u32_e64 v23, null, s11, v16, vcc_lo
	global_load_dword v30, v[20:21], off
	v_add_co_u32 v20, vcc_lo, v20, s30
	v_add_co_ci_u32_e64 v21, null, s31, v21, vcc_lo
	v_add_co_u32 v24, vcc_lo, v22, s30
	v_add_co_ci_u32_e64 v25, null, s31, v23, vcc_lo
	;; [unrolled: 2-line block ×4, first 2 shown]
	global_load_dword v31, v[22:23], off
	global_load_dword v32, v[20:21], off
	;; [unrolled: 1-line block ×5, first 2 shown]
	v_add_co_u32 v20, vcc_lo, v28, s30
	v_add_co_ci_u32_e64 v21, null, s31, v29, vcc_lo
	v_add_co_u32 v22, vcc_lo, v26, s30
	v_add_co_ci_u32_e64 v23, null, s31, v27, vcc_lo
	global_load_dword v36, v[20:21], off
	v_add_co_u32 v24, vcc_lo, v22, s30
	v_add_co_ci_u32_e64 v25, null, s31, v23, vcc_lo
	v_add_co_u32 v20, vcc_lo, v20, s30
	v_add_co_ci_u32_e64 v21, null, s31, v21, vcc_lo
	;; [unrolled: 2-line block ×4, first 2 shown]
	s_clause 0x1
	global_load_dword v37, v[22:23], off
	global_load_dword v24, v[24:25], off
	global_load_dword v25, v[20:21], off
	global_load_dword v38, v[26:27], off
	global_load_dword v39, v[28:29], off
	v_add_co_u32 v20, vcc_lo, v28, s30
	v_add_co_ci_u32_e64 v21, null, s31, v29, vcc_lo
	v_add_co_u32 v22, vcc_lo, v26, s30
	v_add_co_ci_u32_e64 v23, null, s31, v27, vcc_lo
	global_load_dword v26, v[20:21], off
	v_add_co_u32 v20, vcc_lo, v20, s30
	v_add_co_ci_u32_e64 v21, null, s31, v21, vcc_lo
	global_load_dword v27, v[22:23], off
	global_load_dword v28, v[20:21], off
	v_add_co_u32 v20, vcc_lo, v22, s30
	v_add_co_ci_u32_e64 v21, null, s31, v23, vcc_lo
	s_waitcnt vmcnt(16)
	ds_bpermute_b32 v22, v10, v19
	s_waitcnt vmcnt(15)
	ds_bpermute_b32 v23, v3, v18
	ds_bpermute_b32 v29, v8, v19
	global_load_dword v20, v[20:21], off
	ds_bpermute_b32 v21, v3, v19
	ds_bpermute_b32 v40, v10, v18
	ds_bpermute_b32 v41, v11, v19
	ds_bpermute_b32 v42, v12, v19
	ds_bpermute_b32 v43, v13, v19
	s_add_u32 s2, s2, s26
	v_add_co_u32 v6, vcc_lo, v6, s4
	s_addc_u32 s3, s3, 0
	v_add_co_ci_u32_e64 v7, null, s5, v7, vcc_lo
	v_add_co_u32 v4, vcc_lo, v4, s26
	v_cmp_lt_i64_e64 s1, s[2:3], s[16:17]
	v_add_co_ci_u32_e64 v5, null, 0, v5, vcc_lo
	v_add_co_u32 v2, vcc_lo, v2, s28
	v_add_co_ci_u32_e64 v16, null, s29, v16, vcc_lo
	s_and_b32 vcc_lo, exec_lo, s1
	s_waitcnt vmcnt(15)
	v_add_f32_e32 v17, v17, v30
	s_waitcnt vmcnt(14) lgkmcnt(4)
	v_sub_f32_e32 v21, v31, v21
	ds_bpermute_b32 v31, v8, v18
	s_waitcnt vmcnt(12)
	v_sub_f32_e32 v22, v33, v22
	ds_bpermute_b32 v33, v11, v18
	v_add_f32_e32 v17, v17, v32
	v_mul_f32_e32 v21, v30, v21
	ds_bpermute_b32 v30, v13, v18
	s_waitcnt vmcnt(11)
	v_add_f32_e32 v17, v17, v34
	v_fmac_f32_e32 v9, v21, v23
	v_mul_f32_e32 v21, v32, v22
	s_waitcnt vmcnt(10)
	v_sub_f32_e32 v22, v35, v29
	ds_bpermute_b32 v23, v12, v18
	ds_bpermute_b32 v29, v14, v19
	;; [unrolled: 1-line block ×3, first 2 shown]
	s_waitcnt lgkmcnt(9)
	v_fmac_f32_e32 v9, v21, v40
	v_mul_f32_e32 v21, v34, v22
	s_waitcnt vmcnt(9) lgkmcnt(8)
	v_sub_f32_e32 v22, v36, v41
	s_waitcnt lgkmcnt(5)
	v_fmac_f32_e32 v9, v21, v31
	s_waitcnt vmcnt(8)
	v_mul_f32_e32 v21, v37, v22
	v_add_f32_e32 v17, v17, v37
	s_waitcnt vmcnt(6)
	v_sub_f32_e32 v22, v25, v42
	ds_bpermute_b32 v25, v14, v18
	ds_bpermute_b32 v18, v15, v18
	s_waitcnt lgkmcnt(6)
	v_fmac_f32_e32 v9, v21, v33
	v_add_f32_e32 v17, v17, v24
	v_mul_f32_e32 v21, v24, v22
	s_waitcnt vmcnt(4)
	v_sub_f32_e32 v22, v39, v43
	v_add_f32_e32 v17, v17, v38
	s_waitcnt lgkmcnt(4)
	v_fmac_f32_e32 v9, v21, v23
	v_mul_f32_e32 v21, v38, v22
	s_waitcnt vmcnt(3) lgkmcnt(3)
	v_sub_f32_e32 v22, v26, v29
	v_fmac_f32_e32 v9, v21, v30
	s_waitcnt vmcnt(2)
	v_mul_f32_e32 v21, v27, v22
	s_waitcnt vmcnt(1) lgkmcnt(2)
	v_sub_f32_e32 v19, v28, v19
	v_add_f32_e32 v17, v17, v27
	s_waitcnt lgkmcnt(1)
	v_fmac_f32_e32 v9, v21, v25
	s_waitcnt vmcnt(0)
	v_mul_f32_e32 v19, v20, v19
	v_add_f32_e32 v17, v17, v20
	s_waitcnt lgkmcnt(0)
	v_fmac_f32_e32 v9, v19, v18
	s_cbranch_vccz .LBB62_10
.LBB62_7:                               ; =>This Inner Loop Header: Depth=1
	v_mov_b32_e32 v18, 0
	v_mov_b32_e32 v19, 0
	s_and_saveexec_b32 s1, s0
	s_cbranch_execz .LBB62_6
; %bb.8:                                ;   in Loop: Header=BB62_7 Depth=1
	v_mov_b32_e32 v19, 0
	v_mov_b32_e32 v18, 0
	s_mov_b32 s27, exec_lo
	v_cmpx_gt_i64_e64 s[16:17], v[4:5]
	s_cbranch_execz .LBB62_5
; %bb.9:                                ;   in Loop: Header=BB62_7 Depth=1
	v_add_co_u32 v18, vcc_lo, s12, v6
	v_add_co_ci_u32_e64 v19, null, s13, v7, vcc_lo
	v_add_co_u32 v20, vcc_lo, s14, v6
	v_add_co_ci_u32_e64 v21, null, s15, v7, vcc_lo
	global_load_dword v19, v[18:19], off
	global_load_dword v18, v[20:21], off
	s_branch .LBB62_5
.LBB62_10:
	s_load_dword s0, s[24:25], 0xc
	v_mov_b32_e32 v2, 0
	s_waitcnt lgkmcnt(0)
	s_lshr_b32 s0, s0, 16
	v_mad_u64_u32 v[1:2], null, s0, s7, v[1:2]
	s_mov_b32 s7, 0
	s_lshl_b64 s[0:1], s[6:7], 5
	s_cmp_eq_u64 s[20:21], 0
	v_or_b32_e32 v5, s0, v0
	v_mov_b32_e32 v6, s1
	v_mul_lo_u32 v0, v2, s18
	v_mul_lo_u32 v4, v1, s19
	v_lshlrev_b64 v[2:3], 2, v[5:6]
	s_cbranch_scc1 .LBB62_12
; %bb.11:
	v_mad_u64_u32 v[5:6], null, v1, s18, 0
	v_add3_u32 v6, v6, v4, v0
	v_lshlrev_b64 v[5:6], 2, v[5:6]
	v_add_co_u32 v5, vcc_lo, s20, v5
	v_add_co_ci_u32_e64 v6, null, s21, v6, vcc_lo
	v_add_co_u32 v5, vcc_lo, v5, v2
	v_add_co_ci_u32_e64 v6, null, v6, v3, vcc_lo
	global_store_dword v[5:6], v9, off
.LBB62_12:
	s_cmp_eq_u64 s[22:23], 0
	s_cbranch_scc1 .LBB62_14
; %bb.13:
	v_mad_u64_u32 v[5:6], null, v1, s18, 0
	v_add3_u32 v6, v6, v4, v0
	v_lshlrev_b64 v[0:1], 2, v[5:6]
	v_add_co_u32 v0, vcc_lo, s22, v0
	v_add_co_ci_u32_e64 v1, null, s23, v1, vcc_lo
	v_add_co_u32 v0, vcc_lo, v0, v2
	v_add_co_ci_u32_e64 v1, null, v1, v3, vcc_lo
	global_store_dword v[0:1], v17, off
.LBB62_14:
	s_endpgm
	.section	.rodata,"a",@progbits
	.p2align	6, 0x0
	.amdhsa_kernel _ZN2at6native12_GLOBAL__N_135GammaBetaBackwardCUDAKernelTemplateIffLj32ELj1ELj8ELb1ELb1ELb0EEEvllPKT_S5_PKT0_S8_PS3_S9_
		.amdhsa_group_segment_fixed_size 0
		.amdhsa_private_segment_fixed_size 0
		.amdhsa_kernarg_size 320
		.amdhsa_user_sgpr_count 6
		.amdhsa_user_sgpr_private_segment_buffer 1
		.amdhsa_user_sgpr_dispatch_ptr 0
		.amdhsa_user_sgpr_queue_ptr 0
		.amdhsa_user_sgpr_kernarg_segment_ptr 1
		.amdhsa_user_sgpr_dispatch_id 0
		.amdhsa_user_sgpr_flat_scratch_init 0
		.amdhsa_user_sgpr_private_segment_size 0
		.amdhsa_wavefront_size32 1
		.amdhsa_uses_dynamic_stack 0
		.amdhsa_system_sgpr_private_segment_wavefront_offset 0
		.amdhsa_system_sgpr_workgroup_id_x 1
		.amdhsa_system_sgpr_workgroup_id_y 1
		.amdhsa_system_sgpr_workgroup_id_z 0
		.amdhsa_system_sgpr_workgroup_info 0
		.amdhsa_system_vgpr_workitem_id 1
		.amdhsa_next_free_vgpr 44
		.amdhsa_next_free_sgpr 32
		.amdhsa_reserve_vcc 1
		.amdhsa_reserve_flat_scratch 0
		.amdhsa_float_round_mode_32 0
		.amdhsa_float_round_mode_16_64 0
		.amdhsa_float_denorm_mode_32 3
		.amdhsa_float_denorm_mode_16_64 3
		.amdhsa_dx10_clamp 1
		.amdhsa_ieee_mode 1
		.amdhsa_fp16_overflow 0
		.amdhsa_workgroup_processor_mode 1
		.amdhsa_memory_ordered 1
		.amdhsa_forward_progress 1
		.amdhsa_shared_vgpr_count 0
		.amdhsa_exception_fp_ieee_invalid_op 0
		.amdhsa_exception_fp_denorm_src 0
		.amdhsa_exception_fp_ieee_div_zero 0
		.amdhsa_exception_fp_ieee_overflow 0
		.amdhsa_exception_fp_ieee_underflow 0
		.amdhsa_exception_fp_ieee_inexact 0
		.amdhsa_exception_int_div_zero 0
	.end_amdhsa_kernel
	.section	.text._ZN2at6native12_GLOBAL__N_135GammaBetaBackwardCUDAKernelTemplateIffLj32ELj1ELj8ELb1ELb1ELb0EEEvllPKT_S5_PKT0_S8_PS3_S9_,"axG",@progbits,_ZN2at6native12_GLOBAL__N_135GammaBetaBackwardCUDAKernelTemplateIffLj32ELj1ELj8ELb1ELb1ELb0EEEvllPKT_S5_PKT0_S8_PS3_S9_,comdat
.Lfunc_end62:
	.size	_ZN2at6native12_GLOBAL__N_135GammaBetaBackwardCUDAKernelTemplateIffLj32ELj1ELj8ELb1ELb1ELb0EEEvllPKT_S5_PKT0_S8_PS3_S9_, .Lfunc_end62-_ZN2at6native12_GLOBAL__N_135GammaBetaBackwardCUDAKernelTemplateIffLj32ELj1ELj8ELb1ELb1ELb0EEEvllPKT_S5_PKT0_S8_PS3_S9_
                                        ; -- End function
	.set _ZN2at6native12_GLOBAL__N_135GammaBetaBackwardCUDAKernelTemplateIffLj32ELj1ELj8ELb1ELb1ELb0EEEvllPKT_S5_PKT0_S8_PS3_S9_.num_vgpr, 44
	.set _ZN2at6native12_GLOBAL__N_135GammaBetaBackwardCUDAKernelTemplateIffLj32ELj1ELj8ELb1ELb1ELb0EEEvllPKT_S5_PKT0_S8_PS3_S9_.num_agpr, 0
	.set _ZN2at6native12_GLOBAL__N_135GammaBetaBackwardCUDAKernelTemplateIffLj32ELj1ELj8ELb1ELb1ELb0EEEvllPKT_S5_PKT0_S8_PS3_S9_.numbered_sgpr, 32
	.set _ZN2at6native12_GLOBAL__N_135GammaBetaBackwardCUDAKernelTemplateIffLj32ELj1ELj8ELb1ELb1ELb0EEEvllPKT_S5_PKT0_S8_PS3_S9_.num_named_barrier, 0
	.set _ZN2at6native12_GLOBAL__N_135GammaBetaBackwardCUDAKernelTemplateIffLj32ELj1ELj8ELb1ELb1ELb0EEEvllPKT_S5_PKT0_S8_PS3_S9_.private_seg_size, 0
	.set _ZN2at6native12_GLOBAL__N_135GammaBetaBackwardCUDAKernelTemplateIffLj32ELj1ELj8ELb1ELb1ELb0EEEvllPKT_S5_PKT0_S8_PS3_S9_.uses_vcc, 1
	.set _ZN2at6native12_GLOBAL__N_135GammaBetaBackwardCUDAKernelTemplateIffLj32ELj1ELj8ELb1ELb1ELb0EEEvllPKT_S5_PKT0_S8_PS3_S9_.uses_flat_scratch, 0
	.set _ZN2at6native12_GLOBAL__N_135GammaBetaBackwardCUDAKernelTemplateIffLj32ELj1ELj8ELb1ELb1ELb0EEEvllPKT_S5_PKT0_S8_PS3_S9_.has_dyn_sized_stack, 0
	.set _ZN2at6native12_GLOBAL__N_135GammaBetaBackwardCUDAKernelTemplateIffLj32ELj1ELj8ELb1ELb1ELb0EEEvllPKT_S5_PKT0_S8_PS3_S9_.has_recursion, 0
	.set _ZN2at6native12_GLOBAL__N_135GammaBetaBackwardCUDAKernelTemplateIffLj32ELj1ELj8ELb1ELb1ELb0EEEvllPKT_S5_PKT0_S8_PS3_S9_.has_indirect_call, 0
	.section	.AMDGPU.csdata,"",@progbits
; Kernel info:
; codeLenInByte = 1460
; TotalNumSgprs: 34
; NumVgprs: 44
; ScratchSize: 0
; MemoryBound: 0
; FloatMode: 240
; IeeeMode: 1
; LDSByteSize: 0 bytes/workgroup (compile time only)
; SGPRBlocks: 0
; VGPRBlocks: 5
; NumSGPRsForWavesPerEU: 34
; NumVGPRsForWavesPerEU: 44
; Occupancy: 16
; WaveLimiterHint : 0
; COMPUTE_PGM_RSRC2:SCRATCH_EN: 0
; COMPUTE_PGM_RSRC2:USER_SGPR: 6
; COMPUTE_PGM_RSRC2:TRAP_HANDLER: 0
; COMPUTE_PGM_RSRC2:TGID_X_EN: 1
; COMPUTE_PGM_RSRC2:TGID_Y_EN: 1
; COMPUTE_PGM_RSRC2:TGID_Z_EN: 0
; COMPUTE_PGM_RSRC2:TIDIG_COMP_CNT: 1
	.section	.text._ZN2at6native12_GLOBAL__N_135GammaBetaBackwardCUDAKernelTemplateIffLj32ELj1ELj8ELb1ELb0ELb0EEEvllPKT_S5_PKT0_S8_PS3_S9_,"axG",@progbits,_ZN2at6native12_GLOBAL__N_135GammaBetaBackwardCUDAKernelTemplateIffLj32ELj1ELj8ELb1ELb0ELb0EEEvllPKT_S5_PKT0_S8_PS3_S9_,comdat
	.globl	_ZN2at6native12_GLOBAL__N_135GammaBetaBackwardCUDAKernelTemplateIffLj32ELj1ELj8ELb1ELb0ELb0EEEvllPKT_S5_PKT0_S8_PS3_S9_ ; -- Begin function _ZN2at6native12_GLOBAL__N_135GammaBetaBackwardCUDAKernelTemplateIffLj32ELj1ELj8ELb1ELb0ELb0EEEvllPKT_S5_PKT0_S8_PS3_S9_
	.p2align	8
	.type	_ZN2at6native12_GLOBAL__N_135GammaBetaBackwardCUDAKernelTemplateIffLj32ELj1ELj8ELb1ELb0ELb0EEEvllPKT_S5_PKT0_S8_PS3_S9_,@function
_ZN2at6native12_GLOBAL__N_135GammaBetaBackwardCUDAKernelTemplateIffLj32ELj1ELj8ELb1ELb0ELb0EEEvllPKT_S5_PKT0_S8_PS3_S9_: ; @_ZN2at6native12_GLOBAL__N_135GammaBetaBackwardCUDAKernelTemplateIffLj32ELj1ELj8ELb1ELb0ELb0EEEvllPKT_S5_PKT0_S8_PS3_S9_
; %bb.0:
	s_clause 0x1
	s_load_dwordx8 s[12:19], s[4:5], 0x0
	s_load_dwordx4 s[20:23], s[4:5], 0x20
	s_mov_b32 s0, s7
	s_lshl_b32 s7, s6, 5
	s_mov_b32 s25, 0
	s_or_b32 s24, s7, 31
	s_waitcnt lgkmcnt(0)
	v_cmp_le_i64_e64 s1, s[14:15], s[24:25]
	s_lshl_b32 s24, s0, 3
	v_cmp_gt_i64_e64 s28, s[12:13], s[24:25]
	s_and_b32 vcc_lo, exec_lo, s1
	v_cndmask_b32_e64 v2, 0, 1, s28
	v_cmp_ne_u32_e64 s1, 1, v2
	s_cbranch_vccz .LBB63_49
; %bb.1:
	v_mov_b32_e32 v51, 0
	v_mov_b32_e32 v57, 0
	s_and_b32 vcc_lo, exec_lo, s1
	s_cbranch_vccnz .LBB63_50
; %bb.2:
	v_lshlrev_b32_e32 v23, 3, v1
	v_mov_b32_e32 v2, 0
	v_add_nc_u32_e32 v3, s7, v0
	s_load_dword s2, s[4:5], 0x44
	s_add_u32 s8, s4, 64
	v_add_co_u32 v11, s1, v23, s24
	v_add_co_ci_u32_e64 v12, null, 0, 0, s1
	v_mov_b32_e32 v4, v2
	v_mul_lo_u32 v7, s15, v11
	v_mad_u64_u32 v[5:6], null, s14, v11, 0
	v_mul_lo_u32 v8, s14, v12
	v_cmp_gt_i64_e64 s1, s[14:15], v[3:4]
	v_lshlrev_b64 v[19:20], 2, v[3:4]
	s_addc_u32 s9, s5, 0
	v_mov_b32_e32 v24, v2
	v_mov_b32_e32 v59, 0
	;; [unrolled: 1-line block ×3, first 2 shown]
	s_mov_b64 s[26:27], s[24:25]
	v_add3_u32 v6, v6, v8, v7
	v_add_co_u32 v7, vcc_lo, v11, 7
	v_add_co_ci_u32_e64 v8, null, 0, v12, vcc_lo
	v_add_co_u32 v9, vcc_lo, v11, 6
	v_add_co_ci_u32_e64 v10, null, 0, v12, vcc_lo
	v_lshlrev_b64 v[3:4], 2, v[5:6]
	v_mul_lo_u32 v13, s15, v7
	v_mul_lo_u32 v14, s14, v8
	v_mad_u64_u32 v[7:8], null, s14, v7, 0
	v_mul_lo_u32 v15, s15, v9
	v_mul_lo_u32 v16, s14, v10
	v_mad_u64_u32 v[9:10], null, s14, v9, 0
	v_add_co_u32 v25, vcc_lo, s16, v3
	v_add_co_ci_u32_e64 v26, null, s17, v4, vcc_lo
	v_add_co_u32 v27, vcc_lo, s18, v3
	v_add3_u32 v8, v8, v14, v13
	v_add_co_ci_u32_e64 v28, null, s19, v4, vcc_lo
	v_add_co_u32 v13, vcc_lo, v11, 5
	v_add3_u32 v10, v10, v16, v15
	v_add_co_ci_u32_e64 v14, null, 0, v12, vcc_lo
	v_lshlrev_b64 v[3:4], 2, v[7:8]
	v_mul_lo_u32 v15, s15, v13
	v_lshlrev_b64 v[7:8], 2, v[9:10]
	v_mul_lo_u32 v14, s14, v14
	v_mad_u64_u32 v[9:10], null, s14, v13, 0
	v_add_co_u32 v29, vcc_lo, s16, v3
	v_add_co_ci_u32_e64 v30, null, s17, v4, vcc_lo
	v_add_co_u32 v31, vcc_lo, s18, v3
	s_waitcnt lgkmcnt(0)
	s_lshl_b32 s29, s2, 3
	v_add_co_ci_u32_e64 v32, null, s19, v4, vcc_lo
	v_add_co_u32 v33, vcc_lo, s16, v7
	v_add3_u32 v10, v10, v14, v15
	s_mul_i32 s2, s15, s29
	s_mul_hi_u32 s3, s14, s29
	v_add_co_ci_u32_e64 v34, null, s17, v8, vcc_lo
	v_add_co_u32 v13, vcc_lo, v11, 4
	s_add_i32 s11, s3, s2
	v_add_co_u32 v35, s2, s18, v7
	v_add_co_ci_u32_e64 v7, null, 0, v12, vcc_lo
	v_lshlrev_b64 v[3:4], 2, v[9:10]
	v_add_co_u32 v9, vcc_lo, v11, 3
	v_add_co_ci_u32_e64 v10, null, 0, v12, vcc_lo
	v_add_co_ci_u32_e64 v36, null, s19, v8, s2
	v_mul_lo_u32 v14, s15, v13
	v_mul_lo_u32 v15, s14, v7
	v_mad_u64_u32 v[7:8], null, s14, v13, 0
	v_mul_lo_u32 v13, s15, v9
	v_mul_lo_u32 v16, s14, v10
	v_mad_u64_u32 v[9:10], null, s14, v9, 0
	v_add_co_u32 v37, vcc_lo, s16, v3
	v_add_co_ci_u32_e64 v38, null, s17, v4, vcc_lo
	v_add3_u32 v8, v8, v15, v14
	v_add_co_u32 v39, vcc_lo, s18, v3
	v_add_co_ci_u32_e64 v40, null, s19, v4, vcc_lo
	v_add_co_u32 v11, vcc_lo, v11, 2
	v_add3_u32 v10, v10, v16, v13
	v_add_co_ci_u32_e64 v12, null, 0, v12, vcc_lo
	v_lshlrev_b64 v[3:4], 2, v[7:8]
	v_mul_lo_u32 v13, s15, v11
	v_lshlrev_b64 v[7:8], 2, v[9:10]
	v_mul_lo_u32 v12, s14, v12
	v_mad_u64_u32 v[9:10], null, s14, v11, 0
	v_add_co_u32 v41, vcc_lo, s16, v3
	v_add_co_ci_u32_e64 v42, null, s17, v4, vcc_lo
	v_add_co_u32 v43, vcc_lo, s18, v3
	v_add_co_ci_u32_e64 v44, null, s19, v4, vcc_lo
	;; [unrolled: 2-line block ×3, first 2 shown]
	v_add3_u32 v10, v10, v12, v13
	v_add_co_u32 v47, vcc_lo, s18, v7
	v_add_co_ci_u32_e64 v48, null, s19, v8, vcc_lo
	v_add_co_u32 v5, vcc_lo, v5, s14
	v_add_co_ci_u32_e64 v6, null, s15, v6, vcc_lo
	v_lshlrev_b64 v[3:4], 2, v[9:10]
	s_mul_i32 s10, s14, s29
	v_lshlrev_b64 v[5:6], 2, v[5:6]
	s_lshl_b64 s[2:3], s[10:11], 2
	s_mov_b64 s[10:11], 7
	v_add_co_u32 v49, vcc_lo, s16, v3
	v_add_co_ci_u32_e64 v50, null, s17, v4, vcc_lo
	v_add_co_u32 v52, vcc_lo, s18, v3
	v_add_co_ci_u32_e64 v53, null, s19, v4, vcc_lo
	;; [unrolled: 2-line block ×4, first 2 shown]
.LBB63_3:                               ; =>This Inner Loop Header: Depth=1
	s_add_u32 s30, s24, s10
	s_addc_u32 s31, 0, s11
	v_add_co_u32 v21, vcc_lo, s24, v23
	v_cmp_ge_i64_e64 s30, s[30:31], s[12:13]
	v_add_co_ci_u32_e64 v22, null, 0, v24, vcc_lo
                                        ; implicit-def: $vgpr3_vgpr4_vgpr5_vgpr6_vgpr7_vgpr8_vgpr9_vgpr10
                                        ; implicit-def: $vgpr61
                                        ; implicit-def: $vgpr11_vgpr12_vgpr13_vgpr14_vgpr15_vgpr16_vgpr17_vgpr18
                                        ; implicit-def: $vgpr3
                                        ; implicit-def: $vgpr4
                                        ; implicit-def: $vgpr57
	s_and_b32 vcc_lo, exec_lo, s30
	s_mov_b32 s30, -1
	s_cbranch_vccz .LBB63_25
; %bb.4:                                ;   in Loop: Header=BB63_3 Depth=1
	s_load_dword s30, s[8:9], 0xc
	v_mov_b32_e32 v61, 0
	v_mov_b32_e32 v60, 0
	s_waitcnt lgkmcnt(0)
	s_and_b32 s30, s30, 0xffff
	v_mad_u32_u24 v3, v1, s30, v0
	s_mov_b32 s30, exec_lo
	v_and_b32_e32 v3, 31, v3
	v_cmpx_gt_u32_e32 8, v3
	s_cbranch_execz .LBB63_8
; %bb.5:                                ;   in Loop: Header=BB63_3 Depth=1
	v_add_co_u32 v3, vcc_lo, v21, v3
	v_add_co_ci_u32_e64 v4, null, 0, v22, vcc_lo
	v_mov_b32_e32 v60, 0
	v_mov_b32_e32 v61, 0
	s_mov_b32 s31, exec_lo
	v_cmpx_gt_i64_e64 s[12:13], v[3:4]
	s_cbranch_execz .LBB63_7
; %bb.6:                                ;   in Loop: Header=BB63_3 Depth=1
	v_lshlrev_b64 v[3:4], 2, v[3:4]
	v_add_co_u32 v5, vcc_lo, s20, v3
	v_add_co_ci_u32_e64 v6, null, s21, v4, vcc_lo
	v_add_co_u32 v3, vcc_lo, s22, v3
	v_add_co_ci_u32_e64 v4, null, s23, v4, vcc_lo
	global_load_dword v60, v[5:6], off
	global_load_dword v61, v[3:4], off
.LBB63_7:                               ;   in Loop: Header=BB63_3 Depth=1
	s_or_b32 exec_lo, exec_lo, s31
.LBB63_8:                               ;   in Loop: Header=BB63_3 Depth=1
	s_or_b32 exec_lo, exec_lo, s30
	v_mov_b32_e32 v9, v2
	v_mov_b32_e32 v3, v2
	;; [unrolled: 1-line block ×7, first 2 shown]
	v_cmp_gt_i64_e32 vcc_lo, s[12:13], v[21:22]
	v_mov_b32_e32 v18, v9
	v_mov_b32_e32 v15, v6
	;; [unrolled: 1-line block ×16, first 2 shown]
	s_and_b32 s31, s1, vcc_lo
	s_and_saveexec_b32 s30, s31
	s_cbranch_execz .LBB63_10
; %bb.9:                                ;   in Loop: Header=BB63_3 Depth=1
	v_add_co_u32 v3, vcc_lo, v25, v19
	v_add_co_ci_u32_e64 v4, null, v26, v20, vcc_lo
	v_add_co_u32 v5, vcc_lo, v27, v19
	v_add_co_ci_u32_e64 v6, null, v28, v20, vcc_lo
	global_load_dword v3, v[3:4], off
	global_load_dword v11, v[5:6], off
	v_mov_b32_e32 v4, v2
	v_mov_b32_e32 v5, v2
	;; [unrolled: 1-line block ×14, first 2 shown]
.LBB63_10:                              ;   in Loop: Header=BB63_3 Depth=1
	s_or_b32 exec_lo, exec_lo, s30
	v_add_co_u32 v62, vcc_lo, v21, 1
	v_add_co_ci_u32_e64 v63, null, 0, v22, vcc_lo
	v_cmp_gt_i64_e32 vcc_lo, s[12:13], v[62:63]
	s_and_b32 s31, s1, vcc_lo
	s_and_saveexec_b32 s30, s31
	s_cbranch_execz .LBB63_12
; %bb.11:                               ;   in Loop: Header=BB63_3 Depth=1
	v_add_co_u32 v62, vcc_lo, v54, v19
	v_add_co_ci_u32_e64 v63, null, v55, v20, vcc_lo
	v_add_co_u32 v64, vcc_lo, v56, v19
	v_add_co_ci_u32_e64 v65, null, v58, v20, vcc_lo
	global_load_dword v4, v[62:63], off
	global_load_dword v12, v[64:65], off
.LBB63_12:                              ;   in Loop: Header=BB63_3 Depth=1
	s_or_b32 exec_lo, exec_lo, s30
	v_add_co_u32 v62, vcc_lo, v21, 2
	v_add_co_ci_u32_e64 v63, null, 0, v22, vcc_lo
	v_cmp_gt_i64_e32 vcc_lo, s[12:13], v[62:63]
	s_and_b32 s31, s1, vcc_lo
	s_and_saveexec_b32 s30, s31
	s_cbranch_execz .LBB63_14
; %bb.13:                               ;   in Loop: Header=BB63_3 Depth=1
	v_add_co_u32 v62, vcc_lo, v49, v19
	v_add_co_ci_u32_e64 v63, null, v50, v20, vcc_lo
	v_add_co_u32 v64, vcc_lo, v52, v19
	v_add_co_ci_u32_e64 v65, null, v53, v20, vcc_lo
	global_load_dword v5, v[62:63], off
	global_load_dword v13, v[64:65], off
.LBB63_14:                              ;   in Loop: Header=BB63_3 Depth=1
	;; [unrolled: 15-line block ×7, first 2 shown]
	s_or_b32 exec_lo, exec_lo, s30
	s_waitcnt vmcnt(1)
	ds_bpermute_b32 v57, v2, v60
	ds_bpermute_b32 v62, v2, v60 offset:4
	ds_bpermute_b32 v63, v2, v60 offset:8
	s_waitcnt vmcnt(0)
	ds_bpermute_b32 v64, v2, v61
	ds_bpermute_b32 v65, v2, v60 offset:12
	ds_bpermute_b32 v66, v2, v61 offset:4
	;; [unrolled: 1-line block ×4, first 2 shown]
	v_add_f32_e32 v69, v51, v3
	ds_bpermute_b32 v70, v2, v61 offset:12
	ds_bpermute_b32 v71, v2, v60 offset:20
	s_mov_b32 s30, 0
	s_waitcnt lgkmcnt(9)
	v_sub_f32_e32 v11, v11, v57
	s_waitcnt lgkmcnt(8)
	v_sub_f32_e32 v12, v12, v62
	ds_bpermute_b32 v62, v2, v60 offset:24
	s_waitcnt lgkmcnt(8)
	v_sub_f32_e32 v13, v13, v63
	ds_bpermute_b32 v63, v2, v61 offset:20
	v_mul_f32_e32 v3, v3, v11
	ds_bpermute_b32 v11, v2, v61 offset:16
	v_mul_f32_e32 v12, v4, v12
	v_mul_f32_e32 v13, v5, v13
	v_add_f32_e32 v4, v4, v69
	s_waitcnt lgkmcnt(9)
	v_fma_f32 v57, v3, v64, v59
	s_waitcnt lgkmcnt(8)
	v_sub_f32_e32 v3, v14, v65
	ds_bpermute_b32 v64, v2, v61 offset:24
	ds_bpermute_b32 v61, v2, v61 offset:28
	v_add_f32_e32 v4, v5, v4
	s_waitcnt lgkmcnt(9)
	v_fmac_f32_e32 v57, v12, v66
	s_waitcnt lgkmcnt(8)
	v_sub_f32_e32 v12, v15, v67
	v_mul_f32_e32 v14, v6, v3
	ds_bpermute_b32 v3, v2, v60 offset:28
	s_waitcnt lgkmcnt(6)
	v_sub_f32_e32 v5, v16, v71
	v_fmac_f32_e32 v57, v13, v68
	v_mul_f32_e32 v12, v7, v12
	v_add_f32_e32 v4, v6, v4
	s_waitcnt lgkmcnt(5)
	v_sub_f32_e32 v6, v17, v62
	v_mul_f32_e32 v5, v8, v5
	v_fmac_f32_e32 v57, v14, v70
	v_add_f32_e32 v4, v7, v4
	v_mul_f32_e32 v6, v9, v6
	s_waitcnt lgkmcnt(3)
	v_fmac_f32_e32 v57, v12, v11
	v_add_f32_e32 v4, v8, v4
	v_fmac_f32_e32 v57, v5, v63
	v_add_f32_e32 v4, v9, v4
	s_waitcnt lgkmcnt(2)
	v_fmac_f32_e32 v57, v6, v64
.LBB63_25:                              ;   in Loop: Header=BB63_3 Depth=1
	s_and_b32 vcc_lo, exec_lo, s30
	s_cbranch_vccz .LBB63_40
; %bb.26:                               ;   in Loop: Header=BB63_3 Depth=1
	s_load_dword s30, s[8:9], 0x0
	v_mov_b32_e32 v60, 0
	v_mov_b32_e32 v57, 0
	s_waitcnt lgkmcnt(0)
	s_cmp_lt_u32 s6, s30
	s_cselect_b32 s30, 12, 18
	s_add_u32 s30, s8, s30
	s_addc_u32 s31, s9, 0
	global_load_ushort v3, v2, s[30:31]
	s_mov_b32 s30, exec_lo
	s_waitcnt vmcnt(0)
	v_mad_u32_u24 v3, v1, v3, v0
	v_and_b32_e32 v3, 31, v3
	v_cmpx_gt_u32_e32 8, v3
	s_cbranch_execz .LBB63_30
; %bb.27:                               ;   in Loop: Header=BB63_3 Depth=1
	v_add_co_u32 v3, vcc_lo, v21, v3
	v_add_co_ci_u32_e64 v4, null, 0, v22, vcc_lo
	v_mov_b32_e32 v57, 0
	v_mov_b32_e32 v60, 0
	s_mov_b32 s31, exec_lo
	v_cmpx_gt_i64_e64 s[12:13], v[3:4]
	s_cbranch_execz .LBB63_29
; %bb.28:                               ;   in Loop: Header=BB63_3 Depth=1
	v_lshlrev_b64 v[3:4], 2, v[3:4]
	v_add_co_u32 v5, vcc_lo, s20, v3
	v_add_co_ci_u32_e64 v6, null, s21, v4, vcc_lo
	v_add_co_u32 v3, vcc_lo, s22, v3
	v_add_co_ci_u32_e64 v4, null, s23, v4, vcc_lo
	global_load_dword v57, v[5:6], off
	global_load_dword v60, v[3:4], off
.LBB63_29:                              ;   in Loop: Header=BB63_3 Depth=1
	s_or_b32 exec_lo, exec_lo, s31
.LBB63_30:                              ;   in Loop: Header=BB63_3 Depth=1
	s_or_b32 exec_lo, exec_lo, s30
	v_mov_b32_e32 v9, v2
	v_mov_b32_e32 v3, v2
	;; [unrolled: 1-line block ×23, first 2 shown]
	s_and_saveexec_b32 s30, s1
	s_cbranch_execnz .LBB63_42
; %bb.31:                               ;   in Loop: Header=BB63_3 Depth=1
	s_or_b32 exec_lo, exec_lo, s30
	s_and_saveexec_b32 s30, s1
	s_cbranch_execnz .LBB63_43
.LBB63_32:                              ;   in Loop: Header=BB63_3 Depth=1
	s_or_b32 exec_lo, exec_lo, s30
	s_and_saveexec_b32 s30, s1
	s_cbranch_execnz .LBB63_44
.LBB63_33:                              ;   in Loop: Header=BB63_3 Depth=1
	s_or_b32 exec_lo, exec_lo, s30
	s_and_saveexec_b32 s30, s1
	s_cbranch_execnz .LBB63_45
.LBB63_34:                              ;   in Loop: Header=BB63_3 Depth=1
	s_or_b32 exec_lo, exec_lo, s30
	s_and_saveexec_b32 s30, s1
	s_cbranch_execnz .LBB63_46
.LBB63_35:                              ;   in Loop: Header=BB63_3 Depth=1
	s_or_b32 exec_lo, exec_lo, s30
	s_and_saveexec_b32 s30, s1
	s_cbranch_execnz .LBB63_47
.LBB63_36:                              ;   in Loop: Header=BB63_3 Depth=1
	s_or_b32 exec_lo, exec_lo, s30
	s_and_saveexec_b32 s30, s1
	s_cbranch_execnz .LBB63_48
.LBB63_37:                              ;   in Loop: Header=BB63_3 Depth=1
	s_or_b32 exec_lo, exec_lo, s30
	s_and_saveexec_b32 s30, s1
	s_cbranch_execz .LBB63_39
.LBB63_38:                              ;   in Loop: Header=BB63_3 Depth=1
	v_add_co_u32 v21, vcc_lo, v29, v19
	v_add_co_ci_u32_e64 v22, null, v30, v20, vcc_lo
	v_add_co_u32 v61, vcc_lo, v31, v19
	v_add_co_ci_u32_e64 v62, null, v32, v20, vcc_lo
	global_load_dword v10, v[21:22], off
	global_load_dword v18, v[61:62], off
.LBB63_39:                              ;   in Loop: Header=BB63_3 Depth=1
	s_or_b32 exec_lo, exec_lo, s30
	s_waitcnt vmcnt(1)
	ds_bpermute_b32 v21, v2, v57
	ds_bpermute_b32 v22, v2, v57 offset:4
	ds_bpermute_b32 v61, v2, v57 offset:8
	s_waitcnt vmcnt(0)
	ds_bpermute_b32 v62, v2, v60
	ds_bpermute_b32 v63, v2, v57 offset:12
	ds_bpermute_b32 v64, v2, v60 offset:4
	;; [unrolled: 1-line block ×5, first 2 shown]
	s_waitcnt lgkmcnt(8)
	v_sub_f32_e32 v11, v11, v21
	ds_bpermute_b32 v21, v2, v60 offset:12
	s_waitcnt lgkmcnt(8)
	v_sub_f32_e32 v12, v12, v22
	ds_bpermute_b32 v22, v2, v60 offset:16
	s_waitcnt lgkmcnt(8)
	v_sub_f32_e32 v13, v13, v61
	v_mul_f32_e32 v11, v3, v11
	v_add_f32_e32 v3, v51, v3
	v_mul_f32_e32 v12, v4, v12
	ds_bpermute_b32 v51, v2, v60 offset:20
	s_waitcnt lgkmcnt(7)
	v_sub_f32_e32 v14, v14, v63
	v_fmac_f32_e32 v59, v11, v62
	ds_bpermute_b32 v11, v2, v57 offset:24
	v_mul_f32_e32 v13, v5, v13
	v_add_f32_e32 v3, v4, v3
	s_waitcnt lgkmcnt(6)
	v_sub_f32_e32 v4, v15, v65
	v_fmac_f32_e32 v59, v12, v64
	v_mul_f32_e32 v12, v6, v14
	s_waitcnt lgkmcnt(4)
	v_sub_f32_e32 v14, v16, v67
	v_add_f32_e32 v5, v5, v3
	v_mul_f32_e32 v4, v7, v4
	v_fmac_f32_e32 v59, v13, v66
	ds_bpermute_b32 v13, v2, v60 offset:24
	ds_bpermute_b32 v61, v2, v60 offset:28
	;; [unrolled: 1-line block ×3, first 2 shown]
	v_add_f32_e32 v5, v6, v5
	s_waitcnt lgkmcnt(6)
	v_fmac_f32_e32 v59, v12, v21
	v_mul_f32_e32 v6, v8, v14
	v_add_f32_e32 v5, v7, v5
	s_waitcnt lgkmcnt(5)
	v_fmac_f32_e32 v59, v4, v22
	s_waitcnt lgkmcnt(3)
	v_sub_f32_e32 v4, v17, v11
	v_add_f32_e32 v5, v8, v5
	v_fmac_f32_e32 v59, v6, v51
	v_mul_f32_e32 v4, v9, v4
	s_waitcnt lgkmcnt(2)
	v_fmac_f32_e32 v59, v4, v13
	v_add_f32_e32 v4, v9, v5
	v_mov_b32_e32 v57, v59
.LBB63_40:                              ;   in Loop: Header=BB63_3 Depth=1
	v_add_co_u32 v25, vcc_lo, v25, s2
	v_add_co_ci_u32_e64 v26, null, s3, v26, vcc_lo
	v_add_co_u32 v27, vcc_lo, v27, s2
	v_add_co_ci_u32_e64 v28, null, s3, v28, vcc_lo
	;; [unrolled: 2-line block ×11, first 2 shown]
	v_add_co_u32 v47, vcc_lo, v47, s2
	s_waitcnt lgkmcnt(0)
	v_sub_f32_e32 v3, v18, v3
	v_add_co_ci_u32_e64 v48, null, s3, v48, vcc_lo
	v_add_co_u32 v49, vcc_lo, v49, s2
	v_add_co_ci_u32_e64 v50, null, s3, v50, vcc_lo
	v_add_co_u32 v52, vcc_lo, v52, s2
	s_add_u32 s26, s26, s29
	v_add_co_ci_u32_e64 v53, null, s3, v53, vcc_lo
	v_add_co_u32 v54, vcc_lo, v54, s2
	v_mul_f32_e32 v3, v10, v3
	s_addc_u32 s27, s27, 0
	v_add_co_ci_u32_e64 v55, null, s3, v55, vcc_lo
	v_add_co_u32 v56, vcc_lo, v56, s2
	v_cmp_lt_i64_e64 s30, s[26:27], s[12:13]
	v_add_co_ci_u32_e64 v58, null, s3, v58, vcc_lo
	v_add_co_u32 v23, vcc_lo, v23, s29
	v_add_f32_e32 v51, v4, v10
	v_fmac_f32_e32 v57, v3, v61
	v_add_co_ci_u32_e64 v24, null, 0, v24, vcc_lo
	s_add_u32 s10, s10, s29
	s_addc_u32 s11, 0, s11
	s_and_b32 vcc_lo, exec_lo, s30
	s_cbranch_vccz .LBB63_50
; %bb.41:                               ;   in Loop: Header=BB63_3 Depth=1
	v_mov_b32_e32 v59, v57
	s_branch .LBB63_3
.LBB63_42:                              ;   in Loop: Header=BB63_3 Depth=1
	v_add_co_u32 v3, vcc_lo, v25, v19
	v_add_co_ci_u32_e64 v4, null, v26, v20, vcc_lo
	v_add_co_u32 v5, vcc_lo, v27, v19
	v_add_co_ci_u32_e64 v6, null, v28, v20, vcc_lo
	global_load_dword v3, v[3:4], off
	global_load_dword v11, v[5:6], off
	v_mov_b32_e32 v4, v2
	v_mov_b32_e32 v5, v2
	;; [unrolled: 1-line block ×14, first 2 shown]
	s_or_b32 exec_lo, exec_lo, s30
	s_and_saveexec_b32 s30, s1
	s_cbranch_execz .LBB63_32
.LBB63_43:                              ;   in Loop: Header=BB63_3 Depth=1
	v_add_co_u32 v21, vcc_lo, v54, v19
	v_add_co_ci_u32_e64 v22, null, v55, v20, vcc_lo
	v_add_co_u32 v61, vcc_lo, v56, v19
	v_add_co_ci_u32_e64 v62, null, v58, v20, vcc_lo
	global_load_dword v4, v[21:22], off
	global_load_dword v12, v[61:62], off
	s_or_b32 exec_lo, exec_lo, s30
	s_and_saveexec_b32 s30, s1
	s_cbranch_execz .LBB63_33
.LBB63_44:                              ;   in Loop: Header=BB63_3 Depth=1
	v_add_co_u32 v21, vcc_lo, v49, v19
	v_add_co_ci_u32_e64 v22, null, v50, v20, vcc_lo
	v_add_co_u32 v61, vcc_lo, v52, v19
	v_add_co_ci_u32_e64 v62, null, v53, v20, vcc_lo
	global_load_dword v5, v[21:22], off
	global_load_dword v13, v[61:62], off
	s_or_b32 exec_lo, exec_lo, s30
	s_and_saveexec_b32 s30, s1
	s_cbranch_execz .LBB63_34
.LBB63_45:                              ;   in Loop: Header=BB63_3 Depth=1
	v_add_co_u32 v21, vcc_lo, v45, v19
	v_add_co_ci_u32_e64 v22, null, v46, v20, vcc_lo
	v_add_co_u32 v61, vcc_lo, v47, v19
	v_add_co_ci_u32_e64 v62, null, v48, v20, vcc_lo
	global_load_dword v6, v[21:22], off
	global_load_dword v14, v[61:62], off
	s_or_b32 exec_lo, exec_lo, s30
	s_and_saveexec_b32 s30, s1
	s_cbranch_execz .LBB63_35
.LBB63_46:                              ;   in Loop: Header=BB63_3 Depth=1
	v_add_co_u32 v21, vcc_lo, v41, v19
	v_add_co_ci_u32_e64 v22, null, v42, v20, vcc_lo
	v_add_co_u32 v61, vcc_lo, v43, v19
	v_add_co_ci_u32_e64 v62, null, v44, v20, vcc_lo
	global_load_dword v7, v[21:22], off
	global_load_dword v15, v[61:62], off
	s_or_b32 exec_lo, exec_lo, s30
	s_and_saveexec_b32 s30, s1
	s_cbranch_execz .LBB63_36
.LBB63_47:                              ;   in Loop: Header=BB63_3 Depth=1
	v_add_co_u32 v21, vcc_lo, v37, v19
	v_add_co_ci_u32_e64 v22, null, v38, v20, vcc_lo
	v_add_co_u32 v61, vcc_lo, v39, v19
	v_add_co_ci_u32_e64 v62, null, v40, v20, vcc_lo
	global_load_dword v8, v[21:22], off
	global_load_dword v16, v[61:62], off
	s_or_b32 exec_lo, exec_lo, s30
	s_and_saveexec_b32 s30, s1
	s_cbranch_execz .LBB63_37
.LBB63_48:                              ;   in Loop: Header=BB63_3 Depth=1
	v_add_co_u32 v21, vcc_lo, v33, v19
	v_add_co_ci_u32_e64 v22, null, v34, v20, vcc_lo
	v_add_co_u32 v61, vcc_lo, v35, v19
	v_add_co_ci_u32_e64 v62, null, v36, v20, vcc_lo
	global_load_dword v9, v[21:22], off
	global_load_dword v17, v[61:62], off
	s_or_b32 exec_lo, exec_lo, s30
	s_and_saveexec_b32 s30, s1
	s_cbranch_execnz .LBB63_38
	s_branch .LBB63_39
.LBB63_49:
                                        ; implicit-def: $vgpr51
                                        ; implicit-def: $vgpr57
	s_branch .LBB63_51
.LBB63_50:
	s_cbranch_execnz .LBB63_82
.LBB63_51:
	v_mov_b32_e32 v51, 0
	v_mov_b32_e32 v57, 0
	s_andn2_b32 vcc_lo, exec_lo, s28
	s_cbranch_vccnz .LBB63_82
; %bb.52:
	v_lshlrev_b32_e32 v52, 3, v1
	v_lshlrev_b32_e32 v4, 5, v1
	s_add_u32 s26, s4, 64
	s_addc_u32 s27, s5, 0
	s_lshl_b64 s[2:3], s[24:25], 2
	v_add_co_u32 v10, s1, v52, s24
	v_add_co_ci_u32_e64 v11, null, 0, 0, s1
	v_add_co_u32 v7, s1, v4, s2
	v_mul_lo_u32 v5, s15, v10
	v_mul_lo_u32 v6, s14, v11
	v_mad_u64_u32 v[2:3], null, s14, v10, 0
	v_add_co_ci_u32_e64 v8, null, 0, s3, s1
	v_mov_b32_e32 v57, 0
	s_mov_b64 s[28:29], s[24:25]
	v_add3_u32 v3, v3, v6, v5
	v_add_co_u32 v6, vcc_lo, v7, 4
	v_add_co_ci_u32_e64 v9, null, 0, v8, vcc_lo
	v_lshlrev_b64 v[4:5], 2, v[2:3]
	v_mad_u64_u32 v[19:20], null, s14, v6, s[16:17]
	v_mul_lo_u32 v9, s14, v9
	v_mul_lo_u32 v12, s15, v6
	v_mad_u64_u32 v[33:34], null, s14, v6, s[18:19]
	v_add_co_u32 v53, vcc_lo, s16, v4
	v_add_co_ci_u32_e64 v54, null, s17, v5, vcc_lo
	v_add_co_u32 v55, vcc_lo, s18, v4
	v_add_co_ci_u32_e64 v56, null, s19, v5, vcc_lo
	;; [unrolled: 2-line block ×4, first 2 shown]
	v_add_co_u32 v16, vcc_lo, v7, 16
	v_mad_u64_u32 v[21:22], null, s14, v4, s[16:17]
	v_mul_lo_u32 v5, s14, v5
	v_mul_lo_u32 v15, s15, v4
	v_add_co_ci_u32_e64 v18, null, 0, v8, vcc_lo
	v_add_co_u32 v41, vcc_lo, v7, 20
	v_mad_u64_u32 v[35:36], null, s14, v4, s[18:19]
	v_add_co_ci_u32_e64 v29, null, 0, v8, vcc_lo
	v_add_co_u32 v44, vcc_lo, v7, 24
	v_add_co_ci_u32_e64 v31, null, 0, v8, vcc_lo
	v_add_co_u32 v7, vcc_lo, v7, 28
	;; [unrolled: 2-line block ×3, first 2 shown]
	v_add3_u32 v22, v15, v22, v5
	v_add3_u32 v36, v15, v36, v5
	v_add_co_ci_u32_e64 v5, null, 0, v11, vcc_lo
	v_add3_u32 v20, v12, v20, v9
	v_add3_u32 v34, v12, v34, v9
	v_mul_lo_u32 v6, s15, v4
	v_mul_lo_u32 v9, s14, v5
	v_mad_u64_u32 v[4:5], null, s14, v4, 0
	v_mul_lo_u32 v49, s14, v31
	v_mad_u64_u32 v[31:32], null, s14, v7, s[16:17]
	v_mul_lo_u32 v8, s14, v8
	v_mul_lo_u32 v51, s15, v7
	v_mad_u64_u32 v[45:46], null, s14, v7, s[18:19]
	v_add3_u32 v5, v5, v9, v6
	v_add_co_u32 v6, vcc_lo, v10, 6
	v_add_co_ci_u32_e64 v7, null, 0, v11, vcc_lo
	v_mad_u64_u32 v[23:24], null, s14, v13, s[16:17]
	v_mul_lo_u32 v14, s14, v14
	v_mul_lo_u32 v17, s15, v13
	v_add3_u32 v32, v51, v32, v8
	v_mad_u64_u32 v[37:38], null, s14, v13, s[18:19]
	v_add3_u32 v46, v51, v46, v8
	v_mul_lo_u32 v8, s15, v6
	v_mul_lo_u32 v9, s14, v7
	v_mad_u64_u32 v[6:7], null, s14, v6, 0
	v_lshlrev_b64 v[4:5], 2, v[4:5]
	v_add_co_u32 v12, vcc_lo, v10, 5
	v_add_co_ci_u32_e64 v13, null, 0, v11, vcc_lo
	v_add3_u32 v24, v17, v24, v14
	v_add_co_u32 v58, vcc_lo, s16, v4
	v_add3_u32 v38, v17, v38, v14
	v_add3_u32 v7, v7, v9, v8
	v_mul_lo_u32 v14, s15, v12
	v_mul_lo_u32 v13, s14, v13
	v_mad_u64_u32 v[8:9], null, s14, v12, 0
	v_add_co_ci_u32_e64 v59, null, s17, v5, vcc_lo
	v_add_co_u32 v12, vcc_lo, v10, 4
	v_add_co_ci_u32_e64 v15, null, 0, v11, vcc_lo
	v_add_co_u32 v60, vcc_lo, s18, v4
	v_add_co_ci_u32_e64 v61, null, s19, v5, vcc_lo
	v_lshlrev_b64 v[4:5], 2, v[6:7]
	v_add3_u32 v9, v9, v13, v14
	v_mul_lo_u32 v13, s15, v12
	v_mul_lo_u32 v14, s14, v15
	v_mad_u64_u32 v[6:7], null, s14, v12, 0
	v_lshlrev_b64 v[8:9], 2, v[8:9]
	v_add_co_u32 v62, vcc_lo, s16, v4
	v_add_co_ci_u32_e64 v63, null, s17, v5, vcc_lo
	v_add_co_u32 v64, vcc_lo, s18, v4
	v_add3_u32 v7, v7, v14, v13
	v_add_co_ci_u32_e64 v65, null, s19, v5, vcc_lo
	v_add_co_u32 v66, vcc_lo, s16, v8
	v_add_co_ci_u32_e64 v67, null, s17, v9, vcc_lo
	v_lshlrev_b64 v[4:5], 2, v[6:7]
	v_add_co_u32 v6, vcc_lo, v10, 3
	v_add_co_ci_u32_e64 v7, null, 0, v11, vcc_lo
	v_add_co_u32 v68, s1, s18, v8
	v_add_co_u32 v8, vcc_lo, v10, 2
	v_add_co_ci_u32_e64 v69, null, s19, v9, s1
	v_mul_lo_u32 v12, s15, v6
	v_add_co_ci_u32_e64 v9, null, 0, v11, vcc_lo
	v_mul_lo_u32 v10, s14, v7
	v_mad_u64_u32 v[6:7], null, s14, v6, 0
	v_mul_lo_u32 v11, s15, v8
	v_mul_lo_u32 v13, s14, v9
	v_mad_u64_u32 v[8:9], null, s14, v8, 0
	v_add_co_u32 v70, vcc_lo, s16, v4
	v_add3_u32 v7, v7, v10, v12
	s_load_dword s1, s[4:5], 0x44
	v_add_co_ci_u32_e64 v71, null, s17, v5, vcc_lo
	v_add_co_u32 v72, vcc_lo, s18, v4
	v_add_co_ci_u32_e64 v73, null, s19, v5, vcc_lo
	v_lshlrev_b64 v[4:5], 2, v[6:7]
	v_add3_u32 v9, v9, v13, v11
	v_add_co_u32 v2, vcc_lo, v2, s14
	v_mad_u64_u32 v[25:26], null, s14, v16, s[16:17]
	v_mul_lo_u32 v18, s14, v18
	v_mul_lo_u32 v43, s15, v16
	v_mad_u64_u32 v[39:40], null, s14, v16, s[18:19]
	v_add_co_ci_u32_e64 v3, null, s15, v3, vcc_lo
	v_lshlrev_b64 v[6:7], 2, v[8:9]
	v_add_co_u32 v74, vcc_lo, s16, v4
	v_add_co_ci_u32_e64 v75, null, s17, v5, vcc_lo
	v_add_co_u32 v76, vcc_lo, s18, v4
	v_lshlrev_b64 v[3:4], 2, v[2:3]
	v_mov_b32_e32 v2, 0
	v_mad_u64_u32 v[27:28], null, s14, v41, s[16:17]
	v_mul_lo_u32 v47, s14, v29
	v_mul_lo_u32 v48, s15, v41
	v_mad_u64_u32 v[41:42], null, s14, v41, s[18:19]
	v_mad_u64_u32 v[29:30], null, s14, v44, s[16:17]
	v_mul_lo_u32 v50, s15, v44
	v_add3_u32 v26, v43, v26, v18
	v_add3_u32 v40, v43, v40, v18
	v_mad_u64_u32 v[43:44], null, s14, v44, s[18:19]
	v_add_co_ci_u32_e64 v77, null, s19, v5, vcc_lo
	v_add_co_u32 v78, vcc_lo, s16, v6
	v_add_co_ci_u32_e64 v79, null, s17, v7, vcc_lo
	v_add_co_u32 v80, vcc_lo, s18, v6
	v_add_nc_u32_e32 v5, s7, v0
	v_mov_b32_e32 v6, v2
	v_add_co_ci_u32_e64 v81, null, s19, v7, vcc_lo
	v_add_co_u32 v82, vcc_lo, s16, v3
	s_waitcnt lgkmcnt(0)
	s_lshl_b32 s11, s1, 3
	v_add_co_ci_u32_e64 v83, null, s17, v4, vcc_lo
	v_add_co_u32 v84, vcc_lo, s18, v3
	v_add3_u32 v28, v48, v28, v47
	v_add3_u32 v42, v48, v42, v47
	s_mul_i32 s1, s15, s11
	s_mul_hi_u32 s2, s14, s11
	v_lshlrev_b64 v[47:48], 2, v[5:6]
	v_add3_u32 v30, v50, v30, v49
	v_add3_u32 v44, v50, v44, v49
	v_add_co_ci_u32_e64 v85, null, s19, v4, vcc_lo
	v_mov_b32_e32 v86, v2
	v_mov_b32_e32 v51, 0
	s_add_i32 s3, s2, s1
	s_mul_i32 s2, s14, s11
	s_mov_b64 s[18:19], 7
	s_lshl_b64 s[16:17], s[2:3], 2
	s_branch .LBB63_56
.LBB63_53:                              ;   in Loop: Header=BB63_56 Depth=1
	s_or_b32 exec_lo, exec_lo, s2
.LBB63_54:                              ;   in Loop: Header=BB63_56 Depth=1
	s_or_b32 exec_lo, exec_lo, s1
	v_add_co_u32 v3, vcc_lo, v55, v47
	v_add_co_ci_u32_e64 v4, null, v56, v48, vcc_lo
	v_add_co_u32 v7, vcc_lo, v53, v47
	v_add_co_ci_u32_e64 v8, null, v54, v48, vcc_lo
	global_load_dword v49, v[3:4], off
	global_load_dword v50, v[7:8], off
	v_add_co_u32 v3, vcc_lo, v33, v47
	v_add_co_ci_u32_e64 v4, null, v34, v48, vcc_lo
	v_add_co_u32 v10, s3, v39, v47
	v_add_co_ci_u32_e64 v11, null, v40, v48, s3
	global_load_dword v87, v[3:4], off
	v_add_co_u32 v3, vcc_lo, v19, v47
	v_add_co_ci_u32_e64 v4, null, v20, v48, vcc_lo
	v_add_co_u32 v13, s8, v41, v47
	s_waitcnt vmcnt(4)
	ds_bpermute_b32 v91, v2, v6
	global_load_dword v88, v[3:4], off
	v_add_co_u32 v3, vcc_lo, v35, v47
	v_add_co_ci_u32_e64 v4, null, v36, v48, vcc_lo
	v_add_co_u32 v7, vcc_lo, v21, v47
	v_add_co_ci_u32_e64 v8, null, v22, v48, vcc_lo
	global_load_dword v89, v[3:4], off
	global_load_dword v90, v[7:8], off
	v_add_co_u32 v7, s1, v37, v47
	v_add_co_ci_u32_e64 v8, null, v38, v48, s1
	v_add_co_ci_u32_e64 v14, null, v42, v48, s8
	global_load_dword v11, v[10:11], off
	v_add_co_u32 v3, vcc_lo, v23, v47
	v_add_co_u32 v9, s2, v25, v47
	global_load_dword v92, v[7:8], off
	global_load_dword v14, v[13:14], off
	v_add_co_ci_u32_e64 v4, null, v24, v48, vcc_lo
	v_add_co_ci_u32_e64 v10, null, v26, v48, s2
	s_waitcnt vmcnt(9)
	ds_bpermute_b32 v93, v2, v5
	global_load_dword v94, v[3:4], off
	global_load_dword v9, v[9:10], off
	v_add_co_u32 v12, s7, v27, v47
	v_add_co_u32 v15, s9, v43, v47
	;; [unrolled: 1-line block ×3, first 2 shown]
	v_add_co_ci_u32_e64 v13, null, v28, v48, s7
	v_add_co_ci_u32_e64 v16, null, v44, v48, s9
	;; [unrolled: 1-line block ×3, first 2 shown]
	v_add_co_u32 v7, vcc_lo, v29, v47
	global_load_dword v12, v[12:13], off
	v_add_co_ci_u32_e64 v8, null, v30, v48, vcc_lo
	global_load_dword v13, v[15:16], off
	global_load_dword v15, v[17:18], off
	v_add_co_u32 v3, s1, v31, v47
	global_load_dword v7, v[7:8], off
	ds_bpermute_b32 v8, v2, v6 offset:12
	ds_bpermute_b32 v17, v2, v5 offset:12
	;; [unrolled: 1-line block ×3, first 2 shown]
	s_waitcnt vmcnt(14) lgkmcnt(4)
	v_sub_f32_e32 v4, v49, v91
	s_waitcnt vmcnt(13)
	v_add_f32_e32 v16, v51, v50
	ds_bpermute_b32 v49, v2, v5 offset:24
	v_mul_f32_e32 v10, v50, v4
	v_add_co_ci_u32_e64 v4, null, v32, v48, s1
	s_waitcnt lgkmcnt(4)
	v_fmac_f32_e32 v57, v10, v93
	global_load_dword v10, v[3:4], off
	ds_bpermute_b32 v3, v2, v6 offset:4
	ds_bpermute_b32 v4, v2, v5 offset:4
	s_waitcnt vmcnt(12)
	v_add_f32_e32 v16, v16, v88
	s_waitcnt vmcnt(10)
	v_add_f32_e32 v16, v16, v90
	s_waitcnt lgkmcnt(1)
	v_sub_f32_e32 v3, v87, v3
	v_mul_f32_e32 v3, v88, v3
	s_waitcnt vmcnt(8)
	v_sub_f32_e32 v8, v92, v8
	s_waitcnt lgkmcnt(0)
	v_fmac_f32_e32 v57, v3, v4
	ds_bpermute_b32 v3, v2, v6 offset:8
	ds_bpermute_b32 v4, v2, v5 offset:8
	s_waitcnt vmcnt(6)
	v_mul_f32_e32 v8, v94, v8
	s_waitcnt lgkmcnt(1)
	v_sub_f32_e32 v3, v89, v3
	v_mul_f32_e32 v3, v90, v3
	s_waitcnt lgkmcnt(0)
	v_fmac_f32_e32 v57, v3, v4
	ds_bpermute_b32 v3, v2, v6 offset:16
	ds_bpermute_b32 v4, v2, v6 offset:20
	v_fmac_f32_e32 v57, v8, v17
	v_add_f32_e32 v8, v16, v94
	s_waitcnt vmcnt(5)
	v_add_f32_e32 v8, v8, v9
	s_waitcnt lgkmcnt(1)
	v_sub_f32_e32 v3, v11, v3
	ds_bpermute_b32 v11, v2, v6 offset:24
	ds_bpermute_b32 v6, v2, v6 offset:28
	s_waitcnt lgkmcnt(2)
	v_sub_f32_e32 v4, v14, v4
	ds_bpermute_b32 v14, v2, v5 offset:20
	ds_bpermute_b32 v5, v2, v5 offset:28
	v_mul_f32_e32 v3, v9, v3
	s_waitcnt vmcnt(4)
	v_mul_f32_e32 v4, v12, v4
	v_fmac_f32_e32 v57, v3, v18
	s_waitcnt vmcnt(3) lgkmcnt(3)
	v_sub_f32_e32 v3, v13, v11
	s_waitcnt vmcnt(2) lgkmcnt(2)
	v_sub_f32_e32 v6, v15, v6
	s_waitcnt lgkmcnt(1)
	v_fmac_f32_e32 v57, v4, v14
	v_add_f32_e32 v4, v8, v12
	s_waitcnt vmcnt(1)
	v_mul_f32_e32 v3, v7, v3
	v_fmac_f32_e32 v57, v3, v49
	v_add_f32_e32 v3, v4, v7
	v_mov_b32_e32 v11, v57
	s_waitcnt vmcnt(0)
	v_mul_f32_e32 v6, v10, v6
	s_waitcnt lgkmcnt(0)
	v_mul_f32_e32 v4, v6, v5
.LBB63_55:                              ;   in Loop: Header=BB63_56 Depth=1
	v_add_co_u32 v53, vcc_lo, v53, s16
	v_add_co_ci_u32_e64 v54, null, s17, v54, vcc_lo
	v_add_co_u32 v55, vcc_lo, v55, s16
	v_add_co_ci_u32_e64 v56, null, s17, v56, vcc_lo
	;; [unrolled: 2-line block ×27, first 2 shown]
	v_add_co_u32 v78, vcc_lo, v78, s16
	s_add_u32 s28, s28, s11
	v_add_co_ci_u32_e64 v79, null, s17, v79, vcc_lo
	v_add_co_u32 v80, vcc_lo, v80, s16
	s_addc_u32 s29, s29, 0
	v_add_co_ci_u32_e64 v81, null, s17, v81, vcc_lo
	v_add_co_u32 v82, vcc_lo, v82, s16
	v_cmp_ge_i64_e64 s1, s[28:29], s[12:13]
	v_add_co_ci_u32_e64 v83, null, s17, v83, vcc_lo
	v_add_co_u32 v84, vcc_lo, v84, s16
	v_add_f32_e32 v57, v11, v4
	v_add_f32_e32 v51, v3, v10
	v_add_co_ci_u32_e64 v85, null, s17, v85, vcc_lo
	s_add_u32 s18, s18, s11
	s_addc_u32 s19, 0, s19
	s_and_b32 vcc_lo, exec_lo, s1
	s_cbranch_vccnz .LBB63_82
.LBB63_56:                              ; =>This Inner Loop Header: Depth=1
	s_add_u32 s2, s24, s18
	s_addc_u32 s3, 0, s19
	v_add_co_u32 v49, vcc_lo, s24, v52
	v_cmp_ge_i64_e64 s1, s[2:3], s[12:13]
	v_add_co_ci_u32_e64 v50, null, 0, v86, vcc_lo
                                        ; implicit-def: $vgpr10
                                        ; implicit-def: $vgpr4
                                        ; implicit-def: $vgpr3
                                        ; implicit-def: $vgpr11
	s_and_b32 vcc_lo, exec_lo, s1
	s_mov_b32 s1, -1
	s_cbranch_vccz .LBB63_78
; %bb.57:                               ;   in Loop: Header=BB63_56 Depth=1
	s_load_dword s1, s[26:27], 0xc
	v_mov_b32_e32 v88, 0
	v_mov_b32_e32 v87, 0
	s_waitcnt lgkmcnt(0)
	s_and_b32 s1, s1, 0xffff
	v_mad_u32_u24 v3, v1, s1, v0
	s_mov_b32 s1, exec_lo
	v_and_b32_e32 v3, 31, v3
	v_cmpx_gt_u32_e32 8, v3
	s_cbranch_execz .LBB63_61
; %bb.58:                               ;   in Loop: Header=BB63_56 Depth=1
	v_add_co_u32 v3, vcc_lo, v49, v3
	v_add_co_ci_u32_e64 v4, null, 0, v50, vcc_lo
	v_mov_b32_e32 v87, 0
	v_mov_b32_e32 v88, 0
	s_mov_b32 s2, exec_lo
	v_cmpx_gt_i64_e64 s[12:13], v[3:4]
	s_cbranch_execz .LBB63_60
; %bb.59:                               ;   in Loop: Header=BB63_56 Depth=1
	v_lshlrev_b64 v[3:4], 2, v[3:4]
	v_add_co_u32 v5, vcc_lo, s20, v3
	v_add_co_ci_u32_e64 v6, null, s21, v4, vcc_lo
	v_add_co_u32 v3, vcc_lo, s22, v3
	v_add_co_ci_u32_e64 v4, null, s23, v4, vcc_lo
	global_load_dword v87, v[5:6], off
	global_load_dword v88, v[3:4], off
.LBB63_60:                              ;   in Loop: Header=BB63_56 Depth=1
	s_or_b32 exec_lo, exec_lo, s2
.LBB63_61:                              ;   in Loop: Header=BB63_56 Depth=1
	s_or_b32 exec_lo, exec_lo, s1
	v_mov_b32_e32 v9, v2
	v_mov_b32_e32 v3, v2
	v_mov_b32_e32 v4, v2
	v_mov_b32_e32 v5, v2
	v_mov_b32_e32 v6, v2
	v_mov_b32_e32 v7, v2
	v_mov_b32_e32 v8, v2
	v_mov_b32_e32 v18, v9
	v_mov_b32_e32 v14, v5
	v_mov_b32_e32 v15, v6
	v_mov_b32_e32 v16, v7
	v_mov_b32_e32 v17, v8
	v_mov_b32_e32 v13, v4
	v_mov_b32_e32 v12, v3
	v_mov_b32_e32 v11, v2
	v_mov_b32_e32 v10, v9
	v_mov_b32_e32 v9, v8
	v_mov_b32_e32 v8, v7
	v_mov_b32_e32 v7, v6
	v_mov_b32_e32 v6, v5
	v_mov_b32_e32 v5, v4
	v_mov_b32_e32 v4, v3
	v_mov_b32_e32 v3, v2
	s_mov_b32 s1, exec_lo
	v_cmpx_gt_i64_e64 s[12:13], v[49:50]
	s_cbranch_execz .LBB63_63
; %bb.62:                               ;   in Loop: Header=BB63_56 Depth=1
	v_add_co_u32 v3, vcc_lo, v53, v47
	v_add_co_ci_u32_e64 v4, null, v54, v48, vcc_lo
	v_add_co_u32 v5, vcc_lo, v55, v47
	v_add_co_ci_u32_e64 v6, null, v56, v48, vcc_lo
	global_load_dword v3, v[3:4], off
	global_load_dword v11, v[5:6], off
	v_mov_b32_e32 v4, v2
	v_mov_b32_e32 v5, v2
	;; [unrolled: 1-line block ×14, first 2 shown]
.LBB63_63:                              ;   in Loop: Header=BB63_56 Depth=1
	s_or_b32 exec_lo, exec_lo, s1
	v_add_co_u32 v89, vcc_lo, v49, 1
	v_add_co_ci_u32_e64 v90, null, 0, v50, vcc_lo
	s_mov_b32 s1, exec_lo
	v_cmpx_gt_i64_e64 s[12:13], v[89:90]
	s_cbranch_execz .LBB63_65
; %bb.64:                               ;   in Loop: Header=BB63_56 Depth=1
	v_add_co_u32 v89, vcc_lo, v82, v47
	v_add_co_ci_u32_e64 v90, null, v83, v48, vcc_lo
	v_add_co_u32 v91, vcc_lo, v84, v47
	v_add_co_ci_u32_e64 v92, null, v85, v48, vcc_lo
	global_load_dword v4, v[89:90], off
	global_load_dword v12, v[91:92], off
.LBB63_65:                              ;   in Loop: Header=BB63_56 Depth=1
	s_or_b32 exec_lo, exec_lo, s1
	v_add_co_u32 v89, vcc_lo, v49, 2
	v_add_co_ci_u32_e64 v90, null, 0, v50, vcc_lo
	s_mov_b32 s1, exec_lo
	v_cmpx_gt_i64_e64 s[12:13], v[89:90]
	s_cbranch_execz .LBB63_67
; %bb.66:                               ;   in Loop: Header=BB63_56 Depth=1
	v_add_co_u32 v89, vcc_lo, v78, v47
	v_add_co_ci_u32_e64 v90, null, v79, v48, vcc_lo
	v_add_co_u32 v91, vcc_lo, v80, v47
	v_add_co_ci_u32_e64 v92, null, v81, v48, vcc_lo
	global_load_dword v5, v[89:90], off
	global_load_dword v13, v[91:92], off
.LBB63_67:                              ;   in Loop: Header=BB63_56 Depth=1
	;; [unrolled: 14-line block ×7, first 2 shown]
	s_or_b32 exec_lo, exec_lo, s1
	s_waitcnt vmcnt(1)
	ds_bpermute_b32 v90, v2, v87
	s_waitcnt vmcnt(0)
	ds_bpermute_b32 v89, v2, v88
	s_mov_b32 s1, 0
	s_waitcnt lgkmcnt(1)
	v_sub_f32_e32 v11, v11, v90
	ds_bpermute_b32 v90, v2, v87 offset:4
	v_mul_f32_e32 v11, v3, v11
	v_add_f32_e32 v3, v51, v3
	s_waitcnt lgkmcnt(1)
	v_fma_f32 v11, v11, v89, v57
	ds_bpermute_b32 v89, v2, v88 offset:4
	v_add_f32_e32 v3, v4, v3
	v_add_f32_e32 v3, v5, v3
	s_waitcnt lgkmcnt(1)
	v_sub_f32_e32 v12, v12, v90
	v_add_f32_e32 v3, v6, v3
	v_mul_f32_e32 v12, v4, v12
	ds_bpermute_b32 v4, v2, v88 offset:8
	v_add_f32_e32 v3, v7, v3
	s_waitcnt lgkmcnt(1)
	v_fmac_f32_e32 v11, v12, v89
	ds_bpermute_b32 v12, v2, v87 offset:8
	v_add_f32_e32 v3, v8, v3
	v_add_f32_e32 v3, v9, v3
	s_waitcnt lgkmcnt(0)
	v_sub_f32_e32 v12, v13, v12
	v_mul_f32_e32 v12, v5, v12
	ds_bpermute_b32 v5, v2, v87 offset:12
	v_fmac_f32_e32 v11, v12, v4
	ds_bpermute_b32 v4, v2, v88 offset:12
	s_waitcnt lgkmcnt(1)
	v_sub_f32_e32 v5, v14, v5
	v_mul_f32_e32 v5, v6, v5
	s_waitcnt lgkmcnt(0)
	v_fmac_f32_e32 v11, v5, v4
	ds_bpermute_b32 v5, v2, v87 offset:16
	ds_bpermute_b32 v4, v2, v88 offset:16
	s_waitcnt lgkmcnt(1)
	v_sub_f32_e32 v5, v15, v5
	v_mul_f32_e32 v5, v7, v5
	s_waitcnt lgkmcnt(0)
	v_fmac_f32_e32 v11, v5, v4
	ds_bpermute_b32 v5, v2, v87 offset:20
	;; [unrolled: 7-line block ×4, first 2 shown]
	ds_bpermute_b32 v4, v2, v88 offset:28
	s_waitcnt lgkmcnt(1)
	v_sub_f32_e32 v5, v18, v5
	v_mul_f32_e32 v5, v10, v5
	s_waitcnt lgkmcnt(0)
	v_mul_f32_e32 v4, v5, v4
.LBB63_78:                              ;   in Loop: Header=BB63_56 Depth=1
	s_and_b32 vcc_lo, exec_lo, s1
	s_cbranch_vccz .LBB63_55
; %bb.79:                               ;   in Loop: Header=BB63_56 Depth=1
	s_load_dword s1, s[26:27], 0x0
	v_mov_b32_e32 v5, 0
	v_mov_b32_e32 v6, 0
	s_waitcnt lgkmcnt(0)
	s_cmp_lt_u32 s6, s1
	s_cselect_b32 s1, 12, 18
	s_add_u32 s2, s26, s1
	s_addc_u32 s3, s27, 0
	s_mov_b32 s1, exec_lo
	global_load_ushort v3, v2, s[2:3]
	s_waitcnt vmcnt(0)
	v_mad_u32_u24 v3, v1, v3, v0
	v_and_b32_e32 v3, 31, v3
	v_cmpx_gt_u32_e32 8, v3
	s_cbranch_execz .LBB63_54
; %bb.80:                               ;   in Loop: Header=BB63_56 Depth=1
	v_add_co_u32 v3, vcc_lo, v49, v3
	v_add_co_ci_u32_e64 v4, null, 0, v50, vcc_lo
	v_mov_b32_e32 v6, 0
	v_mov_b32_e32 v5, 0
	s_mov_b32 s2, exec_lo
	v_cmpx_gt_i64_e64 s[12:13], v[3:4]
	s_cbranch_execz .LBB63_53
; %bb.81:                               ;   in Loop: Header=BB63_56 Depth=1
	v_lshlrev_b64 v[3:4], 2, v[3:4]
	v_add_co_u32 v5, vcc_lo, s20, v3
	v_add_co_ci_u32_e64 v6, null, s21, v4, vcc_lo
	v_add_co_u32 v3, vcc_lo, s22, v3
	v_add_co_ci_u32_e64 v4, null, s23, v4, vcc_lo
	global_load_dword v6, v[5:6], off
	global_load_dword v5, v[3:4], off
	s_branch .LBB63_53
.LBB63_82:
	s_mov_b32 s7, 0
	s_mov_b32 s1, exec_lo
	s_lshl_b64 s[2:3], s[6:7], 5
	v_or_b32_e32 v4, s2, v0
	v_mov_b32_e32 v5, s3
	v_cmpx_gt_i64_e64 s[14:15], v[4:5]
	s_cbranch_execz .LBB63_87
; %bb.83:
	s_clause 0x1
	s_load_dword s1, s[4:5], 0x4c
	s_load_dwordx4 s[4:7], s[4:5], 0x30
	v_mov_b32_e32 v2, 0
	s_waitcnt lgkmcnt(0)
	s_lshr_b32 s1, s1, 16
	s_cmp_eq_u64 s[4:5], 0
	v_mad_u64_u32 v[2:3], null, s1, s0, v[1:2]
	v_lshlrev_b64 v[0:1], 2, v[4:5]
	v_mul_lo_u32 v3, v3, s14
	v_mul_lo_u32 v6, v2, s15
	s_cbranch_scc1 .LBB63_85
; %bb.84:
	v_mad_u64_u32 v[4:5], null, v2, s14, 0
	v_add3_u32 v5, v5, v6, v3
	v_lshlrev_b64 v[4:5], 2, v[4:5]
	v_add_co_u32 v4, vcc_lo, s4, v4
	v_add_co_ci_u32_e64 v5, null, s5, v5, vcc_lo
	v_add_co_u32 v4, vcc_lo, v4, v0
	v_add_co_ci_u32_e64 v5, null, v5, v1, vcc_lo
	global_store_dword v[4:5], v57, off
.LBB63_85:
	s_cmp_eq_u64 s[6:7], 0
	s_cbranch_scc1 .LBB63_87
; %bb.86:
	v_mad_u64_u32 v[4:5], null, v2, s14, 0
	v_add3_u32 v5, v5, v6, v3
	v_lshlrev_b64 v[2:3], 2, v[4:5]
	v_add_co_u32 v2, vcc_lo, s6, v2
	v_add_co_ci_u32_e64 v3, null, s7, v3, vcc_lo
	v_add_co_u32 v0, vcc_lo, v2, v0
	v_add_co_ci_u32_e64 v1, null, v3, v1, vcc_lo
	global_store_dword v[0:1], v51, off
.LBB63_87:
	s_endpgm
	.section	.rodata,"a",@progbits
	.p2align	6, 0x0
	.amdhsa_kernel _ZN2at6native12_GLOBAL__N_135GammaBetaBackwardCUDAKernelTemplateIffLj32ELj1ELj8ELb1ELb0ELb0EEEvllPKT_S5_PKT0_S8_PS3_S9_
		.amdhsa_group_segment_fixed_size 0
		.amdhsa_private_segment_fixed_size 0
		.amdhsa_kernarg_size 320
		.amdhsa_user_sgpr_count 6
		.amdhsa_user_sgpr_private_segment_buffer 1
		.amdhsa_user_sgpr_dispatch_ptr 0
		.amdhsa_user_sgpr_queue_ptr 0
		.amdhsa_user_sgpr_kernarg_segment_ptr 1
		.amdhsa_user_sgpr_dispatch_id 0
		.amdhsa_user_sgpr_flat_scratch_init 0
		.amdhsa_user_sgpr_private_segment_size 0
		.amdhsa_wavefront_size32 1
		.amdhsa_uses_dynamic_stack 0
		.amdhsa_system_sgpr_private_segment_wavefront_offset 0
		.amdhsa_system_sgpr_workgroup_id_x 1
		.amdhsa_system_sgpr_workgroup_id_y 1
		.amdhsa_system_sgpr_workgroup_id_z 0
		.amdhsa_system_sgpr_workgroup_info 0
		.amdhsa_system_vgpr_workitem_id 1
		.amdhsa_next_free_vgpr 95
		.amdhsa_next_free_sgpr 32
		.amdhsa_reserve_vcc 1
		.amdhsa_reserve_flat_scratch 0
		.amdhsa_float_round_mode_32 0
		.amdhsa_float_round_mode_16_64 0
		.amdhsa_float_denorm_mode_32 3
		.amdhsa_float_denorm_mode_16_64 3
		.amdhsa_dx10_clamp 1
		.amdhsa_ieee_mode 1
		.amdhsa_fp16_overflow 0
		.amdhsa_workgroup_processor_mode 1
		.amdhsa_memory_ordered 1
		.amdhsa_forward_progress 1
		.amdhsa_shared_vgpr_count 0
		.amdhsa_exception_fp_ieee_invalid_op 0
		.amdhsa_exception_fp_denorm_src 0
		.amdhsa_exception_fp_ieee_div_zero 0
		.amdhsa_exception_fp_ieee_overflow 0
		.amdhsa_exception_fp_ieee_underflow 0
		.amdhsa_exception_fp_ieee_inexact 0
		.amdhsa_exception_int_div_zero 0
	.end_amdhsa_kernel
	.section	.text._ZN2at6native12_GLOBAL__N_135GammaBetaBackwardCUDAKernelTemplateIffLj32ELj1ELj8ELb1ELb0ELb0EEEvllPKT_S5_PKT0_S8_PS3_S9_,"axG",@progbits,_ZN2at6native12_GLOBAL__N_135GammaBetaBackwardCUDAKernelTemplateIffLj32ELj1ELj8ELb1ELb0ELb0EEEvllPKT_S5_PKT0_S8_PS3_S9_,comdat
.Lfunc_end63:
	.size	_ZN2at6native12_GLOBAL__N_135GammaBetaBackwardCUDAKernelTemplateIffLj32ELj1ELj8ELb1ELb0ELb0EEEvllPKT_S5_PKT0_S8_PS3_S9_, .Lfunc_end63-_ZN2at6native12_GLOBAL__N_135GammaBetaBackwardCUDAKernelTemplateIffLj32ELj1ELj8ELb1ELb0ELb0EEEvllPKT_S5_PKT0_S8_PS3_S9_
                                        ; -- End function
	.set _ZN2at6native12_GLOBAL__N_135GammaBetaBackwardCUDAKernelTemplateIffLj32ELj1ELj8ELb1ELb0ELb0EEEvllPKT_S5_PKT0_S8_PS3_S9_.num_vgpr, 95
	.set _ZN2at6native12_GLOBAL__N_135GammaBetaBackwardCUDAKernelTemplateIffLj32ELj1ELj8ELb1ELb0ELb0EEEvllPKT_S5_PKT0_S8_PS3_S9_.num_agpr, 0
	.set _ZN2at6native12_GLOBAL__N_135GammaBetaBackwardCUDAKernelTemplateIffLj32ELj1ELj8ELb1ELb0ELb0EEEvllPKT_S5_PKT0_S8_PS3_S9_.numbered_sgpr, 32
	.set _ZN2at6native12_GLOBAL__N_135GammaBetaBackwardCUDAKernelTemplateIffLj32ELj1ELj8ELb1ELb0ELb0EEEvllPKT_S5_PKT0_S8_PS3_S9_.num_named_barrier, 0
	.set _ZN2at6native12_GLOBAL__N_135GammaBetaBackwardCUDAKernelTemplateIffLj32ELj1ELj8ELb1ELb0ELb0EEEvllPKT_S5_PKT0_S8_PS3_S9_.private_seg_size, 0
	.set _ZN2at6native12_GLOBAL__N_135GammaBetaBackwardCUDAKernelTemplateIffLj32ELj1ELj8ELb1ELb0ELb0EEEvllPKT_S5_PKT0_S8_PS3_S9_.uses_vcc, 1
	.set _ZN2at6native12_GLOBAL__N_135GammaBetaBackwardCUDAKernelTemplateIffLj32ELj1ELj8ELb1ELb0ELb0EEEvllPKT_S5_PKT0_S8_PS3_S9_.uses_flat_scratch, 0
	.set _ZN2at6native12_GLOBAL__N_135GammaBetaBackwardCUDAKernelTemplateIffLj32ELj1ELj8ELb1ELb0ELb0EEEvllPKT_S5_PKT0_S8_PS3_S9_.has_dyn_sized_stack, 0
	.set _ZN2at6native12_GLOBAL__N_135GammaBetaBackwardCUDAKernelTemplateIffLj32ELj1ELj8ELb1ELb0ELb0EEEvllPKT_S5_PKT0_S8_PS3_S9_.has_recursion, 0
	.set _ZN2at6native12_GLOBAL__N_135GammaBetaBackwardCUDAKernelTemplateIffLj32ELj1ELj8ELb1ELb0ELb0EEEvllPKT_S5_PKT0_S8_PS3_S9_.has_indirect_call, 0
	.section	.AMDGPU.csdata,"",@progbits
; Kernel info:
; codeLenInByte = 7988
; TotalNumSgprs: 34
; NumVgprs: 95
; ScratchSize: 0
; MemoryBound: 0
; FloatMode: 240
; IeeeMode: 1
; LDSByteSize: 0 bytes/workgroup (compile time only)
; SGPRBlocks: 0
; VGPRBlocks: 11
; NumSGPRsForWavesPerEU: 34
; NumVGPRsForWavesPerEU: 95
; Occupancy: 10
; WaveLimiterHint : 0
; COMPUTE_PGM_RSRC2:SCRATCH_EN: 0
; COMPUTE_PGM_RSRC2:USER_SGPR: 6
; COMPUTE_PGM_RSRC2:TRAP_HANDLER: 0
; COMPUTE_PGM_RSRC2:TGID_X_EN: 1
; COMPUTE_PGM_RSRC2:TGID_Y_EN: 1
; COMPUTE_PGM_RSRC2:TGID_Z_EN: 0
; COMPUTE_PGM_RSRC2:TIDIG_COMP_CNT: 1
	.section	.text._ZN2at6native12_GLOBAL__N_135GammaBetaBackwardCUDAKernelTemplateIffLj32ELj8ELj64ELb0ELb1ELb0EEEvllPKT_S5_PKT0_S8_PS3_S9_,"axG",@progbits,_ZN2at6native12_GLOBAL__N_135GammaBetaBackwardCUDAKernelTemplateIffLj32ELj8ELj64ELb0ELb1ELb0EEEvllPKT_S5_PKT0_S8_PS3_S9_,comdat
	.globl	_ZN2at6native12_GLOBAL__N_135GammaBetaBackwardCUDAKernelTemplateIffLj32ELj8ELj64ELb0ELb1ELb0EEEvllPKT_S5_PKT0_S8_PS3_S9_ ; -- Begin function _ZN2at6native12_GLOBAL__N_135GammaBetaBackwardCUDAKernelTemplateIffLj32ELj8ELj64ELb0ELb1ELb0EEEvllPKT_S5_PKT0_S8_PS3_S9_
	.p2align	8
	.type	_ZN2at6native12_GLOBAL__N_135GammaBetaBackwardCUDAKernelTemplateIffLj32ELj8ELj64ELb0ELb1ELb0EEEvllPKT_S5_PKT0_S8_PS3_S9_,@function
_ZN2at6native12_GLOBAL__N_135GammaBetaBackwardCUDAKernelTemplateIffLj32ELj8ELj64ELb0ELb1ELb0EEEvllPKT_S5_PKT0_S8_PS3_S9_: ; @_ZN2at6native12_GLOBAL__N_135GammaBetaBackwardCUDAKernelTemplateIffLj32ELj8ELj64ELb0ELb1ELb0EEEvllPKT_S5_PKT0_S8_PS3_S9_
; %bb.0:
	s_load_dwordx4 s[20:23], s[4:5], 0x0
	s_lshl_b32 s2, s7, 6
	s_mov_b32 s3, 0
	s_waitcnt lgkmcnt(0)
	v_cmp_gt_i64_e64 s0, s[20:21], s[2:3]
	s_and_b32 vcc_lo, exec_lo, s0
	s_cbranch_vccnz .LBB64_2
; %bb.1:
	s_mov_b32 s0, s3
	s_branch .LBB64_3
.LBB64_2:
	s_mov_b32 s0, -1
.LBB64_3:
	s_load_dwordx4 s[16:19], s[4:5], 0x30
	v_mov_b32_e32 v17, 0
	v_mov_b32_e32 v15, 0
	s_andn2_b32 vcc_lo, exec_lo, s0
	s_cbranch_vccnz .LBB64_10
; %bb.4:
	s_clause 0x2
	s_load_dword s0, s[4:5], 0x4c
	s_load_dword s1, s[4:5], 0x44
	s_load_dwordx8 s[8:15], s[4:5], 0x10
	v_lshlrev_b32_e32 v2, 3, v1
	v_mov_b32_e32 v3, 0
	v_mov_b32_e32 v8, 8
	;; [unrolled: 1-line block ×4, first 2 shown]
	v_add_co_u32 v4, s4, v2, s2
	v_add_co_ci_u32_e64 v5, null, 0, 0, s4
	v_lshl_add_u32 v2, s6, 5, v0
	v_mul_lo_u32 v17, s23, v4
	v_mad_u64_u32 v[6:7], null, s22, v4, 0
	v_mul_lo_u32 v18, s22, v5
	v_mov_b32_e32 v11, 16
	v_mov_b32_e32 v12, 20
	;; [unrolled: 1-line block ×3, first 2 shown]
	s_waitcnt lgkmcnt(0)
	s_and_b32 s0, s0, 0xffff
	s_lshl_b32 s4, s1, 6
	v_mad_u32_u24 v15, v1, s0, v0
	s_mul_i32 s1, s23, s4
	v_add3_u32 v7, v7, v18, v17
	s_mul_hi_u32 s7, s22, s4
	v_mov_b32_e32 v14, 28
	v_and_b32_e32 v19, 31, v15
	v_lshlrev_b64 v[15:16], 2, v[2:3]
	v_lshlrev_b64 v[17:18], 2, v[6:7]
	s_mov_b32 s5, 0
	s_add_i32 s27, s7, s1
	v_add_co_u32 v4, vcc_lo, v4, v19
	v_add_co_ci_u32_e64 v5, null, 0, v5, vcc_lo
	v_add_co_u32 v2, vcc_lo, v17, v15
	v_cmp_gt_u32_e64 s0, 8, v19
	v_lshlrev_b64 v[6:7], 2, v[4:5]
	v_add_co_ci_u32_e64 v16, null, v18, v16, vcc_lo
	v_mov_b32_e32 v15, 0
	v_mov_b32_e32 v17, 0
	s_mul_i32 s26, s22, s4
	s_lshl_b64 s[24:25], s[4:5], 2
	s_lshl_b64 s[26:27], s[26:27], 2
	s_lshl_b64 s[22:23], s[22:23], 2
	s_branch .LBB64_7
.LBB64_5:                               ;   in Loop: Header=BB64_7 Depth=1
	s_or_b32 exec_lo, exec_lo, s5
.LBB64_6:                               ;   in Loop: Header=BB64_7 Depth=1
	s_or_b32 exec_lo, exec_lo, s1
	v_add_co_u32 v20, vcc_lo, s8, v2
	v_add_co_ci_u32_e64 v21, null, s9, v16, vcc_lo
	v_add_co_u32 v22, vcc_lo, s10, v2
	v_add_co_ci_u32_e64 v23, null, s11, v16, vcc_lo
	global_load_dword v30, v[20:21], off
	v_add_co_u32 v20, vcc_lo, v20, s22
	v_add_co_ci_u32_e64 v21, null, s23, v21, vcc_lo
	v_add_co_u32 v24, vcc_lo, v22, s22
	v_add_co_ci_u32_e64 v25, null, s23, v23, vcc_lo
	;; [unrolled: 2-line block ×4, first 2 shown]
	global_load_dword v31, v[22:23], off
	global_load_dword v32, v[20:21], off
	;; [unrolled: 1-line block ×5, first 2 shown]
	v_add_co_u32 v20, vcc_lo, v28, s22
	v_add_co_ci_u32_e64 v21, null, s23, v29, vcc_lo
	v_add_co_u32 v22, vcc_lo, v26, s22
	v_add_co_ci_u32_e64 v23, null, s23, v27, vcc_lo
	global_load_dword v36, v[20:21], off
	v_add_co_u32 v24, vcc_lo, v22, s22
	v_add_co_ci_u32_e64 v25, null, s23, v23, vcc_lo
	v_add_co_u32 v20, vcc_lo, v20, s22
	v_add_co_ci_u32_e64 v21, null, s23, v21, vcc_lo
	;; [unrolled: 2-line block ×4, first 2 shown]
	s_clause 0x1
	global_load_dword v37, v[22:23], off
	global_load_dword v24, v[24:25], off
	;; [unrolled: 1-line block ×5, first 2 shown]
	v_add_co_u32 v20, vcc_lo, v28, s22
	v_add_co_ci_u32_e64 v21, null, s23, v29, vcc_lo
	v_add_co_u32 v22, vcc_lo, v26, s22
	v_add_co_ci_u32_e64 v23, null, s23, v27, vcc_lo
	global_load_dword v26, v[20:21], off
	v_add_co_u32 v20, vcc_lo, v20, s22
	v_add_co_ci_u32_e64 v21, null, s23, v21, vcc_lo
	global_load_dword v27, v[22:23], off
	global_load_dword v28, v[20:21], off
	v_add_co_u32 v20, vcc_lo, v22, s22
	v_add_co_ci_u32_e64 v21, null, s23, v23, vcc_lo
	s_waitcnt vmcnt(16)
	ds_bpermute_b32 v22, v9, v19
	s_waitcnt vmcnt(15)
	ds_bpermute_b32 v23, v3, v18
	ds_bpermute_b32 v29, v8, v19
	global_load_dword v20, v[20:21], off
	ds_bpermute_b32 v21, v3, v19
	ds_bpermute_b32 v40, v9, v18
	;; [unrolled: 1-line block ×5, first 2 shown]
	s_add_u32 s2, s2, s4
	v_add_co_u32 v6, vcc_lo, v6, s24
	s_addc_u32 s3, s3, 0
	v_add_co_ci_u32_e64 v7, null, s25, v7, vcc_lo
	v_add_co_u32 v4, vcc_lo, v4, s4
	v_cmp_lt_i64_e64 s1, s[2:3], s[20:21]
	v_add_co_ci_u32_e64 v5, null, 0, v5, vcc_lo
	v_add_co_u32 v2, vcc_lo, v2, s26
	v_add_co_ci_u32_e64 v16, null, s27, v16, vcc_lo
	s_and_b32 vcc_lo, exec_lo, s1
	s_waitcnt vmcnt(15)
	v_add_f32_e32 v17, v17, v30
	s_waitcnt vmcnt(14) lgkmcnt(4)
	v_sub_f32_e32 v21, v31, v21
	ds_bpermute_b32 v31, v8, v18
	s_waitcnt vmcnt(12)
	v_sub_f32_e32 v22, v33, v22
	ds_bpermute_b32 v33, v10, v18
	v_add_f32_e32 v17, v17, v32
	v_mul_f32_e32 v21, v30, v21
	ds_bpermute_b32 v30, v12, v18
	s_waitcnt vmcnt(11)
	v_add_f32_e32 v17, v17, v34
	v_fmac_f32_e32 v15, v21, v23
	v_mul_f32_e32 v21, v32, v22
	s_waitcnt vmcnt(10)
	v_sub_f32_e32 v22, v35, v29
	ds_bpermute_b32 v23, v11, v18
	ds_bpermute_b32 v29, v13, v19
	;; [unrolled: 1-line block ×3, first 2 shown]
	s_waitcnt lgkmcnt(9)
	v_fmac_f32_e32 v15, v21, v40
	v_mul_f32_e32 v21, v34, v22
	s_waitcnt vmcnt(9) lgkmcnt(8)
	v_sub_f32_e32 v22, v36, v41
	s_waitcnt lgkmcnt(5)
	v_fmac_f32_e32 v15, v21, v31
	s_waitcnt vmcnt(8)
	v_mul_f32_e32 v21, v37, v22
	v_add_f32_e32 v17, v17, v37
	s_waitcnt vmcnt(6)
	v_sub_f32_e32 v22, v25, v42
	ds_bpermute_b32 v25, v13, v18
	ds_bpermute_b32 v18, v14, v18
	s_waitcnt lgkmcnt(6)
	v_fmac_f32_e32 v15, v21, v33
	v_add_f32_e32 v17, v17, v24
	v_mul_f32_e32 v21, v24, v22
	s_waitcnt vmcnt(4)
	v_sub_f32_e32 v22, v39, v43
	v_add_f32_e32 v17, v17, v38
	s_waitcnt lgkmcnt(4)
	v_fmac_f32_e32 v15, v21, v23
	v_mul_f32_e32 v21, v38, v22
	s_waitcnt vmcnt(3) lgkmcnt(3)
	v_sub_f32_e32 v22, v26, v29
	v_fmac_f32_e32 v15, v21, v30
	s_waitcnt vmcnt(2)
	v_mul_f32_e32 v21, v27, v22
	s_waitcnt vmcnt(1) lgkmcnt(2)
	v_sub_f32_e32 v19, v28, v19
	v_add_f32_e32 v17, v17, v27
	s_waitcnt lgkmcnt(1)
	v_fmac_f32_e32 v15, v21, v25
	s_waitcnt vmcnt(0)
	v_mul_f32_e32 v19, v20, v19
	v_add_f32_e32 v17, v17, v20
	s_waitcnt lgkmcnt(0)
	v_fmac_f32_e32 v15, v19, v18
	s_cbranch_vccz .LBB64_10
.LBB64_7:                               ; =>This Inner Loop Header: Depth=1
	v_mov_b32_e32 v18, 0
	v_mov_b32_e32 v19, 0
	s_and_saveexec_b32 s1, s0
	s_cbranch_execz .LBB64_6
; %bb.8:                                ;   in Loop: Header=BB64_7 Depth=1
	v_mov_b32_e32 v19, 0
	v_mov_b32_e32 v18, 0
	s_mov_b32 s5, exec_lo
	v_cmpx_gt_i64_e64 s[20:21], v[4:5]
	s_cbranch_execz .LBB64_5
; %bb.9:                                ;   in Loop: Header=BB64_7 Depth=1
	v_add_co_u32 v18, vcc_lo, s12, v6
	v_add_co_ci_u32_e64 v19, null, s13, v7, vcc_lo
	v_add_co_u32 v20, vcc_lo, s14, v6
	v_add_co_ci_u32_e64 v21, null, s15, v7, vcc_lo
	global_load_dword v19, v[18:19], off
	global_load_dword v18, v[20:21], off
	s_branch .LBB64_5
.LBB64_10:
	v_mad_u32_u24 v2, v1, 33, v0
	v_lshrrev_b32_e32 v3, 5, v0
	s_mov_b32 s0, exec_lo
	v_lshl_add_u32 v4, v2, 2, 0
	v_add_nc_u32_e32 v2, v3, v1
	ds_write_b32 v4, v15
	ds_write_b32 v4, v17 offset:1056
	s_waitcnt lgkmcnt(0)
	s_barrier
	buffer_gl0_inv
	v_cmpx_gt_u32_e32 32, v2
	s_cbranch_execz .LBB64_42
; %bb.11:
	v_and_b32_e32 v1, 31, v0
                                        ; implicit-def: $vgpr6
	v_cmp_gt_u32_e64 s0, 8, v1
	v_mul_u32_u24_e32 v3, 33, v1
                                        ; implicit-def: $vgpr1
	s_and_saveexec_b32 s1, s0
	s_cbranch_execz .LBB64_13
; %bb.12:
	v_add_nc_u32_e32 v1, v2, v3
	v_lshl_add_u32 v1, v1, 2, 0
	ds_read_b32 v6, v1
	ds_read_b32 v1, v1 offset:1056
.LBB64_13:
	s_or_b32 exec_lo, exec_lo, s1
	v_mbcnt_lo_u32_b32 v7, -1, 0
	s_mov_b32 s7, 0
	v_cmp_eq_u32_e64 s1, 0, v0
	s_lshl_b64 s[2:3], s[6:7], 5
	s_cmp_lg_u64 s[16:17], 0
	v_xor_b32_e32 v4, 4, v7
	v_xor_b32_e32 v5, 2, v7
	s_cselect_b32 s5, -1, 0
	s_cmp_lg_u64 s[18:19], 0
	s_cselect_b32 s4, -1, 0
	v_cmp_gt_i32_e32 vcc_lo, 32, v4
	v_cndmask_b32_e32 v4, v7, v4, vcc_lo
	v_cmp_gt_i32_e32 vcc_lo, 32, v5
	v_lshlrev_b32_e32 v4, 2, v4
	v_cndmask_b32_e32 v5, v7, v5, vcc_lo
	s_waitcnt lgkmcnt(1)
	ds_bpermute_b32 v8, v4, v6
	s_waitcnt lgkmcnt(1)
	ds_bpermute_b32 v9, v4, v1
	v_lshlrev_b32_e32 v5, 2, v5
	s_waitcnt lgkmcnt(1)
	v_add_f32_e32 v8, v6, v8
	s_waitcnt lgkmcnt(0)
	v_add_f32_e32 v1, v1, v9
	v_xor_b32_e32 v6, 1, v7
	ds_bpermute_b32 v9, v5, v8
	ds_bpermute_b32 v10, v5, v1
	v_cmp_gt_i32_e32 vcc_lo, 32, v6
	v_cndmask_b32_e32 v6, v7, v6, vcc_lo
	v_lshlrev_b32_e32 v6, 2, v6
	s_waitcnt lgkmcnt(1)
	v_add_f32_e32 v7, v8, v9
	s_waitcnt lgkmcnt(0)
	v_add_f32_e32 v1, v1, v10
	ds_bpermute_b32 v8, v6, v7
	ds_bpermute_b32 v9, v6, v1
	s_waitcnt lgkmcnt(1)
	v_add_f32_e32 v7, v7, v8
	s_waitcnt lgkmcnt(0)
	v_add_f32_e32 v8, v1, v9
	s_and_saveexec_b32 s6, s1
	s_cbranch_execz .LBB64_18
; %bb.14:
	v_mov_b32_e32 v1, s3
	v_or_b32_e32 v0, s2, v2
	s_andn2_b32 vcc_lo, exec_lo, s5
	v_lshlrev_b64 v[0:1], 2, v[0:1]
	s_cbranch_vccnz .LBB64_16
; %bb.15:
	v_add_co_u32 v9, vcc_lo, s16, v0
	v_add_co_ci_u32_e64 v10, null, s17, v1, vcc_lo
	global_store_dword v[9:10], v7, off
.LBB64_16:
	s_andn2_b32 vcc_lo, exec_lo, s4
	s_cbranch_vccnz .LBB64_18
; %bb.17:
	v_add_co_u32 v0, vcc_lo, s18, v0
	v_add_co_ci_u32_e64 v1, null, s19, v1, vcc_lo
	global_store_dword v[0:1], v8, off
.LBB64_18:
	s_or_b32 exec_lo, exec_lo, s6
	v_cmp_gt_u32_e32 vcc_lo, 24, v2
	s_and_b32 exec_lo, exec_lo, vcc_lo
	s_cbranch_execz .LBB64_42
; %bb.19:
	s_and_saveexec_b32 s6, s0
	s_cbranch_execz .LBB64_21
; %bb.20:
	v_add_nc_u32_e32 v0, v2, v3
	v_lshl_add_u32 v0, v0, 2, 0
	ds_read_b32 v7, v0 offset:32
	ds_read_b32 v8, v0 offset:1088
.LBB64_21:
	s_or_b32 exec_lo, exec_lo, s6
	s_waitcnt lgkmcnt(1)
	ds_bpermute_b32 v0, v4, v7
	s_waitcnt lgkmcnt(1)
	ds_bpermute_b32 v1, v4, v8
	s_waitcnt lgkmcnt(1)
	v_add_f32_e32 v0, v7, v0
	s_waitcnt lgkmcnt(0)
	v_add_f32_e32 v1, v8, v1
	ds_bpermute_b32 v7, v5, v0
	ds_bpermute_b32 v8, v5, v1
	s_waitcnt lgkmcnt(1)
	v_add_f32_e32 v0, v0, v7
	s_waitcnt lgkmcnt(0)
	v_add_f32_e32 v1, v1, v8
	ds_bpermute_b32 v7, v6, v0
	ds_bpermute_b32 v8, v6, v1
	s_waitcnt lgkmcnt(1)
	v_add_f32_e32 v0, v0, v7
	s_waitcnt lgkmcnt(0)
	v_add_f32_e32 v1, v1, v8
	s_and_saveexec_b32 s6, s1
	s_cbranch_execz .LBB64_26
; %bb.22:
	s_andn2_b32 vcc_lo, exec_lo, s5
	s_cbranch_vccnz .LBB64_24
; %bb.23:
	v_add_co_u32 v7, s7, s2, v2
	v_add_co_ci_u32_e64 v8, null, s3, 0, s7
	v_lshlrev_b64 v[7:8], 2, v[7:8]
	v_add_co_u32 v7, vcc_lo, s16, v7
	v_add_co_ci_u32_e64 v8, null, s17, v8, vcc_lo
	global_store_dword v[7:8], v0, off offset:32
.LBB64_24:
	s_andn2_b32 vcc_lo, exec_lo, s4
	s_cbranch_vccnz .LBB64_26
; %bb.25:
	v_add_co_u32 v7, s7, s2, v2
	v_add_co_ci_u32_e64 v8, null, s3, 0, s7
	v_lshlrev_b64 v[7:8], 2, v[7:8]
	v_add_co_u32 v7, vcc_lo, s18, v7
	v_add_co_ci_u32_e64 v8, null, s19, v8, vcc_lo
	global_store_dword v[7:8], v1, off offset:32
.LBB64_26:
	s_or_b32 exec_lo, exec_lo, s6
	v_cmp_gt_u32_e32 vcc_lo, 16, v2
	s_and_b32 exec_lo, exec_lo, vcc_lo
	s_cbranch_execz .LBB64_42
; %bb.27:
	s_and_saveexec_b32 s6, s0
	s_cbranch_execz .LBB64_29
; %bb.28:
	v_add_nc_u32_e32 v0, v2, v3
	v_lshl_add_u32 v1, v0, 2, 0
	ds_read_b32 v0, v1 offset:64
	ds_read_b32 v1, v1 offset:1120
.LBB64_29:
	s_or_b32 exec_lo, exec_lo, s6
	s_waitcnt lgkmcnt(1)
	ds_bpermute_b32 v7, v4, v0
	s_waitcnt lgkmcnt(1)
	ds_bpermute_b32 v8, v4, v1
	s_waitcnt lgkmcnt(1)
	v_add_f32_e32 v0, v0, v7
	s_waitcnt lgkmcnt(0)
	v_add_f32_e32 v1, v1, v8
	ds_bpermute_b32 v7, v5, v0
	ds_bpermute_b32 v8, v5, v1
	s_waitcnt lgkmcnt(1)
	v_add_f32_e32 v0, v0, v7
	s_waitcnt lgkmcnt(0)
	v_add_f32_e32 v1, v1, v8
	ds_bpermute_b32 v7, v6, v0
	ds_bpermute_b32 v8, v6, v1
	s_waitcnt lgkmcnt(1)
	v_add_f32_e32 v0, v0, v7
	s_waitcnt lgkmcnt(0)
	v_add_f32_e32 v1, v1, v8
	s_and_saveexec_b32 s6, s1
	s_cbranch_execz .LBB64_34
; %bb.30:
	s_andn2_b32 vcc_lo, exec_lo, s5
	s_cbranch_vccnz .LBB64_32
; %bb.31:
	v_add_co_u32 v7, s7, s2, v2
	v_add_co_ci_u32_e64 v8, null, s3, 0, s7
	v_lshlrev_b64 v[7:8], 2, v[7:8]
	v_add_co_u32 v7, vcc_lo, s16, v7
	v_add_co_ci_u32_e64 v8, null, s17, v8, vcc_lo
	global_store_dword v[7:8], v0, off offset:64
.LBB64_32:
	s_andn2_b32 vcc_lo, exec_lo, s4
	s_cbranch_vccnz .LBB64_34
; %bb.33:
	v_add_co_u32 v7, s7, s2, v2
	v_add_co_ci_u32_e64 v8, null, s3, 0, s7
	v_lshlrev_b64 v[7:8], 2, v[7:8]
	v_add_co_u32 v7, vcc_lo, s18, v7
	v_add_co_ci_u32_e64 v8, null, s19, v8, vcc_lo
	global_store_dword v[7:8], v1, off offset:64
.LBB64_34:
	s_or_b32 exec_lo, exec_lo, s6
	v_cmp_gt_u32_e32 vcc_lo, 8, v2
	s_and_b32 exec_lo, exec_lo, vcc_lo
	s_cbranch_execz .LBB64_42
; %bb.35:
	s_and_saveexec_b32 s6, s0
	s_cbranch_execz .LBB64_37
; %bb.36:
	v_add_nc_u32_e32 v0, v2, v3
	v_lshl_add_u32 v1, v0, 2, 0
	ds_read_b32 v0, v1 offset:96
	ds_read_b32 v1, v1 offset:1152
.LBB64_37:
	s_or_b32 exec_lo, exec_lo, s6
	s_waitcnt lgkmcnt(1)
	ds_bpermute_b32 v3, v4, v0
	s_waitcnt lgkmcnt(1)
	ds_bpermute_b32 v4, v4, v1
	s_waitcnt lgkmcnt(1)
	v_add_f32_e32 v0, v0, v3
	s_waitcnt lgkmcnt(0)
	v_add_f32_e32 v1, v1, v4
	ds_bpermute_b32 v3, v5, v0
	ds_bpermute_b32 v4, v5, v1
	s_waitcnt lgkmcnt(1)
	v_add_f32_e32 v3, v0, v3
	s_waitcnt lgkmcnt(0)
	v_add_f32_e32 v0, v1, v4
	ds_bpermute_b32 v4, v6, v3
	ds_bpermute_b32 v1, v6, v0
	s_and_b32 exec_lo, exec_lo, s1
	s_cbranch_execz .LBB64_42
; %bb.38:
	s_andn2_b32 vcc_lo, exec_lo, s5
	s_cbranch_vccnz .LBB64_40
; %bb.39:
	v_add_co_u32 v5, s0, s2, v2
	v_add_co_ci_u32_e64 v6, null, s3, 0, s0
	s_waitcnt lgkmcnt(1)
	v_add_f32_e32 v7, v3, v4
	v_lshlrev_b64 v[5:6], 2, v[5:6]
	v_add_co_u32 v3, vcc_lo, s16, v5
	v_add_co_ci_u32_e64 v4, null, s17, v6, vcc_lo
	global_store_dword v[3:4], v7, off offset:96
.LBB64_40:
	s_andn2_b32 vcc_lo, exec_lo, s4
	s_cbranch_vccnz .LBB64_42
; %bb.41:
	v_add_co_u32 v2, s0, s2, v2
	v_add_co_ci_u32_e64 v3, null, s3, 0, s0
	s_waitcnt lgkmcnt(0)
	v_add_f32_e32 v4, v0, v1
	v_lshlrev_b64 v[2:3], 2, v[2:3]
	v_add_co_u32 v0, vcc_lo, s18, v2
	v_add_co_ci_u32_e64 v1, null, s19, v3, vcc_lo
	global_store_dword v[0:1], v4, off offset:96
.LBB64_42:
	s_endpgm
	.section	.rodata,"a",@progbits
	.p2align	6, 0x0
	.amdhsa_kernel _ZN2at6native12_GLOBAL__N_135GammaBetaBackwardCUDAKernelTemplateIffLj32ELj8ELj64ELb0ELb1ELb0EEEvllPKT_S5_PKT0_S8_PS3_S9_
		.amdhsa_group_segment_fixed_size 0
		.amdhsa_private_segment_fixed_size 0
		.amdhsa_kernarg_size 320
		.amdhsa_user_sgpr_count 6
		.amdhsa_user_sgpr_private_segment_buffer 1
		.amdhsa_user_sgpr_dispatch_ptr 0
		.amdhsa_user_sgpr_queue_ptr 0
		.amdhsa_user_sgpr_kernarg_segment_ptr 1
		.amdhsa_user_sgpr_dispatch_id 0
		.amdhsa_user_sgpr_flat_scratch_init 0
		.amdhsa_user_sgpr_private_segment_size 0
		.amdhsa_wavefront_size32 1
		.amdhsa_uses_dynamic_stack 0
		.amdhsa_system_sgpr_private_segment_wavefront_offset 0
		.amdhsa_system_sgpr_workgroup_id_x 1
		.amdhsa_system_sgpr_workgroup_id_y 1
		.amdhsa_system_sgpr_workgroup_id_z 0
		.amdhsa_system_sgpr_workgroup_info 0
		.amdhsa_system_vgpr_workitem_id 1
		.amdhsa_next_free_vgpr 44
		.amdhsa_next_free_sgpr 28
		.amdhsa_reserve_vcc 1
		.amdhsa_reserve_flat_scratch 0
		.amdhsa_float_round_mode_32 0
		.amdhsa_float_round_mode_16_64 0
		.amdhsa_float_denorm_mode_32 3
		.amdhsa_float_denorm_mode_16_64 3
		.amdhsa_dx10_clamp 1
		.amdhsa_ieee_mode 1
		.amdhsa_fp16_overflow 0
		.amdhsa_workgroup_processor_mode 1
		.amdhsa_memory_ordered 1
		.amdhsa_forward_progress 1
		.amdhsa_shared_vgpr_count 0
		.amdhsa_exception_fp_ieee_invalid_op 0
		.amdhsa_exception_fp_denorm_src 0
		.amdhsa_exception_fp_ieee_div_zero 0
		.amdhsa_exception_fp_ieee_overflow 0
		.amdhsa_exception_fp_ieee_underflow 0
		.amdhsa_exception_fp_ieee_inexact 0
		.amdhsa_exception_int_div_zero 0
	.end_amdhsa_kernel
	.section	.text._ZN2at6native12_GLOBAL__N_135GammaBetaBackwardCUDAKernelTemplateIffLj32ELj8ELj64ELb0ELb1ELb0EEEvllPKT_S5_PKT0_S8_PS3_S9_,"axG",@progbits,_ZN2at6native12_GLOBAL__N_135GammaBetaBackwardCUDAKernelTemplateIffLj32ELj8ELj64ELb0ELb1ELb0EEEvllPKT_S5_PKT0_S8_PS3_S9_,comdat
.Lfunc_end64:
	.size	_ZN2at6native12_GLOBAL__N_135GammaBetaBackwardCUDAKernelTemplateIffLj32ELj8ELj64ELb0ELb1ELb0EEEvllPKT_S5_PKT0_S8_PS3_S9_, .Lfunc_end64-_ZN2at6native12_GLOBAL__N_135GammaBetaBackwardCUDAKernelTemplateIffLj32ELj8ELj64ELb0ELb1ELb0EEEvllPKT_S5_PKT0_S8_PS3_S9_
                                        ; -- End function
	.set _ZN2at6native12_GLOBAL__N_135GammaBetaBackwardCUDAKernelTemplateIffLj32ELj8ELj64ELb0ELb1ELb0EEEvllPKT_S5_PKT0_S8_PS3_S9_.num_vgpr, 44
	.set _ZN2at6native12_GLOBAL__N_135GammaBetaBackwardCUDAKernelTemplateIffLj32ELj8ELj64ELb0ELb1ELb0EEEvllPKT_S5_PKT0_S8_PS3_S9_.num_agpr, 0
	.set _ZN2at6native12_GLOBAL__N_135GammaBetaBackwardCUDAKernelTemplateIffLj32ELj8ELj64ELb0ELb1ELb0EEEvllPKT_S5_PKT0_S8_PS3_S9_.numbered_sgpr, 28
	.set _ZN2at6native12_GLOBAL__N_135GammaBetaBackwardCUDAKernelTemplateIffLj32ELj8ELj64ELb0ELb1ELb0EEEvllPKT_S5_PKT0_S8_PS3_S9_.num_named_barrier, 0
	.set _ZN2at6native12_GLOBAL__N_135GammaBetaBackwardCUDAKernelTemplateIffLj32ELj8ELj64ELb0ELb1ELb0EEEvllPKT_S5_PKT0_S8_PS3_S9_.private_seg_size, 0
	.set _ZN2at6native12_GLOBAL__N_135GammaBetaBackwardCUDAKernelTemplateIffLj32ELj8ELj64ELb0ELb1ELb0EEEvllPKT_S5_PKT0_S8_PS3_S9_.uses_vcc, 1
	.set _ZN2at6native12_GLOBAL__N_135GammaBetaBackwardCUDAKernelTemplateIffLj32ELj8ELj64ELb0ELb1ELb0EEEvllPKT_S5_PKT0_S8_PS3_S9_.uses_flat_scratch, 0
	.set _ZN2at6native12_GLOBAL__N_135GammaBetaBackwardCUDAKernelTemplateIffLj32ELj8ELj64ELb0ELb1ELb0EEEvllPKT_S5_PKT0_S8_PS3_S9_.has_dyn_sized_stack, 0
	.set _ZN2at6native12_GLOBAL__N_135GammaBetaBackwardCUDAKernelTemplateIffLj32ELj8ELj64ELb0ELb1ELb0EEEvllPKT_S5_PKT0_S8_PS3_S9_.has_recursion, 0
	.set _ZN2at6native12_GLOBAL__N_135GammaBetaBackwardCUDAKernelTemplateIffLj32ELj8ELj64ELb0ELb1ELb0EEEvllPKT_S5_PKT0_S8_PS3_S9_.has_indirect_call, 0
	.section	.AMDGPU.csdata,"",@progbits
; Kernel info:
; codeLenInByte = 2476
; TotalNumSgprs: 30
; NumVgprs: 44
; ScratchSize: 0
; MemoryBound: 0
; FloatMode: 240
; IeeeMode: 1
; LDSByteSize: 0 bytes/workgroup (compile time only)
; SGPRBlocks: 0
; VGPRBlocks: 5
; NumSGPRsForWavesPerEU: 30
; NumVGPRsForWavesPerEU: 44
; Occupancy: 16
; WaveLimiterHint : 0
; COMPUTE_PGM_RSRC2:SCRATCH_EN: 0
; COMPUTE_PGM_RSRC2:USER_SGPR: 6
; COMPUTE_PGM_RSRC2:TRAP_HANDLER: 0
; COMPUTE_PGM_RSRC2:TGID_X_EN: 1
; COMPUTE_PGM_RSRC2:TGID_Y_EN: 1
; COMPUTE_PGM_RSRC2:TGID_Z_EN: 0
; COMPUTE_PGM_RSRC2:TIDIG_COMP_CNT: 1
	.section	.text._ZN2at6native12_GLOBAL__N_135GammaBetaBackwardCUDAKernelTemplateIffLj32ELj8ELj64ELb0ELb0ELb0EEEvllPKT_S5_PKT0_S8_PS3_S9_,"axG",@progbits,_ZN2at6native12_GLOBAL__N_135GammaBetaBackwardCUDAKernelTemplateIffLj32ELj8ELj64ELb0ELb0ELb0EEEvllPKT_S5_PKT0_S8_PS3_S9_,comdat
	.globl	_ZN2at6native12_GLOBAL__N_135GammaBetaBackwardCUDAKernelTemplateIffLj32ELj8ELj64ELb0ELb0ELb0EEEvllPKT_S5_PKT0_S8_PS3_S9_ ; -- Begin function _ZN2at6native12_GLOBAL__N_135GammaBetaBackwardCUDAKernelTemplateIffLj32ELj8ELj64ELb0ELb0ELb0EEEvllPKT_S5_PKT0_S8_PS3_S9_
	.p2align	8
	.type	_ZN2at6native12_GLOBAL__N_135GammaBetaBackwardCUDAKernelTemplateIffLj32ELj8ELj64ELb0ELb0ELb0EEEvllPKT_S5_PKT0_S8_PS3_S9_,@function
_ZN2at6native12_GLOBAL__N_135GammaBetaBackwardCUDAKernelTemplateIffLj32ELj8ELj64ELb0ELb0ELb0EEEvllPKT_S5_PKT0_S8_PS3_S9_: ; @_ZN2at6native12_GLOBAL__N_135GammaBetaBackwardCUDAKernelTemplateIffLj32ELj8ELj64ELb0ELb0ELb0EEEvllPKT_S5_PKT0_S8_PS3_S9_
; %bb.0:
	s_clause 0x1
	s_load_dwordx8 s[12:19], s[4:5], 0x0
	s_load_dwordx4 s[20:23], s[4:5], 0x20
	s_lshl_b32 s30, s6, 5
	s_mov_b32 s11, 0
	s_or_b32 s10, s30, 31
	s_waitcnt lgkmcnt(0)
	v_cmp_le_i64_e64 s0, s[14:15], s[10:11]
	s_lshl_b32 s10, s7, 6
	v_cmp_gt_i64_e64 s7, s[12:13], s[10:11]
	s_and_b32 vcc_lo, exec_lo, s0
	v_cndmask_b32_e64 v2, 0, 1, s7
	v_cmp_ne_u32_e64 s0, 1, v2
	s_cbranch_vccz .LBB65_49
; %bb.1:
	v_mov_b32_e32 v49, 0
	v_mov_b32_e32 v55, 0
	s_and_b32 vcc_lo, exec_lo, s0
	s_cbranch_vccnz .LBB65_50
; %bb.2:
	v_lshlrev_b32_e32 v21, 3, v1
	v_mov_b32_e32 v2, 0
	v_add_nc_u32_e32 v5, s30, v0
	s_load_dword s1, s[4:5], 0x44
	s_add_u32 s2, s4, 64
	v_add_co_u32 v11, s0, v21, s10
	v_add_co_ci_u32_e64 v12, null, 0, 0, s0
	v_mov_b32_e32 v6, v2
	v_mul_lo_u32 v7, s15, v11
	v_mad_u64_u32 v[3:4], null, s14, v11, 0
	v_mul_lo_u32 v8, s14, v12
	v_cmp_gt_i64_e64 s0, s[14:15], v[5:6]
	v_lshlrev_b64 v[19:20], 2, v[5:6]
	s_addc_u32 s3, s5, 0
	v_mov_b32_e32 v56, 0
	v_mov_b32_e32 v49, 0
	s_mov_b64 s[26:27], s[10:11]
	v_add3_u32 v4, v4, v8, v7
	v_add_co_u32 v7, vcc_lo, v11, 7
	v_add_co_ci_u32_e64 v8, null, 0, v12, vcc_lo
	v_lshlrev_b64 v[5:6], 2, v[3:4]
	v_mul_lo_u32 v13, s15, v7
	s_waitcnt lgkmcnt(0)
	s_lshl_b32 s28, s1, 6
	v_mul_lo_u32 v14, s14, v8
	v_mad_u64_u32 v[7:8], null, s14, v7, 0
	v_add_co_u32 v22, vcc_lo, s16, v5
	v_add_co_ci_u32_e64 v23, null, s17, v6, vcc_lo
	v_add_co_u32 v9, vcc_lo, v11, 6
	v_add_co_ci_u32_e64 v10, null, 0, v12, vcc_lo
	v_add_co_u32 v24, vcc_lo, s18, v5
	v_mul_lo_u32 v15, s15, v9
	v_mul_lo_u32 v16, s14, v10
	v_mad_u64_u32 v[9:10], null, s14, v9, 0
	v_add3_u32 v8, v8, v14, v13
	v_add_co_ci_u32_e64 v25, null, s19, v6, vcc_lo
	v_add_co_u32 v13, vcc_lo, v11, 5
	v_add_co_ci_u32_e64 v14, null, 0, v12, vcc_lo
	v_add3_u32 v10, v10, v16, v15
	v_lshlrev_b64 v[5:6], 2, v[7:8]
	v_mul_lo_u32 v15, s15, v13
	v_mul_lo_u32 v14, s14, v14
	s_mul_i32 s1, s15, s28
	v_lshlrev_b64 v[7:8], 2, v[9:10]
	v_mad_u64_u32 v[9:10], null, s14, v13, 0
	v_add_co_u32 v26, vcc_lo, s16, v5
	v_add_co_ci_u32_e64 v27, null, s17, v6, vcc_lo
	v_add_co_u32 v28, vcc_lo, s18, v5
	v_add_co_ci_u32_e64 v29, null, s19, v6, vcc_lo
	v_add_co_u32 v30, vcc_lo, s16, v7
	v_add3_u32 v10, v10, v14, v15
	s_mul_hi_u32 s8, s14, s28
	v_add_co_ci_u32_e64 v31, null, s17, v8, vcc_lo
	v_add_co_u32 v13, vcc_lo, v11, 4
	s_add_i32 s9, s8, s1
	v_add_co_u32 v32, s1, s18, v7
	v_add_co_ci_u32_e64 v7, null, 0, v12, vcc_lo
	v_lshlrev_b64 v[5:6], 2, v[9:10]
	v_add_co_u32 v9, vcc_lo, v11, 3
	v_add_co_ci_u32_e64 v10, null, 0, v12, vcc_lo
	v_add_co_ci_u32_e64 v33, null, s19, v8, s1
	v_mul_lo_u32 v14, s15, v13
	v_mul_lo_u32 v15, s14, v7
	v_mad_u64_u32 v[7:8], null, s14, v13, 0
	v_mul_lo_u32 v13, s15, v9
	v_mul_lo_u32 v16, s14, v10
	v_mad_u64_u32 v[9:10], null, s14, v9, 0
	v_add_co_u32 v34, vcc_lo, s16, v5
	v_add_co_ci_u32_e64 v35, null, s17, v6, vcc_lo
	v_add3_u32 v8, v8, v15, v14
	v_add_co_u32 v36, vcc_lo, s18, v5
	v_add_co_ci_u32_e64 v37, null, s19, v6, vcc_lo
	v_add_co_u32 v11, vcc_lo, v11, 2
	v_add3_u32 v10, v10, v16, v13
	v_add_co_ci_u32_e64 v12, null, 0, v12, vcc_lo
	v_lshlrev_b64 v[5:6], 2, v[7:8]
	v_mul_lo_u32 v13, s15, v11
	v_lshlrev_b64 v[7:8], 2, v[9:10]
	v_mul_lo_u32 v12, s14, v12
	v_mad_u64_u32 v[9:10], null, s14, v11, 0
	v_add_co_u32 v38, vcc_lo, s16, v5
	v_add_co_ci_u32_e64 v39, null, s17, v6, vcc_lo
	v_add_co_u32 v40, vcc_lo, s18, v5
	v_add_co_ci_u32_e64 v41, null, s19, v6, vcc_lo
	;; [unrolled: 2-line block ×3, first 2 shown]
	v_add3_u32 v10, v10, v12, v13
	v_add_co_u32 v44, vcc_lo, s18, v7
	v_add_co_ci_u32_e64 v45, null, s19, v8, vcc_lo
	v_add_co_u32 v3, vcc_lo, v3, s14
	v_add_co_ci_u32_e64 v4, null, s15, v4, vcc_lo
	v_lshlrev_b64 v[5:6], 2, v[9:10]
	s_mul_i32 s8, s14, s28
	v_lshlrev_b64 v[3:4], 2, v[3:4]
	s_lshl_b64 s[8:9], s[8:9], 2
	s_add_u32 s24, s10, 63
	v_add_co_u32 v46, vcc_lo, s16, v5
	v_add_co_ci_u32_e64 v47, null, s17, v6, vcc_lo
	v_add_co_u32 v48, vcc_lo, s18, v5
	v_add_co_ci_u32_e64 v50, null, s19, v6, vcc_lo
	;; [unrolled: 2-line block ×4, first 2 shown]
	s_addc_u32 s25, 0, 0
.LBB65_3:                               ; =>This Inner Loop Header: Depth=1
	v_cmp_ge_i64_e64 s1, s[24:25], s[12:13]
	v_add_co_u32 v57, s29, v21, s24
	v_add_co_ci_u32_e64 v58, null, 0, s25, s29
                                        ; implicit-def: $vgpr3_vgpr4_vgpr5_vgpr6_vgpr7_vgpr8_vgpr9_vgpr10
                                        ; implicit-def: $vgpr60
                                        ; implicit-def: $vgpr11_vgpr12_vgpr13_vgpr14_vgpr15_vgpr16_vgpr17_vgpr18
                                        ; implicit-def: $vgpr3
	s_and_b32 vcc_lo, exec_lo, s1
	s_mov_b32 s1, -1
                                        ; implicit-def: $vgpr4
                                        ; implicit-def: $vgpr55
	s_cbranch_vccz .LBB65_25
; %bb.4:                                ;   in Loop: Header=BB65_3 Depth=1
	s_load_dword s1, s[2:3], 0xc
	v_mov_b32_e32 v60, 0
	v_mov_b32_e32 v59, 0
	s_waitcnt lgkmcnt(0)
	s_and_b32 s1, s1, 0xffff
	v_mad_u32_u24 v3, v1, s1, v0
	s_mov_b32 s1, exec_lo
	v_and_b32_e32 v3, 31, v3
	v_cmpx_gt_u32_e32 8, v3
	s_cbranch_execz .LBB65_8
; %bb.5:                                ;   in Loop: Header=BB65_3 Depth=1
	v_add_co_u32 v3, vcc_lo, v57, v3
	v_add_co_ci_u32_e64 v4, null, 0, v58, vcc_lo
	v_mov_b32_e32 v59, 0
	v_add_co_u32 v3, vcc_lo, 0xffffffc1, v3
	v_add_co_ci_u32_e64 v4, null, -1, v4, vcc_lo
	v_mov_b32_e32 v60, 0
	s_mov_b32 s29, exec_lo
	v_cmpx_gt_i64_e64 s[12:13], v[3:4]
	s_cbranch_execz .LBB65_7
; %bb.6:                                ;   in Loop: Header=BB65_3 Depth=1
	v_lshlrev_b64 v[3:4], 2, v[3:4]
	v_add_co_u32 v5, vcc_lo, s20, v3
	v_add_co_ci_u32_e64 v6, null, s21, v4, vcc_lo
	v_add_co_u32 v3, vcc_lo, s22, v3
	v_add_co_ci_u32_e64 v4, null, s23, v4, vcc_lo
	global_load_dword v59, v[5:6], off
	global_load_dword v60, v[3:4], off
.LBB65_7:                               ;   in Loop: Header=BB65_3 Depth=1
	s_or_b32 exec_lo, exec_lo, s29
.LBB65_8:                               ;   in Loop: Header=BB65_3 Depth=1
	s_or_b32 exec_lo, exec_lo, s1
	v_add_co_u32 v10, vcc_lo, 0xffffffc1, v57
	v_add_co_ci_u32_e64 v11, null, -1, v58, vcc_lo
	v_mov_b32_e32 v9, v2
	v_mov_b32_e32 v3, v2
	;; [unrolled: 1-line block ×7, first 2 shown]
	v_cmp_gt_i64_e32 vcc_lo, s[12:13], v[10:11]
	v_mov_b32_e32 v18, v9
	v_mov_b32_e32 v15, v6
	;; [unrolled: 1-line block ×16, first 2 shown]
	s_and_b32 s29, s0, vcc_lo
	s_and_saveexec_b32 s1, s29
	s_cbranch_execz .LBB65_10
; %bb.9:                                ;   in Loop: Header=BB65_3 Depth=1
	v_add_co_u32 v3, vcc_lo, v22, v19
	v_add_co_ci_u32_e64 v4, null, v23, v20, vcc_lo
	v_add_co_u32 v5, vcc_lo, v24, v19
	v_add_co_ci_u32_e64 v6, null, v25, v20, vcc_lo
	global_load_dword v3, v[3:4], off
	global_load_dword v11, v[5:6], off
	v_mov_b32_e32 v4, v2
	v_mov_b32_e32 v5, v2
	;; [unrolled: 1-line block ×14, first 2 shown]
.LBB65_10:                              ;   in Loop: Header=BB65_3 Depth=1
	s_or_b32 exec_lo, exec_lo, s1
	v_add_co_u32 v61, vcc_lo, 0xffffffc2, v57
	v_add_co_ci_u32_e64 v62, null, -1, v58, vcc_lo
	v_cmp_gt_i64_e32 vcc_lo, s[12:13], v[61:62]
	s_and_b32 s29, s0, vcc_lo
	s_and_saveexec_b32 s1, s29
	s_cbranch_execz .LBB65_12
; %bb.11:                               ;   in Loop: Header=BB65_3 Depth=1
	v_add_co_u32 v61, vcc_lo, v51, v19
	v_add_co_ci_u32_e64 v62, null, v52, v20, vcc_lo
	v_add_co_u32 v63, vcc_lo, v53, v19
	v_add_co_ci_u32_e64 v64, null, v54, v20, vcc_lo
	global_load_dword v4, v[61:62], off
	global_load_dword v12, v[63:64], off
.LBB65_12:                              ;   in Loop: Header=BB65_3 Depth=1
	s_or_b32 exec_lo, exec_lo, s1
	v_add_co_u32 v61, vcc_lo, 0xffffffc3, v57
	v_add_co_ci_u32_e64 v62, null, -1, v58, vcc_lo
	v_cmp_gt_i64_e32 vcc_lo, s[12:13], v[61:62]
	s_and_b32 s29, s0, vcc_lo
	s_and_saveexec_b32 s1, s29
	s_cbranch_execz .LBB65_14
; %bb.13:                               ;   in Loop: Header=BB65_3 Depth=1
	v_add_co_u32 v61, vcc_lo, v46, v19
	v_add_co_ci_u32_e64 v62, null, v47, v20, vcc_lo
	v_add_co_u32 v63, vcc_lo, v48, v19
	v_add_co_ci_u32_e64 v64, null, v50, v20, vcc_lo
	global_load_dword v5, v[61:62], off
	global_load_dword v13, v[63:64], off
.LBB65_14:                              ;   in Loop: Header=BB65_3 Depth=1
	;; [unrolled: 15-line block ×7, first 2 shown]
	s_or_b32 exec_lo, exec_lo, s1
	s_waitcnt vmcnt(1)
	ds_bpermute_b32 v55, v2, v59
	ds_bpermute_b32 v61, v2, v59 offset:4
	ds_bpermute_b32 v62, v2, v59 offset:8
	s_waitcnt vmcnt(0)
	ds_bpermute_b32 v63, v2, v60
	ds_bpermute_b32 v64, v2, v59 offset:12
	ds_bpermute_b32 v65, v2, v60 offset:4
	;; [unrolled: 1-line block ×4, first 2 shown]
	v_add_f32_e32 v68, v49, v3
	ds_bpermute_b32 v69, v2, v60 offset:12
	ds_bpermute_b32 v70, v2, v59 offset:20
	s_mov_b32 s1, 0
	s_waitcnt lgkmcnt(9)
	v_sub_f32_e32 v11, v11, v55
	s_waitcnt lgkmcnt(8)
	v_sub_f32_e32 v12, v12, v61
	ds_bpermute_b32 v61, v2, v59 offset:24
	s_waitcnt lgkmcnt(8)
	v_sub_f32_e32 v13, v13, v62
	ds_bpermute_b32 v62, v2, v60 offset:20
	v_mul_f32_e32 v3, v3, v11
	ds_bpermute_b32 v11, v2, v60 offset:16
	v_mul_f32_e32 v12, v4, v12
	v_mul_f32_e32 v13, v5, v13
	v_add_f32_e32 v4, v4, v68
	s_waitcnt lgkmcnt(9)
	v_fma_f32 v55, v3, v63, v56
	s_waitcnt lgkmcnt(8)
	v_sub_f32_e32 v3, v14, v64
	ds_bpermute_b32 v63, v2, v60 offset:24
	ds_bpermute_b32 v60, v2, v60 offset:28
	v_add_f32_e32 v4, v5, v4
	s_waitcnt lgkmcnt(9)
	v_fmac_f32_e32 v55, v12, v65
	s_waitcnt lgkmcnt(8)
	v_sub_f32_e32 v12, v15, v66
	v_mul_f32_e32 v14, v6, v3
	ds_bpermute_b32 v3, v2, v59 offset:28
	s_waitcnt lgkmcnt(6)
	v_sub_f32_e32 v5, v16, v70
	v_fmac_f32_e32 v55, v13, v67
	v_mul_f32_e32 v12, v7, v12
	v_add_f32_e32 v4, v6, v4
	s_waitcnt lgkmcnt(5)
	v_sub_f32_e32 v6, v17, v61
	v_mul_f32_e32 v5, v8, v5
	v_fmac_f32_e32 v55, v14, v69
	v_add_f32_e32 v4, v7, v4
	v_mul_f32_e32 v6, v9, v6
	s_waitcnt lgkmcnt(3)
	v_fmac_f32_e32 v55, v12, v11
	v_add_f32_e32 v4, v8, v4
	v_fmac_f32_e32 v55, v5, v62
	v_add_f32_e32 v4, v9, v4
	s_waitcnt lgkmcnt(2)
	v_fmac_f32_e32 v55, v6, v63
.LBB65_25:                              ;   in Loop: Header=BB65_3 Depth=1
	s_and_b32 vcc_lo, exec_lo, s1
	s_cbranch_vccz .LBB65_40
; %bb.26:                               ;   in Loop: Header=BB65_3 Depth=1
	s_load_dword s1, s[2:3], 0x0
	v_mov_b32_e32 v59, 0
	v_mov_b32_e32 v55, 0
	s_waitcnt lgkmcnt(0)
	s_cmp_lt_u32 s6, s1
	s_cselect_b32 s1, 12, 18
	s_add_u32 s34, s2, s1
	s_addc_u32 s35, s3, 0
	s_mov_b32 s1, exec_lo
	global_load_ushort v3, v2, s[34:35]
	s_waitcnt vmcnt(0)
	v_mad_u32_u24 v3, v1, v3, v0
	v_and_b32_e32 v3, 31, v3
	v_cmpx_gt_u32_e32 8, v3
	s_cbranch_execz .LBB65_30
; %bb.27:                               ;   in Loop: Header=BB65_3 Depth=1
	v_add_co_u32 v3, vcc_lo, v57, v3
	v_add_co_ci_u32_e64 v4, null, 0, v58, vcc_lo
	v_mov_b32_e32 v55, 0
	v_add_co_u32 v3, vcc_lo, 0xffffffc1, v3
	v_add_co_ci_u32_e64 v4, null, -1, v4, vcc_lo
	v_mov_b32_e32 v59, 0
	s_mov_b32 s29, exec_lo
	v_cmpx_gt_i64_e64 s[12:13], v[3:4]
	s_cbranch_execz .LBB65_29
; %bb.28:                               ;   in Loop: Header=BB65_3 Depth=1
	v_lshlrev_b64 v[3:4], 2, v[3:4]
	v_add_co_u32 v5, vcc_lo, s20, v3
	v_add_co_ci_u32_e64 v6, null, s21, v4, vcc_lo
	v_add_co_u32 v3, vcc_lo, s22, v3
	v_add_co_ci_u32_e64 v4, null, s23, v4, vcc_lo
	global_load_dword v55, v[5:6], off
	global_load_dword v59, v[3:4], off
.LBB65_29:                              ;   in Loop: Header=BB65_3 Depth=1
	s_or_b32 exec_lo, exec_lo, s29
.LBB65_30:                              ;   in Loop: Header=BB65_3 Depth=1
	s_or_b32 exec_lo, exec_lo, s1
	v_mov_b32_e32 v9, v2
	v_mov_b32_e32 v3, v2
	;; [unrolled: 1-line block ×23, first 2 shown]
	s_and_saveexec_b32 s1, s0
	s_cbranch_execnz .LBB65_42
; %bb.31:                               ;   in Loop: Header=BB65_3 Depth=1
	s_or_b32 exec_lo, exec_lo, s1
	s_and_saveexec_b32 s1, s0
	s_cbranch_execnz .LBB65_43
.LBB65_32:                              ;   in Loop: Header=BB65_3 Depth=1
	s_or_b32 exec_lo, exec_lo, s1
	s_and_saveexec_b32 s1, s0
	s_cbranch_execnz .LBB65_44
.LBB65_33:                              ;   in Loop: Header=BB65_3 Depth=1
	s_or_b32 exec_lo, exec_lo, s1
	s_and_saveexec_b32 s1, s0
	s_cbranch_execnz .LBB65_45
.LBB65_34:                              ;   in Loop: Header=BB65_3 Depth=1
	s_or_b32 exec_lo, exec_lo, s1
	s_and_saveexec_b32 s1, s0
	s_cbranch_execnz .LBB65_46
.LBB65_35:                              ;   in Loop: Header=BB65_3 Depth=1
	s_or_b32 exec_lo, exec_lo, s1
	s_and_saveexec_b32 s1, s0
	s_cbranch_execnz .LBB65_47
.LBB65_36:                              ;   in Loop: Header=BB65_3 Depth=1
	s_or_b32 exec_lo, exec_lo, s1
	s_and_saveexec_b32 s1, s0
	s_cbranch_execnz .LBB65_48
.LBB65_37:                              ;   in Loop: Header=BB65_3 Depth=1
	s_or_b32 exec_lo, exec_lo, s1
	s_and_saveexec_b32 s1, s0
	s_cbranch_execz .LBB65_39
.LBB65_38:                              ;   in Loop: Header=BB65_3 Depth=1
	v_add_co_u32 v57, vcc_lo, v26, v19
	v_add_co_ci_u32_e64 v58, null, v27, v20, vcc_lo
	v_add_co_u32 v60, vcc_lo, v28, v19
	v_add_co_ci_u32_e64 v61, null, v29, v20, vcc_lo
	global_load_dword v10, v[57:58], off
	global_load_dword v18, v[60:61], off
.LBB65_39:                              ;   in Loop: Header=BB65_3 Depth=1
	s_or_b32 exec_lo, exec_lo, s1
	s_waitcnt vmcnt(1)
	ds_bpermute_b32 v57, v2, v55
	ds_bpermute_b32 v58, v2, v55 offset:4
	ds_bpermute_b32 v60, v2, v55 offset:8
	s_waitcnt vmcnt(0)
	ds_bpermute_b32 v61, v2, v59
	ds_bpermute_b32 v62, v2, v55 offset:12
	ds_bpermute_b32 v63, v2, v59 offset:4
	;; [unrolled: 1-line block ×5, first 2 shown]
	s_waitcnt lgkmcnt(8)
	v_sub_f32_e32 v11, v11, v57
	ds_bpermute_b32 v57, v2, v59 offset:12
	s_waitcnt lgkmcnt(8)
	v_sub_f32_e32 v12, v12, v58
	s_waitcnt lgkmcnt(7)
	v_sub_f32_e32 v13, v13, v60
	ds_bpermute_b32 v58, v2, v59 offset:20
	v_mul_f32_e32 v11, v3, v11
	v_add_f32_e32 v3, v49, v3
	ds_bpermute_b32 v49, v2, v59 offset:16
	v_mul_f32_e32 v12, v4, v12
	s_waitcnt lgkmcnt(7)
	v_sub_f32_e32 v14, v14, v62
	v_fmac_f32_e32 v56, v11, v61
	ds_bpermute_b32 v11, v2, v55 offset:24
	v_mul_f32_e32 v13, v5, v13
	v_add_f32_e32 v3, v4, v3
	s_waitcnt lgkmcnt(6)
	v_sub_f32_e32 v4, v15, v64
	v_fmac_f32_e32 v56, v12, v63
	v_mul_f32_e32 v12, v6, v14
	s_waitcnt lgkmcnt(4)
	v_sub_f32_e32 v14, v16, v66
	v_add_f32_e32 v5, v5, v3
	v_mul_f32_e32 v4, v7, v4
	v_fmac_f32_e32 v56, v13, v65
	ds_bpermute_b32 v13, v2, v59 offset:24
	ds_bpermute_b32 v60, v2, v59 offset:28
	;; [unrolled: 1-line block ×3, first 2 shown]
	v_add_f32_e32 v5, v6, v5
	s_waitcnt lgkmcnt(6)
	v_fmac_f32_e32 v56, v12, v57
	v_mul_f32_e32 v6, v8, v14
	v_add_f32_e32 v5, v7, v5
	s_waitcnt lgkmcnt(4)
	v_fmac_f32_e32 v56, v4, v49
	s_waitcnt lgkmcnt(3)
	v_sub_f32_e32 v4, v17, v11
	v_add_f32_e32 v5, v8, v5
	v_fmac_f32_e32 v56, v6, v58
	v_mul_f32_e32 v4, v9, v4
	s_waitcnt lgkmcnt(2)
	v_fmac_f32_e32 v56, v4, v13
	v_add_f32_e32 v4, v9, v5
	v_mov_b32_e32 v55, v56
.LBB65_40:                              ;   in Loop: Header=BB65_3 Depth=1
	v_add_co_u32 v22, vcc_lo, v22, s8
	v_add_co_ci_u32_e64 v23, null, s9, v23, vcc_lo
	v_add_co_u32 v24, vcc_lo, v24, s8
	v_add_co_ci_u32_e64 v25, null, s9, v25, vcc_lo
	;; [unrolled: 2-line block ×10, first 2 shown]
	v_add_co_u32 v42, vcc_lo, v42, s8
	s_waitcnt lgkmcnt(0)
	v_sub_f32_e32 v3, v18, v3
	v_add_co_ci_u32_e64 v43, null, s9, v43, vcc_lo
	v_add_co_u32 v44, vcc_lo, v44, s8
	v_add_co_ci_u32_e64 v45, null, s9, v45, vcc_lo
	v_add_co_u32 v46, vcc_lo, v46, s8
	s_add_u32 s26, s26, s28
	v_add_co_ci_u32_e64 v47, null, s9, v47, vcc_lo
	v_add_co_u32 v48, vcc_lo, v48, s8
	v_mul_f32_e32 v3, v10, v3
	s_addc_u32 s27, s27, 0
	v_add_co_ci_u32_e64 v50, null, s9, v50, vcc_lo
	v_add_co_u32 v51, vcc_lo, v51, s8
	v_cmp_lt_i64_e64 s1, s[26:27], s[12:13]
	v_add_co_ci_u32_e64 v52, null, s9, v52, vcc_lo
	v_add_co_u32 v53, vcc_lo, v53, s8
	v_add_f32_e32 v49, v4, v10
	v_fmac_f32_e32 v55, v3, v60
	v_add_co_ci_u32_e64 v54, null, s9, v54, vcc_lo
	s_add_u32 s24, s24, s28
	s_addc_u32 s25, s25, 0
	s_and_b32 vcc_lo, exec_lo, s1
	s_cbranch_vccz .LBB65_50
; %bb.41:                               ;   in Loop: Header=BB65_3 Depth=1
	v_mov_b32_e32 v56, v55
	s_branch .LBB65_3
.LBB65_42:                              ;   in Loop: Header=BB65_3 Depth=1
	v_add_co_u32 v3, vcc_lo, v22, v19
	v_add_co_ci_u32_e64 v4, null, v23, v20, vcc_lo
	v_add_co_u32 v5, vcc_lo, v24, v19
	v_add_co_ci_u32_e64 v6, null, v25, v20, vcc_lo
	global_load_dword v3, v[3:4], off
	global_load_dword v11, v[5:6], off
	v_mov_b32_e32 v4, v2
	v_mov_b32_e32 v5, v2
	;; [unrolled: 1-line block ×14, first 2 shown]
	s_or_b32 exec_lo, exec_lo, s1
	s_and_saveexec_b32 s1, s0
	s_cbranch_execz .LBB65_32
.LBB65_43:                              ;   in Loop: Header=BB65_3 Depth=1
	v_add_co_u32 v57, vcc_lo, v51, v19
	v_add_co_ci_u32_e64 v58, null, v52, v20, vcc_lo
	v_add_co_u32 v60, vcc_lo, v53, v19
	v_add_co_ci_u32_e64 v61, null, v54, v20, vcc_lo
	global_load_dword v4, v[57:58], off
	global_load_dword v12, v[60:61], off
	s_or_b32 exec_lo, exec_lo, s1
	s_and_saveexec_b32 s1, s0
	s_cbranch_execz .LBB65_33
.LBB65_44:                              ;   in Loop: Header=BB65_3 Depth=1
	v_add_co_u32 v57, vcc_lo, v46, v19
	v_add_co_ci_u32_e64 v58, null, v47, v20, vcc_lo
	v_add_co_u32 v60, vcc_lo, v48, v19
	v_add_co_ci_u32_e64 v61, null, v50, v20, vcc_lo
	global_load_dword v5, v[57:58], off
	global_load_dword v13, v[60:61], off
	s_or_b32 exec_lo, exec_lo, s1
	s_and_saveexec_b32 s1, s0
	s_cbranch_execz .LBB65_34
.LBB65_45:                              ;   in Loop: Header=BB65_3 Depth=1
	v_add_co_u32 v57, vcc_lo, v42, v19
	v_add_co_ci_u32_e64 v58, null, v43, v20, vcc_lo
	v_add_co_u32 v60, vcc_lo, v44, v19
	v_add_co_ci_u32_e64 v61, null, v45, v20, vcc_lo
	global_load_dword v6, v[57:58], off
	global_load_dword v14, v[60:61], off
	s_or_b32 exec_lo, exec_lo, s1
	s_and_saveexec_b32 s1, s0
	s_cbranch_execz .LBB65_35
.LBB65_46:                              ;   in Loop: Header=BB65_3 Depth=1
	v_add_co_u32 v57, vcc_lo, v38, v19
	v_add_co_ci_u32_e64 v58, null, v39, v20, vcc_lo
	v_add_co_u32 v60, vcc_lo, v40, v19
	v_add_co_ci_u32_e64 v61, null, v41, v20, vcc_lo
	global_load_dword v7, v[57:58], off
	global_load_dword v15, v[60:61], off
	s_or_b32 exec_lo, exec_lo, s1
	s_and_saveexec_b32 s1, s0
	s_cbranch_execz .LBB65_36
.LBB65_47:                              ;   in Loop: Header=BB65_3 Depth=1
	v_add_co_u32 v57, vcc_lo, v34, v19
	v_add_co_ci_u32_e64 v58, null, v35, v20, vcc_lo
	v_add_co_u32 v60, vcc_lo, v36, v19
	v_add_co_ci_u32_e64 v61, null, v37, v20, vcc_lo
	global_load_dword v8, v[57:58], off
	global_load_dword v16, v[60:61], off
	s_or_b32 exec_lo, exec_lo, s1
	s_and_saveexec_b32 s1, s0
	s_cbranch_execz .LBB65_37
.LBB65_48:                              ;   in Loop: Header=BB65_3 Depth=1
	v_add_co_u32 v57, vcc_lo, v30, v19
	v_add_co_ci_u32_e64 v58, null, v31, v20, vcc_lo
	v_add_co_u32 v60, vcc_lo, v32, v19
	v_add_co_ci_u32_e64 v61, null, v33, v20, vcc_lo
	global_load_dword v9, v[57:58], off
	global_load_dword v17, v[60:61], off
	s_or_b32 exec_lo, exec_lo, s1
	s_and_saveexec_b32 s1, s0
	s_cbranch_execnz .LBB65_38
	s_branch .LBB65_39
.LBB65_49:
                                        ; implicit-def: $vgpr49
                                        ; implicit-def: $vgpr55
	s_branch .LBB65_51
.LBB65_50:
	s_cbranch_execnz .LBB65_82
.LBB65_51:
	v_mov_b32_e32 v49, 0
	v_mov_b32_e32 v55, 0
	s_andn2_b32 vcc_lo, exec_lo, s7
	s_cbranch_vccnz .LBB65_82
; %bb.52:
	s_load_dword s0, s[4:5], 0x44
	v_lshlrev_b32_e32 v50, 3, v1
	s_add_u32 s24, s4, 64
	s_addc_u32 s25, s5, 0
	v_lshlrev_b32_e32 v6, 5, v1
	v_add_co_u32 v10, s1, v50, s10
	v_add_co_ci_u32_e64 v11, null, 0, 0, s1
	v_mul_lo_u32 v4, s15, v10
	v_mad_u64_u32 v[2:3], null, s14, v10, 0
	v_mul_lo_u32 v5, s14, v11
	s_waitcnt lgkmcnt(0)
	s_lshl_b32 s31, s0, 6
	v_add3_u32 v3, v3, v5, v4
	s_mul_i32 s1, s15, s31
	s_mul_hi_u32 s2, s14, s31
	s_mul_i32 s0, s14, s31
	s_add_i32 s1, s2, s1
	v_lshlrev_b64 v[4:5], 2, v[2:3]
	s_lshl_b64 s[26:27], s[0:1], 2
	s_add_u32 s28, s10, 63
	s_addc_u32 s29, 0, 0
	s_lshl_b64 s[0:1], s[10:11], 2
	v_add_co_u32 v6, s0, v6, s0
	v_add_co_ci_u32_e64 v7, null, 0, s1, s0
	v_add_co_u32 v8, vcc_lo, v6, 4
	v_add_co_ci_u32_e64 v9, null, 0, v7, vcc_lo
	v_add_co_u32 v51, vcc_lo, s16, v4
	v_add_co_ci_u32_e64 v52, null, s17, v5, vcc_lo
	;; [unrolled: 2-line block ×6, first 2 shown]
	v_add_co_u32 v41, vcc_lo, v6, 20
	v_mad_u64_u32 v[21:22], null, s14, v4, s[16:17]
	v_mul_lo_u32 v5, s14, v5
	v_mul_lo_u32 v15, s15, v4
	v_mad_u64_u32 v[35:36], null, s14, v4, s[18:19]
	v_add_co_ci_u32_e64 v29, null, 0, v7, vcc_lo
	v_add_co_u32 v43, vcc_lo, v6, 24
	v_add_co_ci_u32_e64 v31, null, 0, v7, vcc_lo
	v_add_co_u32 v6, vcc_lo, v6, 28
	v_mad_u64_u32 v[19:20], null, s14, v8, s[16:17]
	v_mul_lo_u32 v9, s14, v9
	v_mul_lo_u32 v12, s15, v8
	v_mad_u64_u32 v[33:34], null, s14, v8, s[18:19]
	v_add_co_ci_u32_e64 v7, null, 0, v7, vcc_lo
	v_add_co_u32 v4, vcc_lo, v10, 7
	v_add3_u32 v22, v15, v22, v5
	v_add3_u32 v36, v15, v36, v5
	v_add_co_ci_u32_e64 v5, null, 0, v11, vcc_lo
	v_mul_lo_u32 v57, s14, v7
	v_add_co_u32 v7, vcc_lo, v10, 6
	v_add3_u32 v20, v12, v20, v9
	v_add3_u32 v34, v12, v34, v9
	v_add_co_ci_u32_e64 v12, null, 0, v11, vcc_lo
	v_mul_lo_u32 v8, s15, v4
	v_mul_lo_u32 v9, s14, v5
	v_mad_u64_u32 v[4:5], null, s14, v4, 0
	v_mad_u64_u32 v[23:24], null, s14, v13, s[16:17]
	v_mul_lo_u32 v17, s15, v13
	v_mul_lo_u32 v55, s14, v31
	v_mad_u64_u32 v[31:32], null, s14, v6, s[16:17]
	v_mul_lo_u32 v58, s15, v6
	v_mad_u64_u32 v[37:38], null, s14, v13, s[18:19]
	v_mad_u64_u32 v[45:46], null, s14, v6, s[18:19]
	v_mul_lo_u32 v13, s15, v7
	v_mul_lo_u32 v12, s14, v12
	v_mad_u64_u32 v[6:7], null, s14, v7, 0
	v_add3_u32 v5, v5, v9, v8
	v_add_co_u32 v8, vcc_lo, v10, 5
	v_mul_lo_u32 v48, s14, v29
	v_mad_u64_u32 v[29:30], null, s14, v43, s[16:17]
	v_mul_lo_u32 v56, s15, v43
	v_mad_u64_u32 v[43:44], null, s14, v43, s[18:19]
	v_add3_u32 v7, v7, v12, v13
	v_add_co_ci_u32_e64 v9, null, 0, v11, vcc_lo
	v_lshlrev_b64 v[4:5], 2, v[4:5]
	v_mul_lo_u32 v12, s15, v8
	v_lshlrev_b64 v[6:7], 2, v[6:7]
	v_mul_lo_u32 v13, s14, v9
	v_mad_u64_u32 v[8:9], null, s14, v8, 0
	v_add3_u32 v30, v56, v30, v55
	v_add3_u32 v44, v56, v44, v55
	v_add_co_u32 v56, vcc_lo, s16, v4
	v_add3_u32 v32, v58, v32, v57
	v_add3_u32 v46, v58, v46, v57
	v_add_co_ci_u32_e64 v57, null, s17, v5, vcc_lo
	v_add_co_u32 v58, vcc_lo, s18, v4
	v_add_co_ci_u32_e64 v59, null, s19, v5, vcc_lo
	v_add_co_u32 v60, vcc_lo, s16, v6
	v_add_co_ci_u32_e64 v61, null, s17, v7, vcc_lo
	v_add3_u32 v9, v9, v13, v12
	v_add_co_u32 v12, vcc_lo, v10, 4
	v_add_co_ci_u32_e64 v13, null, 0, v11, vcc_lo
	v_add_co_u32 v62, vcc_lo, s18, v6
	v_add_co_ci_u32_e64 v63, null, s19, v7, vcc_lo
	v_lshlrev_b64 v[4:5], 2, v[8:9]
	v_mul_lo_u32 v8, s15, v12
	v_mul_lo_u32 v9, s14, v13
	v_mad_u64_u32 v[6:7], null, s14, v12, 0
	v_mul_lo_u32 v14, s14, v14
	v_add_co_u32 v12, vcc_lo, v10, 3
	v_add_co_ci_u32_e64 v13, null, 0, v11, vcc_lo
	v_add_co_u32 v64, vcc_lo, s16, v4
	v_add_co_ci_u32_e64 v65, null, s17, v5, vcc_lo
	v_add3_u32 v7, v7, v9, v8
	v_add_co_u32 v10, vcc_lo, v10, 2
	v_add3_u32 v24, v17, v24, v14
	v_add3_u32 v38, v17, v38, v14
	v_mul_lo_u32 v14, s15, v12
	v_mul_lo_u32 v13, s14, v13
	v_mad_u64_u32 v[8:9], null, s14, v12, 0
	v_add_co_ci_u32_e64 v11, null, 0, v11, vcc_lo
	v_add_co_u32 v66, vcc_lo, s18, v4
	v_add_co_ci_u32_e64 v67, null, s19, v5, vcc_lo
	v_lshlrev_b64 v[4:5], 2, v[6:7]
	v_mul_lo_u32 v12, s15, v10
	v_mul_lo_u32 v11, s14, v11
	v_mad_u64_u32 v[6:7], null, s14, v10, 0
	v_add3_u32 v9, v9, v13, v14
	v_add_co_u32 v68, vcc_lo, s16, v4
	v_add_co_ci_u32_e64 v69, null, s17, v5, vcc_lo
	v_add_co_u32 v70, vcc_lo, s18, v4
	v_add_co_ci_u32_e64 v71, null, s19, v5, vcc_lo
	v_lshlrev_b64 v[4:5], 2, v[8:9]
	v_add3_u32 v7, v7, v11, v12
	v_add_co_u32 v2, vcc_lo, v2, s14
	v_add_co_ci_u32_e64 v3, null, s15, v3, vcc_lo
	v_lshlrev_b64 v[6:7], 2, v[6:7]
	v_add_co_u32 v72, vcc_lo, s16, v4
	v_add_co_ci_u32_e64 v73, null, s17, v5, vcc_lo
	v_add_co_u32 v74, vcc_lo, s18, v4
	v_lshlrev_b64 v[3:4], 2, v[2:3]
	v_mov_b32_e32 v2, 0
	v_mad_u64_u32 v[25:26], null, s14, v16, s[16:17]
	v_mul_lo_u32 v18, s14, v18
	v_mul_lo_u32 v47, s15, v16
	v_mad_u64_u32 v[27:28], null, s14, v41, s[16:17]
	v_mul_lo_u32 v49, s15, v41
	v_mad_u64_u32 v[39:40], null, s14, v16, s[18:19]
	v_mad_u64_u32 v[41:42], null, s14, v41, s[18:19]
	v_add_co_ci_u32_e64 v75, null, s19, v5, vcc_lo
	v_add_co_u32 v76, vcc_lo, s16, v6
	v_add_co_ci_u32_e64 v77, null, s17, v7, vcc_lo
	v_add_co_u32 v78, vcc_lo, s18, v6
	v_add_nc_u32_e32 v5, s30, v0
	v_mov_b32_e32 v6, v2
	v_add_co_ci_u32_e64 v79, null, s19, v7, vcc_lo
	v_add_co_u32 v80, vcc_lo, s16, v3
	v_add_co_ci_u32_e64 v81, null, s17, v4, vcc_lo
	v_add_co_u32 v82, vcc_lo, s18, v3
	v_add3_u32 v26, v47, v26, v18
	v_add3_u32 v28, v49, v28, v48
	;; [unrolled: 1-line block ×4, first 2 shown]
	v_lshlrev_b64 v[47:48], 2, v[5:6]
	v_add_co_ci_u32_e64 v83, null, s19, v4, vcc_lo
	v_mov_b32_e32 v55, 0
	v_mov_b32_e32 v49, 0
	s_branch .LBB65_56
.LBB65_53:                              ;   in Loop: Header=BB65_56 Depth=1
	s_or_b32 exec_lo, exec_lo, s1
.LBB65_54:                              ;   in Loop: Header=BB65_56 Depth=1
	s_or_b32 exec_lo, exec_lo, s0
	v_add_co_u32 v3, vcc_lo, v53, v47
	v_add_co_ci_u32_e64 v4, null, v54, v48, vcc_lo
	v_add_co_u32 v7, vcc_lo, v51, v47
	v_add_co_ci_u32_e64 v8, null, v52, v48, vcc_lo
	global_load_dword v84, v[3:4], off
	global_load_dword v85, v[7:8], off
	v_add_co_u32 v3, vcc_lo, v33, v47
	v_add_co_ci_u32_e64 v4, null, v34, v48, vcc_lo
	v_add_co_u32 v10, s2, v39, v47
	v_add_co_ci_u32_e64 v11, null, v40, v48, s2
	global_load_dword v86, v[3:4], off
	v_add_co_u32 v3, vcc_lo, v19, v47
	v_add_co_ci_u32_e64 v4, null, v20, v48, vcc_lo
	v_add_co_u32 v13, s7, v41, v47
	s_waitcnt vmcnt(4)
	ds_bpermute_b32 v90, v2, v6
	global_load_dword v87, v[3:4], off
	v_add_co_u32 v3, vcc_lo, v35, v47
	v_add_co_ci_u32_e64 v4, null, v36, v48, vcc_lo
	v_add_co_u32 v7, vcc_lo, v21, v47
	v_add_co_ci_u32_e64 v8, null, v22, v48, vcc_lo
	global_load_dword v88, v[3:4], off
	global_load_dword v89, v[7:8], off
	v_add_co_u32 v7, s0, v37, v47
	v_add_co_ci_u32_e64 v8, null, v38, v48, s0
	v_add_co_ci_u32_e64 v14, null, v42, v48, s7
	global_load_dword v11, v[10:11], off
	v_add_co_u32 v3, vcc_lo, v23, v47
	v_add_co_u32 v9, s1, v25, v47
	global_load_dword v91, v[7:8], off
	global_load_dword v14, v[13:14], off
	v_add_co_ci_u32_e64 v4, null, v24, v48, vcc_lo
	v_add_co_ci_u32_e64 v10, null, v26, v48, s1
	s_waitcnt vmcnt(9)
	ds_bpermute_b32 v92, v2, v5
	global_load_dword v93, v[3:4], off
	global_load_dword v9, v[9:10], off
	v_add_co_u32 v12, s3, v27, v47
	v_add_co_u32 v15, s8, v43, v47
	;; [unrolled: 1-line block ×3, first 2 shown]
	v_add_co_ci_u32_e64 v13, null, v28, v48, s3
	v_add_co_ci_u32_e64 v16, null, v44, v48, s8
	;; [unrolled: 1-line block ×3, first 2 shown]
	v_add_co_u32 v7, vcc_lo, v29, v47
	global_load_dword v12, v[12:13], off
	v_add_co_ci_u32_e64 v8, null, v30, v48, vcc_lo
	global_load_dword v13, v[15:16], off
	global_load_dword v15, v[17:18], off
	v_add_co_u32 v3, s0, v31, v47
	global_load_dword v7, v[7:8], off
	ds_bpermute_b32 v8, v2, v6 offset:12
	ds_bpermute_b32 v17, v2, v5 offset:12
	;; [unrolled: 1-line block ×3, first 2 shown]
	s_waitcnt vmcnt(14) lgkmcnt(4)
	v_sub_f32_e32 v4, v84, v90
	s_waitcnt vmcnt(13)
	v_add_f32_e32 v16, v49, v85
	ds_bpermute_b32 v49, v2, v5 offset:24
	v_mul_f32_e32 v10, v85, v4
	v_add_co_ci_u32_e64 v4, null, v32, v48, s0
	s_waitcnt lgkmcnt(4)
	v_fmac_f32_e32 v55, v10, v92
	global_load_dword v10, v[3:4], off
	ds_bpermute_b32 v3, v2, v6 offset:4
	ds_bpermute_b32 v4, v2, v5 offset:4
	s_waitcnt vmcnt(12)
	v_add_f32_e32 v16, v16, v87
	s_waitcnt vmcnt(10)
	v_add_f32_e32 v16, v16, v89
	s_waitcnt lgkmcnt(1)
	v_sub_f32_e32 v3, v86, v3
	v_mul_f32_e32 v3, v87, v3
	s_waitcnt vmcnt(8)
	v_sub_f32_e32 v8, v91, v8
	s_waitcnt lgkmcnt(0)
	v_fmac_f32_e32 v55, v3, v4
	ds_bpermute_b32 v3, v2, v6 offset:8
	ds_bpermute_b32 v4, v2, v5 offset:8
	s_waitcnt vmcnt(6)
	v_mul_f32_e32 v8, v93, v8
	s_waitcnt lgkmcnt(1)
	v_sub_f32_e32 v3, v88, v3
	v_mul_f32_e32 v3, v89, v3
	s_waitcnt lgkmcnt(0)
	v_fmac_f32_e32 v55, v3, v4
	ds_bpermute_b32 v3, v2, v6 offset:16
	ds_bpermute_b32 v4, v2, v6 offset:20
	v_fmac_f32_e32 v55, v8, v17
	v_add_f32_e32 v8, v16, v93
	s_waitcnt vmcnt(5)
	v_add_f32_e32 v8, v8, v9
	s_waitcnt lgkmcnt(1)
	v_sub_f32_e32 v3, v11, v3
	ds_bpermute_b32 v11, v2, v6 offset:24
	ds_bpermute_b32 v6, v2, v6 offset:28
	s_waitcnt lgkmcnt(2)
	v_sub_f32_e32 v4, v14, v4
	ds_bpermute_b32 v14, v2, v5 offset:20
	ds_bpermute_b32 v5, v2, v5 offset:28
	v_mul_f32_e32 v3, v9, v3
	s_waitcnt vmcnt(4)
	v_mul_f32_e32 v4, v12, v4
	v_fmac_f32_e32 v55, v3, v18
	s_waitcnt vmcnt(3) lgkmcnt(3)
	v_sub_f32_e32 v3, v13, v11
	s_waitcnt vmcnt(2) lgkmcnt(2)
	v_sub_f32_e32 v6, v15, v6
	s_waitcnt lgkmcnt(1)
	v_fmac_f32_e32 v55, v4, v14
	v_add_f32_e32 v4, v8, v12
	s_waitcnt vmcnt(1)
	v_mul_f32_e32 v3, v7, v3
	v_fmac_f32_e32 v55, v3, v49
	v_add_f32_e32 v3, v4, v7
	v_mov_b32_e32 v11, v55
	s_waitcnt vmcnt(0)
	v_mul_f32_e32 v6, v10, v6
	s_waitcnt lgkmcnt(0)
	v_mul_f32_e32 v4, v6, v5
.LBB65_55:                              ;   in Loop: Header=BB65_56 Depth=1
	v_add_co_u32 v51, vcc_lo, v51, s26
	v_add_co_ci_u32_e64 v52, null, s27, v52, vcc_lo
	v_add_co_u32 v53, vcc_lo, v53, s26
	v_add_co_ci_u32_e64 v54, null, s27, v54, vcc_lo
	;; [unrolled: 2-line block ×26, first 2 shown]
	v_add_co_u32 v76, vcc_lo, v76, s26
	s_add_u32 s10, s10, s31
	v_add_co_ci_u32_e64 v77, null, s27, v77, vcc_lo
	v_add_co_u32 v78, vcc_lo, v78, s26
	s_addc_u32 s11, s11, 0
	v_add_co_ci_u32_e64 v79, null, s27, v79, vcc_lo
	v_add_co_u32 v80, vcc_lo, v80, s26
	v_cmp_ge_i64_e64 s0, s[10:11], s[12:13]
	v_add_co_ci_u32_e64 v81, null, s27, v81, vcc_lo
	v_add_co_u32 v82, vcc_lo, v82, s26
	v_add_f32_e32 v55, v11, v4
	v_add_f32_e32 v49, v3, v10
	v_add_co_ci_u32_e64 v83, null, s27, v83, vcc_lo
	s_add_u32 s28, s28, s31
	s_addc_u32 s29, s29, 0
	s_and_b32 vcc_lo, exec_lo, s0
	s_cbranch_vccnz .LBB65_82
.LBB65_56:                              ; =>This Inner Loop Header: Depth=1
	v_cmp_ge_i64_e64 s0, s[28:29], s[12:13]
	v_add_co_u32 v84, s1, v50, s28
	v_add_co_ci_u32_e64 v85, null, 0, s29, s1
                                        ; implicit-def: $vgpr10
                                        ; implicit-def: $vgpr4
                                        ; implicit-def: $vgpr3
                                        ; implicit-def: $vgpr11
	s_and_b32 vcc_lo, exec_lo, s0
	s_mov_b32 s0, -1
	s_cbranch_vccz .LBB65_78
; %bb.57:                               ;   in Loop: Header=BB65_56 Depth=1
	s_load_dword s0, s[24:25], 0xc
	v_mov_b32_e32 v87, 0
	v_mov_b32_e32 v86, 0
	s_waitcnt lgkmcnt(0)
	s_and_b32 s0, s0, 0xffff
	v_mad_u32_u24 v3, v1, s0, v0
	s_mov_b32 s0, exec_lo
	v_and_b32_e32 v3, 31, v3
	v_cmpx_gt_u32_e32 8, v3
	s_cbranch_execz .LBB65_61
; %bb.58:                               ;   in Loop: Header=BB65_56 Depth=1
	v_add_co_u32 v3, vcc_lo, v84, v3
	v_add_co_ci_u32_e64 v4, null, 0, v85, vcc_lo
	v_mov_b32_e32 v86, 0
	v_add_co_u32 v3, vcc_lo, 0xffffffc1, v3
	v_add_co_ci_u32_e64 v4, null, -1, v4, vcc_lo
	v_mov_b32_e32 v87, 0
	s_mov_b32 s1, exec_lo
	v_cmpx_gt_i64_e64 s[12:13], v[3:4]
	s_cbranch_execz .LBB65_60
; %bb.59:                               ;   in Loop: Header=BB65_56 Depth=1
	v_lshlrev_b64 v[3:4], 2, v[3:4]
	v_add_co_u32 v5, vcc_lo, s20, v3
	v_add_co_ci_u32_e64 v6, null, s21, v4, vcc_lo
	v_add_co_u32 v3, vcc_lo, s22, v3
	v_add_co_ci_u32_e64 v4, null, s23, v4, vcc_lo
	global_load_dword v86, v[5:6], off
	global_load_dword v87, v[3:4], off
.LBB65_60:                              ;   in Loop: Header=BB65_56 Depth=1
	s_or_b32 exec_lo, exec_lo, s1
.LBB65_61:                              ;   in Loop: Header=BB65_56 Depth=1
	s_or_b32 exec_lo, exec_lo, s0
	v_add_co_u32 v10, vcc_lo, 0xffffffc1, v84
	v_add_co_ci_u32_e64 v11, null, -1, v85, vcc_lo
	v_mov_b32_e32 v9, v2
	v_mov_b32_e32 v3, v2
	;; [unrolled: 1-line block ×7, first 2 shown]
	v_cmp_gt_i64_e32 vcc_lo, s[12:13], v[10:11]
	v_mov_b32_e32 v18, v9
	v_mov_b32_e32 v15, v6
	;; [unrolled: 1-line block ×16, first 2 shown]
	s_and_saveexec_b32 s0, vcc_lo
	s_cbranch_execz .LBB65_63
; %bb.62:                               ;   in Loop: Header=BB65_56 Depth=1
	v_add_co_u32 v3, vcc_lo, v51, v47
	v_add_co_ci_u32_e64 v4, null, v52, v48, vcc_lo
	v_add_co_u32 v5, vcc_lo, v53, v47
	v_add_co_ci_u32_e64 v6, null, v54, v48, vcc_lo
	global_load_dword v3, v[3:4], off
	global_load_dword v11, v[5:6], off
	v_mov_b32_e32 v4, v2
	v_mov_b32_e32 v5, v2
	;; [unrolled: 1-line block ×14, first 2 shown]
.LBB65_63:                              ;   in Loop: Header=BB65_56 Depth=1
	s_or_b32 exec_lo, exec_lo, s0
	v_add_co_u32 v88, vcc_lo, 0xffffffc2, v84
	v_add_co_ci_u32_e64 v89, null, -1, v85, vcc_lo
	s_mov_b32 s0, exec_lo
	v_cmpx_gt_i64_e64 s[12:13], v[88:89]
	s_cbranch_execz .LBB65_65
; %bb.64:                               ;   in Loop: Header=BB65_56 Depth=1
	v_add_co_u32 v88, vcc_lo, v80, v47
	v_add_co_ci_u32_e64 v89, null, v81, v48, vcc_lo
	v_add_co_u32 v90, vcc_lo, v82, v47
	v_add_co_ci_u32_e64 v91, null, v83, v48, vcc_lo
	global_load_dword v4, v[88:89], off
	global_load_dword v12, v[90:91], off
.LBB65_65:                              ;   in Loop: Header=BB65_56 Depth=1
	s_or_b32 exec_lo, exec_lo, s0
	v_add_co_u32 v88, vcc_lo, 0xffffffc3, v84
	v_add_co_ci_u32_e64 v89, null, -1, v85, vcc_lo
	s_mov_b32 s0, exec_lo
	v_cmpx_gt_i64_e64 s[12:13], v[88:89]
	s_cbranch_execz .LBB65_67
; %bb.66:                               ;   in Loop: Header=BB65_56 Depth=1
	v_add_co_u32 v88, vcc_lo, v76, v47
	v_add_co_ci_u32_e64 v89, null, v77, v48, vcc_lo
	v_add_co_u32 v90, vcc_lo, v78, v47
	v_add_co_ci_u32_e64 v91, null, v79, v48, vcc_lo
	global_load_dword v5, v[88:89], off
	global_load_dword v13, v[90:91], off
.LBB65_67:                              ;   in Loop: Header=BB65_56 Depth=1
	s_or_b32 exec_lo, exec_lo, s0
	v_add_co_u32 v88, vcc_lo, 0xffffffc4, v84
	v_add_co_ci_u32_e64 v89, null, -1, v85, vcc_lo
	s_mov_b32 s0, exec_lo
	v_cmpx_gt_i64_e64 s[12:13], v[88:89]
	s_cbranch_execz .LBB65_69
; %bb.68:                               ;   in Loop: Header=BB65_56 Depth=1
	v_add_co_u32 v88, vcc_lo, v72, v47
	v_add_co_ci_u32_e64 v89, null, v73, v48, vcc_lo
	v_add_co_u32 v90, vcc_lo, v74, v47
	v_add_co_ci_u32_e64 v91, null, v75, v48, vcc_lo
	global_load_dword v6, v[88:89], off
	global_load_dword v14, v[90:91], off
.LBB65_69:                              ;   in Loop: Header=BB65_56 Depth=1
	s_or_b32 exec_lo, exec_lo, s0
	v_add_co_u32 v88, vcc_lo, 0xffffffc5, v84
	v_add_co_ci_u32_e64 v89, null, -1, v85, vcc_lo
	s_mov_b32 s0, exec_lo
	v_cmpx_gt_i64_e64 s[12:13], v[88:89]
	s_cbranch_execz .LBB65_71
; %bb.70:                               ;   in Loop: Header=BB65_56 Depth=1
	v_add_co_u32 v88, vcc_lo, v68, v47
	v_add_co_ci_u32_e64 v89, null, v69, v48, vcc_lo
	v_add_co_u32 v90, vcc_lo, v70, v47
	v_add_co_ci_u32_e64 v91, null, v71, v48, vcc_lo
	global_load_dword v7, v[88:89], off
	global_load_dword v15, v[90:91], off
.LBB65_71:                              ;   in Loop: Header=BB65_56 Depth=1
	s_or_b32 exec_lo, exec_lo, s0
	v_add_co_u32 v88, vcc_lo, 0xffffffc6, v84
	v_add_co_ci_u32_e64 v89, null, -1, v85, vcc_lo
	s_mov_b32 s0, exec_lo
	v_cmpx_gt_i64_e64 s[12:13], v[88:89]
	s_cbranch_execz .LBB65_73
; %bb.72:                               ;   in Loop: Header=BB65_56 Depth=1
	v_add_co_u32 v88, vcc_lo, v64, v47
	v_add_co_ci_u32_e64 v89, null, v65, v48, vcc_lo
	v_add_co_u32 v90, vcc_lo, v66, v47
	v_add_co_ci_u32_e64 v91, null, v67, v48, vcc_lo
	global_load_dword v8, v[88:89], off
	global_load_dword v16, v[90:91], off
.LBB65_73:                              ;   in Loop: Header=BB65_56 Depth=1
	s_or_b32 exec_lo, exec_lo, s0
	v_add_co_u32 v88, vcc_lo, 0xffffffc7, v84
	v_add_co_ci_u32_e64 v89, null, -1, v85, vcc_lo
	s_mov_b32 s0, exec_lo
	v_cmpx_gt_i64_e64 s[12:13], v[88:89]
	s_cbranch_execz .LBB65_75
; %bb.74:                               ;   in Loop: Header=BB65_56 Depth=1
	v_add_co_u32 v88, vcc_lo, v60, v47
	v_add_co_ci_u32_e64 v89, null, v61, v48, vcc_lo
	v_add_co_u32 v90, vcc_lo, v62, v47
	v_add_co_ci_u32_e64 v91, null, v63, v48, vcc_lo
	global_load_dword v9, v[88:89], off
	global_load_dword v17, v[90:91], off
.LBB65_75:                              ;   in Loop: Header=BB65_56 Depth=1
	s_or_b32 exec_lo, exec_lo, s0
	v_add_co_u32 v88, vcc_lo, 0xffffffc8, v84
	v_add_co_ci_u32_e64 v89, null, -1, v85, vcc_lo
	s_mov_b32 s0, exec_lo
	v_cmpx_gt_i64_e64 s[12:13], v[88:89]
	s_cbranch_execz .LBB65_77
; %bb.76:                               ;   in Loop: Header=BB65_56 Depth=1
	v_add_co_u32 v88, vcc_lo, v56, v47
	v_add_co_ci_u32_e64 v89, null, v57, v48, vcc_lo
	v_add_co_u32 v90, vcc_lo, v58, v47
	v_add_co_ci_u32_e64 v91, null, v59, v48, vcc_lo
	global_load_dword v10, v[88:89], off
	global_load_dword v18, v[90:91], off
.LBB65_77:                              ;   in Loop: Header=BB65_56 Depth=1
	s_or_b32 exec_lo, exec_lo, s0
	s_waitcnt vmcnt(1)
	ds_bpermute_b32 v89, v2, v86
	s_waitcnt vmcnt(0)
	ds_bpermute_b32 v88, v2, v87
	s_mov_b32 s0, 0
	s_waitcnt lgkmcnt(1)
	v_sub_f32_e32 v11, v11, v89
	ds_bpermute_b32 v89, v2, v86 offset:4
	v_mul_f32_e32 v11, v3, v11
	v_add_f32_e32 v3, v49, v3
	s_waitcnt lgkmcnt(1)
	v_fma_f32 v11, v11, v88, v55
	ds_bpermute_b32 v88, v2, v87 offset:4
	v_add_f32_e32 v3, v4, v3
	v_add_f32_e32 v3, v5, v3
	s_waitcnt lgkmcnt(1)
	v_sub_f32_e32 v12, v12, v89
	v_add_f32_e32 v3, v6, v3
	v_mul_f32_e32 v12, v4, v12
	ds_bpermute_b32 v4, v2, v87 offset:8
	v_add_f32_e32 v3, v7, v3
	s_waitcnt lgkmcnt(1)
	v_fmac_f32_e32 v11, v12, v88
	ds_bpermute_b32 v12, v2, v86 offset:8
	v_add_f32_e32 v3, v8, v3
	v_add_f32_e32 v3, v9, v3
	s_waitcnt lgkmcnt(0)
	v_sub_f32_e32 v12, v13, v12
	v_mul_f32_e32 v12, v5, v12
	ds_bpermute_b32 v5, v2, v86 offset:12
	v_fmac_f32_e32 v11, v12, v4
	ds_bpermute_b32 v4, v2, v87 offset:12
	s_waitcnt lgkmcnt(1)
	v_sub_f32_e32 v5, v14, v5
	v_mul_f32_e32 v5, v6, v5
	s_waitcnt lgkmcnt(0)
	v_fmac_f32_e32 v11, v5, v4
	ds_bpermute_b32 v5, v2, v86 offset:16
	ds_bpermute_b32 v4, v2, v87 offset:16
	s_waitcnt lgkmcnt(1)
	v_sub_f32_e32 v5, v15, v5
	v_mul_f32_e32 v5, v7, v5
	s_waitcnt lgkmcnt(0)
	v_fmac_f32_e32 v11, v5, v4
	ds_bpermute_b32 v5, v2, v86 offset:20
	;; [unrolled: 7-line block ×4, first 2 shown]
	ds_bpermute_b32 v4, v2, v87 offset:28
	s_waitcnt lgkmcnt(1)
	v_sub_f32_e32 v5, v18, v5
	v_mul_f32_e32 v5, v10, v5
	s_waitcnt lgkmcnt(0)
	v_mul_f32_e32 v4, v5, v4
.LBB65_78:                              ;   in Loop: Header=BB65_56 Depth=1
	s_and_b32 vcc_lo, exec_lo, s0
	s_cbranch_vccz .LBB65_55
; %bb.79:                               ;   in Loop: Header=BB65_56 Depth=1
	s_load_dword s0, s[24:25], 0x0
	v_mov_b32_e32 v5, 0
	v_mov_b32_e32 v6, 0
	s_waitcnt lgkmcnt(0)
	s_cmp_lt_u32 s6, s0
	s_cselect_b32 s0, 12, 18
	s_add_u32 s0, s24, s0
	s_addc_u32 s1, s25, 0
	global_load_ushort v3, v2, s[0:1]
	s_mov_b32 s0, exec_lo
	s_waitcnt vmcnt(0)
	v_mad_u32_u24 v3, v1, v3, v0
	v_and_b32_e32 v3, 31, v3
	v_cmpx_gt_u32_e32 8, v3
	s_cbranch_execz .LBB65_54
; %bb.80:                               ;   in Loop: Header=BB65_56 Depth=1
	v_add_co_u32 v3, vcc_lo, v84, v3
	v_add_co_ci_u32_e64 v4, null, 0, v85, vcc_lo
	v_mov_b32_e32 v6, 0
	v_add_co_u32 v3, vcc_lo, 0xffffffc1, v3
	v_add_co_ci_u32_e64 v4, null, -1, v4, vcc_lo
	v_mov_b32_e32 v5, 0
	s_mov_b32 s1, exec_lo
	v_cmpx_gt_i64_e64 s[12:13], v[3:4]
	s_cbranch_execz .LBB65_53
; %bb.81:                               ;   in Loop: Header=BB65_56 Depth=1
	v_lshlrev_b64 v[3:4], 2, v[3:4]
	v_add_co_u32 v5, vcc_lo, s20, v3
	v_add_co_ci_u32_e64 v6, null, s21, v4, vcc_lo
	v_add_co_u32 v3, vcc_lo, s22, v3
	v_add_co_ci_u32_e64 v4, null, s23, v4, vcc_lo
	global_load_dword v6, v[5:6], off
	global_load_dword v5, v[3:4], off
	s_branch .LBB65_53
.LBB65_82:
	v_mad_u32_u24 v2, v1, 33, v0
	v_lshrrev_b32_e32 v3, 5, v0
	s_mov_b32 s0, exec_lo
	v_lshl_add_u32 v2, v2, 2, 0
	v_add_nc_u32_e32 v3, v3, v1
	ds_write_b32 v2, v55
	ds_write_b32 v2, v49 offset:1056
	s_waitcnt lgkmcnt(0)
	s_barrier
	buffer_gl0_inv
	v_cmpx_gt_u32_e32 32, v3
	s_cbranch_execz .LBB65_114
; %bb.83:
	s_load_dwordx4 s[8:11], s[4:5], 0x30
	v_and_b32_e32 v1, 31, v0
                                        ; implicit-def: $vgpr2
	v_cmp_gt_u32_e64 s0, 8, v1
	v_mul_u32_u24_e32 v4, 33, v1
                                        ; implicit-def: $vgpr1
	s_and_saveexec_b32 s1, s0
	s_cbranch_execz .LBB65_85
; %bb.84:
	v_add_nc_u32_e32 v1, v3, v4
	v_lshl_add_u32 v1, v1, 2, 0
	ds_read_b32 v2, v1
	ds_read_b32 v1, v1 offset:1056
.LBB65_85:
	s_or_b32 exec_lo, exec_lo, s1
	v_mbcnt_lo_u32_b32 v7, -1, 0
	s_mov_b32 s7, 0
	v_cmp_eq_u32_e64 s1, 0, v0
	s_lshl_b64 s[2:3], s[6:7], 5
	s_waitcnt lgkmcnt(0)
	s_cmp_lg_u64 s[8:9], 0
	v_xor_b32_e32 v5, 4, v7
	v_xor_b32_e32 v6, 2, v7
	;; [unrolled: 1-line block ×3, first 2 shown]
	s_cselect_b32 s5, -1, 0
	s_cmp_lg_u64 s[10:11], 0
	v_cmp_gt_i32_e32 vcc_lo, 32, v5
	s_cselect_b32 s4, -1, 0
	v_cndmask_b32_e32 v5, v7, v5, vcc_lo
	v_cmp_gt_i32_e32 vcc_lo, 32, v6
	v_lshlrev_b32_e32 v5, 2, v5
	v_cndmask_b32_e32 v6, v7, v6, vcc_lo
	v_cmp_gt_i32_e32 vcc_lo, 32, v10
	ds_bpermute_b32 v8, v5, v2
	ds_bpermute_b32 v9, v5, v1
	v_lshlrev_b32_e32 v6, 2, v6
	v_cndmask_b32_e32 v7, v7, v10, vcc_lo
	v_lshlrev_b32_e32 v7, 2, v7
	s_waitcnt lgkmcnt(1)
	v_add_f32_e32 v2, v2, v8
	s_waitcnt lgkmcnt(0)
	v_add_f32_e32 v1, v1, v9
	ds_bpermute_b32 v8, v6, v2
	ds_bpermute_b32 v9, v6, v1
	s_waitcnt lgkmcnt(1)
	v_add_f32_e32 v8, v2, v8
	s_waitcnt lgkmcnt(0)
	v_add_f32_e32 v9, v1, v9
	v_or_b32_e32 v1, s2, v3
	v_mov_b32_e32 v2, s3
	ds_bpermute_b32 v10, v7, v8
	ds_bpermute_b32 v11, v7, v9
	v_cmp_gt_i64_e32 vcc_lo, s[14:15], v[1:2]
	s_and_b32 s7, s1, vcc_lo
	s_waitcnt lgkmcnt(1)
	v_add_f32_e32 v8, v8, v10
	s_waitcnt lgkmcnt(0)
	v_add_f32_e32 v9, v9, v11
	s_and_saveexec_b32 s6, s7
	s_cbranch_execz .LBB65_90
; %bb.86:
	v_lshlrev_b64 v[0:1], 2, v[1:2]
	s_andn2_b32 vcc_lo, exec_lo, s5
	s_cbranch_vccnz .LBB65_88
; %bb.87:
	v_add_co_u32 v10, vcc_lo, s8, v0
	v_add_co_ci_u32_e64 v11, null, s9, v1, vcc_lo
	global_store_dword v[10:11], v8, off
.LBB65_88:
	s_andn2_b32 vcc_lo, exec_lo, s4
	s_cbranch_vccnz .LBB65_90
; %bb.89:
	v_add_co_u32 v0, vcc_lo, s10, v0
	v_add_co_ci_u32_e64 v1, null, s11, v1, vcc_lo
	global_store_dword v[0:1], v9, off
.LBB65_90:
	s_or_b32 exec_lo, exec_lo, s6
	v_cmp_gt_u32_e32 vcc_lo, 24, v3
	s_and_b32 exec_lo, exec_lo, vcc_lo
	s_cbranch_execz .LBB65_114
; %bb.91:
	s_and_saveexec_b32 s6, s0
	s_cbranch_execz .LBB65_93
; %bb.92:
	v_add_nc_u32_e32 v0, v3, v4
	v_lshl_add_u32 v0, v0, 2, 0
	ds_read_b32 v8, v0 offset:32
	ds_read_b32 v9, v0 offset:1088
.LBB65_93:
	s_or_b32 exec_lo, exec_lo, s6
	s_waitcnt lgkmcnt(1)
	ds_bpermute_b32 v0, v5, v8
	s_waitcnt lgkmcnt(1)
	ds_bpermute_b32 v1, v5, v9
	s_waitcnt lgkmcnt(1)
	v_add_f32_e32 v0, v8, v0
	s_waitcnt lgkmcnt(0)
	v_add_f32_e32 v1, v9, v1
	ds_bpermute_b32 v2, v6, v0
	ds_bpermute_b32 v8, v6, v1
	s_waitcnt lgkmcnt(1)
	v_add_f32_e32 v2, v0, v2
	s_waitcnt lgkmcnt(0)
	v_add_f32_e32 v8, v1, v8
	v_add_nc_u32_e32 v0, 8, v3
	ds_bpermute_b32 v9, v7, v2
	ds_bpermute_b32 v10, v7, v8
	v_add_co_u32 v0, s6, s2, v0
	v_add_co_ci_u32_e64 v1, null, s3, 0, s6
	v_cmp_gt_i64_e32 vcc_lo, s[14:15], v[0:1]
	s_and_b32 s7, s1, vcc_lo
	s_waitcnt lgkmcnt(1)
	v_add_f32_e32 v0, v2, v9
	s_waitcnt lgkmcnt(0)
	v_add_f32_e32 v1, v8, v10
	s_and_saveexec_b32 s6, s7
	s_cbranch_execz .LBB65_98
; %bb.94:
	s_andn2_b32 vcc_lo, exec_lo, s5
	s_cbranch_vccnz .LBB65_96
; %bb.95:
	v_add_co_u32 v8, s7, s2, v3
	v_add_co_ci_u32_e64 v9, null, s3, 0, s7
	v_lshlrev_b64 v[8:9], 2, v[8:9]
	v_add_co_u32 v8, vcc_lo, s8, v8
	v_add_co_ci_u32_e64 v9, null, s9, v9, vcc_lo
	global_store_dword v[8:9], v0, off offset:32
.LBB65_96:
	s_andn2_b32 vcc_lo, exec_lo, s4
	s_cbranch_vccnz .LBB65_98
; %bb.97:
	v_add_co_u32 v8, s7, s2, v3
	v_add_co_ci_u32_e64 v9, null, s3, 0, s7
	v_lshlrev_b64 v[8:9], 2, v[8:9]
	v_add_co_u32 v8, vcc_lo, s10, v8
	v_add_co_ci_u32_e64 v9, null, s11, v9, vcc_lo
	global_store_dword v[8:9], v1, off offset:32
.LBB65_98:
	s_or_b32 exec_lo, exec_lo, s6
	v_cmp_gt_u32_e32 vcc_lo, 16, v3
	s_and_b32 exec_lo, exec_lo, vcc_lo
	s_cbranch_execz .LBB65_114
; %bb.99:
	s_and_saveexec_b32 s6, s0
	s_cbranch_execz .LBB65_101
; %bb.100:
	v_add_nc_u32_e32 v0, v3, v4
	v_lshl_add_u32 v1, v0, 2, 0
	ds_read_b32 v0, v1 offset:64
	ds_read_b32 v1, v1 offset:1120
.LBB65_101:
	s_or_b32 exec_lo, exec_lo, s6
	s_waitcnt lgkmcnt(1)
	ds_bpermute_b32 v2, v5, v0
	s_waitcnt lgkmcnt(1)
	ds_bpermute_b32 v8, v5, v1
	s_waitcnt lgkmcnt(1)
	v_add_f32_e32 v0, v0, v2
	s_waitcnt lgkmcnt(0)
	v_add_f32_e32 v1, v1, v8
	ds_bpermute_b32 v2, v6, v0
	ds_bpermute_b32 v8, v6, v1
	s_waitcnt lgkmcnt(1)
	v_add_f32_e32 v2, v0, v2
	s_waitcnt lgkmcnt(0)
	v_add_f32_e32 v8, v1, v8
	v_add_nc_u32_e32 v0, 16, v3
	v_mov_b32_e32 v1, s3
	ds_bpermute_b32 v9, v7, v2
	ds_bpermute_b32 v10, v7, v8
	v_or_b32_e32 v0, s2, v0
	v_cmp_gt_i64_e32 vcc_lo, s[14:15], v[0:1]
	s_and_b32 s7, s1, vcc_lo
	s_waitcnt lgkmcnt(1)
	v_add_f32_e32 v0, v2, v9
	s_waitcnt lgkmcnt(0)
	v_add_f32_e32 v1, v8, v10
	s_and_saveexec_b32 s6, s7
	s_cbranch_execz .LBB65_106
; %bb.102:
	s_andn2_b32 vcc_lo, exec_lo, s5
	s_cbranch_vccnz .LBB65_104
; %bb.103:
	v_add_co_u32 v8, s7, s2, v3
	v_add_co_ci_u32_e64 v9, null, s3, 0, s7
	v_lshlrev_b64 v[8:9], 2, v[8:9]
	v_add_co_u32 v8, vcc_lo, s8, v8
	v_add_co_ci_u32_e64 v9, null, s9, v9, vcc_lo
	global_store_dword v[8:9], v0, off offset:64
.LBB65_104:
	s_andn2_b32 vcc_lo, exec_lo, s4
	s_cbranch_vccnz .LBB65_106
; %bb.105:
	v_add_co_u32 v8, s7, s2, v3
	v_add_co_ci_u32_e64 v9, null, s3, 0, s7
	v_lshlrev_b64 v[8:9], 2, v[8:9]
	v_add_co_u32 v8, vcc_lo, s10, v8
	v_add_co_ci_u32_e64 v9, null, s11, v9, vcc_lo
	global_store_dword v[8:9], v1, off offset:64
.LBB65_106:
	s_or_b32 exec_lo, exec_lo, s6
	v_cmp_gt_u32_e32 vcc_lo, 8, v3
	s_and_b32 exec_lo, exec_lo, vcc_lo
	s_cbranch_execz .LBB65_114
; %bb.107:
	s_and_saveexec_b32 s6, s0
	s_cbranch_execz .LBB65_109
; %bb.108:
	v_add_nc_u32_e32 v0, v3, v4
	v_lshl_add_u32 v1, v0, 2, 0
	ds_read_b32 v0, v1 offset:96
	ds_read_b32 v1, v1 offset:1152
.LBB65_109:
	s_or_b32 exec_lo, exec_lo, s6
	s_waitcnt lgkmcnt(1)
	ds_bpermute_b32 v2, v5, v0
	s_waitcnt lgkmcnt(1)
	ds_bpermute_b32 v4, v5, v1
	v_add_nc_u32_e32 v5, 24, v3
	v_or_b32_e32 v5, s2, v5
	s_waitcnt lgkmcnt(1)
	v_add_f32_e32 v0, v0, v2
	s_waitcnt lgkmcnt(0)
	v_add_f32_e32 v1, v1, v4
	ds_bpermute_b32 v2, v6, v0
	ds_bpermute_b32 v4, v6, v1
	v_mov_b32_e32 v6, s3
	v_cmp_gt_i64_e32 vcc_lo, s[14:15], v[5:6]
	s_and_b32 s0, s1, vcc_lo
	s_waitcnt lgkmcnt(1)
	v_add_f32_e32 v2, v0, v2
	s_waitcnt lgkmcnt(0)
	v_add_f32_e32 v0, v1, v4
	ds_bpermute_b32 v4, v7, v2
	ds_bpermute_b32 v1, v7, v0
	s_and_b32 exec_lo, exec_lo, s0
	s_cbranch_execz .LBB65_114
; %bb.110:
	s_andn2_b32 vcc_lo, exec_lo, s5
	s_cbranch_vccnz .LBB65_112
; %bb.111:
	v_add_co_u32 v5, s0, s2, v3
	v_add_co_ci_u32_e64 v6, null, s3, 0, s0
	s_waitcnt lgkmcnt(1)
	v_add_f32_e32 v2, v2, v4
	v_lshlrev_b64 v[5:6], 2, v[5:6]
	v_add_co_u32 v4, vcc_lo, s8, v5
	v_add_co_ci_u32_e64 v5, null, s9, v6, vcc_lo
	global_store_dword v[4:5], v2, off offset:96
.LBB65_112:
	s_andn2_b32 vcc_lo, exec_lo, s4
	s_cbranch_vccnz .LBB65_114
; %bb.113:
	v_add_co_u32 v2, s0, s2, v3
	v_add_co_ci_u32_e64 v3, null, s3, 0, s0
	s_waitcnt lgkmcnt(0)
	v_add_f32_e32 v4, v0, v1
	v_lshlrev_b64 v[2:3], 2, v[2:3]
	v_add_co_u32 v0, vcc_lo, s10, v2
	v_add_co_ci_u32_e64 v1, null, s11, v3, vcc_lo
	global_store_dword v[0:1], v4, off offset:96
.LBB65_114:
	s_endpgm
	.section	.rodata,"a",@progbits
	.p2align	6, 0x0
	.amdhsa_kernel _ZN2at6native12_GLOBAL__N_135GammaBetaBackwardCUDAKernelTemplateIffLj32ELj8ELj64ELb0ELb0ELb0EEEvllPKT_S5_PKT0_S8_PS3_S9_
		.amdhsa_group_segment_fixed_size 0
		.amdhsa_private_segment_fixed_size 0
		.amdhsa_kernarg_size 320
		.amdhsa_user_sgpr_count 6
		.amdhsa_user_sgpr_private_segment_buffer 1
		.amdhsa_user_sgpr_dispatch_ptr 0
		.amdhsa_user_sgpr_queue_ptr 0
		.amdhsa_user_sgpr_kernarg_segment_ptr 1
		.amdhsa_user_sgpr_dispatch_id 0
		.amdhsa_user_sgpr_flat_scratch_init 0
		.amdhsa_user_sgpr_private_segment_size 0
		.amdhsa_wavefront_size32 1
		.amdhsa_uses_dynamic_stack 0
		.amdhsa_system_sgpr_private_segment_wavefront_offset 0
		.amdhsa_system_sgpr_workgroup_id_x 1
		.amdhsa_system_sgpr_workgroup_id_y 1
		.amdhsa_system_sgpr_workgroup_id_z 0
		.amdhsa_system_sgpr_workgroup_info 0
		.amdhsa_system_vgpr_workitem_id 1
		.amdhsa_next_free_vgpr 94
		.amdhsa_next_free_sgpr 36
		.amdhsa_reserve_vcc 1
		.amdhsa_reserve_flat_scratch 0
		.amdhsa_float_round_mode_32 0
		.amdhsa_float_round_mode_16_64 0
		.amdhsa_float_denorm_mode_32 3
		.amdhsa_float_denorm_mode_16_64 3
		.amdhsa_dx10_clamp 1
		.amdhsa_ieee_mode 1
		.amdhsa_fp16_overflow 0
		.amdhsa_workgroup_processor_mode 1
		.amdhsa_memory_ordered 1
		.amdhsa_forward_progress 1
		.amdhsa_shared_vgpr_count 0
		.amdhsa_exception_fp_ieee_invalid_op 0
		.amdhsa_exception_fp_denorm_src 0
		.amdhsa_exception_fp_ieee_div_zero 0
		.amdhsa_exception_fp_ieee_overflow 0
		.amdhsa_exception_fp_ieee_underflow 0
		.amdhsa_exception_fp_ieee_inexact 0
		.amdhsa_exception_int_div_zero 0
	.end_amdhsa_kernel
	.section	.text._ZN2at6native12_GLOBAL__N_135GammaBetaBackwardCUDAKernelTemplateIffLj32ELj8ELj64ELb0ELb0ELb0EEEvllPKT_S5_PKT0_S8_PS3_S9_,"axG",@progbits,_ZN2at6native12_GLOBAL__N_135GammaBetaBackwardCUDAKernelTemplateIffLj32ELj8ELj64ELb0ELb0ELb0EEEvllPKT_S5_PKT0_S8_PS3_S9_,comdat
.Lfunc_end65:
	.size	_ZN2at6native12_GLOBAL__N_135GammaBetaBackwardCUDAKernelTemplateIffLj32ELj8ELj64ELb0ELb0ELb0EEEvllPKT_S5_PKT0_S8_PS3_S9_, .Lfunc_end65-_ZN2at6native12_GLOBAL__N_135GammaBetaBackwardCUDAKernelTemplateIffLj32ELj8ELj64ELb0ELb0ELb0EEEvllPKT_S5_PKT0_S8_PS3_S9_
                                        ; -- End function
	.set _ZN2at6native12_GLOBAL__N_135GammaBetaBackwardCUDAKernelTemplateIffLj32ELj8ELj64ELb0ELb0ELb0EEEvllPKT_S5_PKT0_S8_PS3_S9_.num_vgpr, 94
	.set _ZN2at6native12_GLOBAL__N_135GammaBetaBackwardCUDAKernelTemplateIffLj32ELj8ELj64ELb0ELb0ELb0EEEvllPKT_S5_PKT0_S8_PS3_S9_.num_agpr, 0
	.set _ZN2at6native12_GLOBAL__N_135GammaBetaBackwardCUDAKernelTemplateIffLj32ELj8ELj64ELb0ELb0ELb0EEEvllPKT_S5_PKT0_S8_PS3_S9_.numbered_sgpr, 36
	.set _ZN2at6native12_GLOBAL__N_135GammaBetaBackwardCUDAKernelTemplateIffLj32ELj8ELj64ELb0ELb0ELb0EEEvllPKT_S5_PKT0_S8_PS3_S9_.num_named_barrier, 0
	.set _ZN2at6native12_GLOBAL__N_135GammaBetaBackwardCUDAKernelTemplateIffLj32ELj8ELj64ELb0ELb0ELb0EEEvllPKT_S5_PKT0_S8_PS3_S9_.private_seg_size, 0
	.set _ZN2at6native12_GLOBAL__N_135GammaBetaBackwardCUDAKernelTemplateIffLj32ELj8ELj64ELb0ELb0ELb0EEEvllPKT_S5_PKT0_S8_PS3_S9_.uses_vcc, 1
	.set _ZN2at6native12_GLOBAL__N_135GammaBetaBackwardCUDAKernelTemplateIffLj32ELj8ELj64ELb0ELb0ELb0EEEvllPKT_S5_PKT0_S8_PS3_S9_.uses_flat_scratch, 0
	.set _ZN2at6native12_GLOBAL__N_135GammaBetaBackwardCUDAKernelTemplateIffLj32ELj8ELj64ELb0ELb0ELb0EEEvllPKT_S5_PKT0_S8_PS3_S9_.has_dyn_sized_stack, 0
	.set _ZN2at6native12_GLOBAL__N_135GammaBetaBackwardCUDAKernelTemplateIffLj32ELj8ELj64ELb0ELb0ELb0EEEvllPKT_S5_PKT0_S8_PS3_S9_.has_recursion, 0
	.set _ZN2at6native12_GLOBAL__N_135GammaBetaBackwardCUDAKernelTemplateIffLj32ELj8ELj64ELb0ELb0ELb0EEEvllPKT_S5_PKT0_S8_PS3_S9_.has_indirect_call, 0
	.section	.AMDGPU.csdata,"",@progbits
; Kernel info:
; codeLenInByte = 9188
; TotalNumSgprs: 38
; NumVgprs: 94
; ScratchSize: 0
; MemoryBound: 0
; FloatMode: 240
; IeeeMode: 1
; LDSByteSize: 0 bytes/workgroup (compile time only)
; SGPRBlocks: 0
; VGPRBlocks: 11
; NumSGPRsForWavesPerEU: 38
; NumVGPRsForWavesPerEU: 94
; Occupancy: 10
; WaveLimiterHint : 0
; COMPUTE_PGM_RSRC2:SCRATCH_EN: 0
; COMPUTE_PGM_RSRC2:USER_SGPR: 6
; COMPUTE_PGM_RSRC2:TRAP_HANDLER: 0
; COMPUTE_PGM_RSRC2:TGID_X_EN: 1
; COMPUTE_PGM_RSRC2:TGID_Y_EN: 1
; COMPUTE_PGM_RSRC2:TGID_Z_EN: 0
; COMPUTE_PGM_RSRC2:TIDIG_COMP_CNT: 1
	.section	.text._ZN2at6native12_GLOBAL__N_135GammaBetaBackwardCUDAKernelTemplateIffLj32ELj16ELj128ELb0ELb1ELb0EEEvllPKT_S5_PKT0_S8_PS3_S9_,"axG",@progbits,_ZN2at6native12_GLOBAL__N_135GammaBetaBackwardCUDAKernelTemplateIffLj32ELj16ELj128ELb0ELb1ELb0EEEvllPKT_S5_PKT0_S8_PS3_S9_,comdat
	.globl	_ZN2at6native12_GLOBAL__N_135GammaBetaBackwardCUDAKernelTemplateIffLj32ELj16ELj128ELb0ELb1ELb0EEEvllPKT_S5_PKT0_S8_PS3_S9_ ; -- Begin function _ZN2at6native12_GLOBAL__N_135GammaBetaBackwardCUDAKernelTemplateIffLj32ELj16ELj128ELb0ELb1ELb0EEEvllPKT_S5_PKT0_S8_PS3_S9_
	.p2align	8
	.type	_ZN2at6native12_GLOBAL__N_135GammaBetaBackwardCUDAKernelTemplateIffLj32ELj16ELj128ELb0ELb1ELb0EEEvllPKT_S5_PKT0_S8_PS3_S9_,@function
_ZN2at6native12_GLOBAL__N_135GammaBetaBackwardCUDAKernelTemplateIffLj32ELj16ELj128ELb0ELb1ELb0EEEvllPKT_S5_PKT0_S8_PS3_S9_: ; @_ZN2at6native12_GLOBAL__N_135GammaBetaBackwardCUDAKernelTemplateIffLj32ELj16ELj128ELb0ELb1ELb0EEEvllPKT_S5_PKT0_S8_PS3_S9_
; %bb.0:
	s_load_dwordx4 s[20:23], s[4:5], 0x0
	s_lshl_b32 s2, s7, 7
	s_mov_b32 s3, 0
	s_waitcnt lgkmcnt(0)
	v_cmp_gt_i64_e64 s0, s[20:21], s[2:3]
	s_and_b32 vcc_lo, exec_lo, s0
	s_cbranch_vccnz .LBB66_2
; %bb.1:
	s_mov_b32 s0, s3
	s_branch .LBB66_3
.LBB66_2:
	s_mov_b32 s0, -1
.LBB66_3:
	s_load_dwordx4 s[16:19], s[4:5], 0x30
	v_mov_b32_e32 v17, 0
	v_mov_b32_e32 v2, 0
	s_andn2_b32 vcc_lo, exec_lo, s0
	s_cbranch_vccnz .LBB66_10
; %bb.4:
	s_clause 0x2
	s_load_dword s0, s[4:5], 0x4c
	s_load_dword s1, s[4:5], 0x44
	s_load_dwordx8 s[8:15], s[4:5], 0x10
	v_lshlrev_b32_e32 v2, 3, v1
	v_mov_b32_e32 v3, 0
	v_mov_b32_e32 v8, 8
	;; [unrolled: 1-line block ×4, first 2 shown]
	v_add_co_u32 v4, s4, v2, s2
	v_add_co_ci_u32_e64 v5, null, 0, 0, s4
	v_lshl_add_u32 v2, s6, 5, v0
	v_mul_lo_u32 v17, s23, v4
	v_mad_u64_u32 v[6:7], null, s22, v4, 0
	v_mul_lo_u32 v18, s22, v5
	v_mov_b32_e32 v11, 16
	v_mov_b32_e32 v12, 20
	;; [unrolled: 1-line block ×3, first 2 shown]
	s_waitcnt lgkmcnt(0)
	s_and_b32 s0, s0, 0xffff
	s_lshl_b32 s4, s1, 7
	v_mad_u32_u24 v15, v1, s0, v0
	s_mul_i32 s1, s23, s4
	v_add3_u32 v7, v7, v18, v17
	s_mul_hi_u32 s7, s22, s4
	v_mov_b32_e32 v14, 28
	v_and_b32_e32 v19, 31, v15
	v_lshlrev_b64 v[15:16], 2, v[2:3]
	v_lshlrev_b64 v[17:18], 2, v[6:7]
	v_mov_b32_e32 v2, 0
	s_mov_b32 s5, 0
	v_add_co_u32 v4, vcc_lo, v4, v19
	v_add_co_ci_u32_e64 v5, null, 0, v5, vcc_lo
	v_add_co_u32 v15, vcc_lo, v17, v15
	v_cmp_gt_u32_e64 s0, 8, v19
	v_lshlrev_b64 v[6:7], 2, v[4:5]
	v_add_co_ci_u32_e64 v16, null, v18, v16, vcc_lo
	v_mov_b32_e32 v17, 0
	s_add_i32 s27, s7, s1
	s_mul_i32 s26, s22, s4
	s_lshl_b64 s[24:25], s[4:5], 2
	s_lshl_b64 s[26:27], s[26:27], 2
	;; [unrolled: 1-line block ×3, first 2 shown]
	s_branch .LBB66_7
.LBB66_5:                               ;   in Loop: Header=BB66_7 Depth=1
	s_or_b32 exec_lo, exec_lo, s5
.LBB66_6:                               ;   in Loop: Header=BB66_7 Depth=1
	s_or_b32 exec_lo, exec_lo, s1
	v_add_co_u32 v20, vcc_lo, s8, v15
	v_add_co_ci_u32_e64 v21, null, s9, v16, vcc_lo
	v_add_co_u32 v22, vcc_lo, s10, v15
	v_add_co_ci_u32_e64 v23, null, s11, v16, vcc_lo
	global_load_dword v30, v[20:21], off
	v_add_co_u32 v20, vcc_lo, v20, s22
	v_add_co_ci_u32_e64 v21, null, s23, v21, vcc_lo
	v_add_co_u32 v24, vcc_lo, v22, s22
	v_add_co_ci_u32_e64 v25, null, s23, v23, vcc_lo
	;; [unrolled: 2-line block ×4, first 2 shown]
	global_load_dword v31, v[22:23], off
	global_load_dword v32, v[20:21], off
	;; [unrolled: 1-line block ×5, first 2 shown]
	v_add_co_u32 v20, vcc_lo, v28, s22
	v_add_co_ci_u32_e64 v21, null, s23, v29, vcc_lo
	v_add_co_u32 v22, vcc_lo, v26, s22
	v_add_co_ci_u32_e64 v23, null, s23, v27, vcc_lo
	global_load_dword v36, v[20:21], off
	v_add_co_u32 v24, vcc_lo, v22, s22
	v_add_co_ci_u32_e64 v25, null, s23, v23, vcc_lo
	v_add_co_u32 v20, vcc_lo, v20, s22
	v_add_co_ci_u32_e64 v21, null, s23, v21, vcc_lo
	;; [unrolled: 2-line block ×4, first 2 shown]
	s_clause 0x1
	global_load_dword v37, v[22:23], off
	global_load_dword v24, v[24:25], off
	;; [unrolled: 1-line block ×5, first 2 shown]
	v_add_co_u32 v20, vcc_lo, v28, s22
	v_add_co_ci_u32_e64 v21, null, s23, v29, vcc_lo
	v_add_co_u32 v22, vcc_lo, v26, s22
	v_add_co_ci_u32_e64 v23, null, s23, v27, vcc_lo
	global_load_dword v26, v[20:21], off
	v_add_co_u32 v20, vcc_lo, v20, s22
	v_add_co_ci_u32_e64 v21, null, s23, v21, vcc_lo
	global_load_dword v27, v[22:23], off
	global_load_dword v28, v[20:21], off
	v_add_co_u32 v20, vcc_lo, v22, s22
	v_add_co_ci_u32_e64 v21, null, s23, v23, vcc_lo
	s_waitcnt vmcnt(16)
	ds_bpermute_b32 v22, v9, v19
	s_waitcnt vmcnt(15)
	ds_bpermute_b32 v23, v3, v18
	ds_bpermute_b32 v29, v8, v19
	global_load_dword v20, v[20:21], off
	ds_bpermute_b32 v21, v3, v19
	ds_bpermute_b32 v40, v9, v18
	;; [unrolled: 1-line block ×5, first 2 shown]
	s_add_u32 s2, s2, s4
	v_add_co_u32 v6, vcc_lo, v6, s24
	s_addc_u32 s3, s3, 0
	v_add_co_ci_u32_e64 v7, null, s25, v7, vcc_lo
	v_add_co_u32 v4, vcc_lo, v4, s4
	v_cmp_lt_i64_e64 s1, s[2:3], s[20:21]
	v_add_co_ci_u32_e64 v5, null, 0, v5, vcc_lo
	v_add_co_u32 v15, vcc_lo, v15, s26
	v_add_co_ci_u32_e64 v16, null, s27, v16, vcc_lo
	s_and_b32 vcc_lo, exec_lo, s1
	s_waitcnt vmcnt(15)
	v_add_f32_e32 v17, v17, v30
	s_waitcnt vmcnt(14) lgkmcnt(4)
	v_sub_f32_e32 v21, v31, v21
	ds_bpermute_b32 v31, v8, v18
	s_waitcnt vmcnt(12)
	v_sub_f32_e32 v22, v33, v22
	ds_bpermute_b32 v33, v10, v18
	v_add_f32_e32 v17, v17, v32
	v_mul_f32_e32 v21, v30, v21
	ds_bpermute_b32 v30, v12, v18
	s_waitcnt vmcnt(11)
	v_add_f32_e32 v17, v17, v34
	v_fmac_f32_e32 v2, v21, v23
	v_mul_f32_e32 v21, v32, v22
	s_waitcnt vmcnt(10)
	v_sub_f32_e32 v22, v35, v29
	ds_bpermute_b32 v23, v11, v18
	ds_bpermute_b32 v29, v13, v19
	;; [unrolled: 1-line block ×3, first 2 shown]
	s_waitcnt lgkmcnt(9)
	v_fmac_f32_e32 v2, v21, v40
	v_mul_f32_e32 v21, v34, v22
	s_waitcnt vmcnt(9) lgkmcnt(8)
	v_sub_f32_e32 v22, v36, v41
	s_waitcnt lgkmcnt(5)
	v_fmac_f32_e32 v2, v21, v31
	s_waitcnt vmcnt(8)
	v_mul_f32_e32 v21, v37, v22
	v_add_f32_e32 v17, v17, v37
	s_waitcnt vmcnt(6)
	v_sub_f32_e32 v22, v25, v42
	ds_bpermute_b32 v25, v13, v18
	ds_bpermute_b32 v18, v14, v18
	s_waitcnt lgkmcnt(6)
	v_fmac_f32_e32 v2, v21, v33
	v_add_f32_e32 v17, v17, v24
	v_mul_f32_e32 v21, v24, v22
	s_waitcnt vmcnt(4)
	v_sub_f32_e32 v22, v39, v43
	v_add_f32_e32 v17, v17, v38
	s_waitcnt lgkmcnt(4)
	v_fmac_f32_e32 v2, v21, v23
	v_mul_f32_e32 v21, v38, v22
	s_waitcnt vmcnt(3) lgkmcnt(3)
	v_sub_f32_e32 v22, v26, v29
	v_fmac_f32_e32 v2, v21, v30
	s_waitcnt vmcnt(2)
	v_mul_f32_e32 v21, v27, v22
	s_waitcnt vmcnt(1) lgkmcnt(2)
	v_sub_f32_e32 v19, v28, v19
	v_add_f32_e32 v17, v17, v27
	s_waitcnt lgkmcnt(1)
	v_fmac_f32_e32 v2, v21, v25
	s_waitcnt vmcnt(0)
	v_mul_f32_e32 v19, v20, v19
	v_add_f32_e32 v17, v17, v20
	s_waitcnt lgkmcnt(0)
	v_fmac_f32_e32 v2, v19, v18
	s_cbranch_vccz .LBB66_10
.LBB66_7:                               ; =>This Inner Loop Header: Depth=1
	v_mov_b32_e32 v18, 0
	v_mov_b32_e32 v19, 0
	s_and_saveexec_b32 s1, s0
	s_cbranch_execz .LBB66_6
; %bb.8:                                ;   in Loop: Header=BB66_7 Depth=1
	v_mov_b32_e32 v19, 0
	v_mov_b32_e32 v18, 0
	s_mov_b32 s5, exec_lo
	v_cmpx_gt_i64_e64 s[20:21], v[4:5]
	s_cbranch_execz .LBB66_5
; %bb.9:                                ;   in Loop: Header=BB66_7 Depth=1
	v_add_co_u32 v18, vcc_lo, s12, v6
	v_add_co_ci_u32_e64 v19, null, s13, v7, vcc_lo
	v_add_co_u32 v20, vcc_lo, s14, v6
	v_add_co_ci_u32_e64 v21, null, s15, v7, vcc_lo
	global_load_dword v19, v[18:19], off
	global_load_dword v18, v[20:21], off
	s_branch .LBB66_5
.LBB66_10:
	v_mad_u32_u24 v3, v1, 33, v0
	v_lshrrev_b32_e32 v4, 5, v0
	s_mov_b32 s0, exec_lo
	v_lshl_add_u32 v5, v3, 2, 0
	v_add_nc_u32_e32 v3, v4, v1
	ds_write_b32 v5, v2
	ds_write_b32 v5, v17 offset:2112
	s_waitcnt lgkmcnt(0)
	s_barrier
	buffer_gl0_inv
	v_cmpx_gt_u32_e32 32, v3
	s_cbranch_execz .LBB66_26
; %bb.11:
	v_and_b32_e32 v1, 31, v0
                                        ; implicit-def: $vgpr6
	v_cmp_gt_u32_e64 s0, 16, v1
	v_mul_u32_u24_e32 v2, 33, v1
                                        ; implicit-def: $vgpr1
	s_and_saveexec_b32 s1, s0
	s_cbranch_execz .LBB66_13
; %bb.12:
	v_add_nc_u32_e32 v1, v3, v2
	v_lshl_add_u32 v1, v1, 2, 0
	ds_read_b32 v6, v1
	ds_read_b32 v1, v1 offset:2112
.LBB66_13:
	s_or_b32 exec_lo, exec_lo, s1
	v_mbcnt_lo_u32_b32 v7, -1, 0
	s_mov_b32 s7, 0
	v_cmp_eq_u32_e64 s1, 0, v0
	s_lshl_b64 s[2:3], s[6:7], 5
	s_cmp_lg_u64 s[16:17], 0
	v_xor_b32_e32 v4, 8, v7
	v_xor_b32_e32 v5, 4, v7
	;; [unrolled: 1-line block ×3, first 2 shown]
	s_cselect_b32 s5, -1, 0
	s_cmp_lg_u64 s[18:19], 0
	v_cmp_gt_i32_e32 vcc_lo, 32, v4
	s_cselect_b32 s4, -1, 0
	v_cndmask_b32_e32 v4, v7, v4, vcc_lo
	v_cmp_gt_i32_e32 vcc_lo, 32, v5
	v_lshlrev_b32_e32 v4, 2, v4
	v_cndmask_b32_e32 v5, v7, v5, vcc_lo
	s_waitcnt lgkmcnt(1)
	ds_bpermute_b32 v8, v4, v6
	s_waitcnt lgkmcnt(1)
	ds_bpermute_b32 v9, v4, v1
	v_lshlrev_b32_e32 v5, 2, v5
	s_waitcnt lgkmcnt(1)
	v_add_f32_e32 v8, v6, v8
	s_waitcnt lgkmcnt(0)
	v_add_f32_e32 v1, v1, v9
	v_xor_b32_e32 v6, 2, v7
	ds_bpermute_b32 v9, v5, v8
	ds_bpermute_b32 v10, v5, v1
	v_cmp_gt_i32_e32 vcc_lo, 32, v6
	v_cndmask_b32_e32 v6, v7, v6, vcc_lo
	v_cmp_gt_i32_e32 vcc_lo, 32, v11
	v_lshlrev_b32_e32 v6, 2, v6
	v_cndmask_b32_e32 v7, v7, v11, vcc_lo
	v_lshlrev_b32_e32 v7, 2, v7
	s_waitcnt lgkmcnt(1)
	v_add_f32_e32 v8, v8, v9
	s_waitcnt lgkmcnt(0)
	v_add_f32_e32 v1, v1, v10
	ds_bpermute_b32 v9, v6, v8
	ds_bpermute_b32 v10, v6, v1
	s_waitcnt lgkmcnt(1)
	v_add_f32_e32 v8, v8, v9
	s_waitcnt lgkmcnt(0)
	v_add_f32_e32 v1, v1, v10
	ds_bpermute_b32 v9, v7, v8
	ds_bpermute_b32 v10, v7, v1
	s_waitcnt lgkmcnt(1)
	v_add_f32_e32 v8, v8, v9
	s_waitcnt lgkmcnt(0)
	v_add_f32_e32 v9, v1, v10
	s_and_saveexec_b32 s6, s1
	s_cbranch_execz .LBB66_18
; %bb.14:
	v_mov_b32_e32 v1, s3
	v_or_b32_e32 v0, s2, v3
	s_andn2_b32 vcc_lo, exec_lo, s5
	v_lshlrev_b64 v[0:1], 2, v[0:1]
	s_cbranch_vccnz .LBB66_16
; %bb.15:
	v_add_co_u32 v10, vcc_lo, s16, v0
	v_add_co_ci_u32_e64 v11, null, s17, v1, vcc_lo
	global_store_dword v[10:11], v8, off
.LBB66_16:
	s_andn2_b32 vcc_lo, exec_lo, s4
	s_cbranch_vccnz .LBB66_18
; %bb.17:
	v_add_co_u32 v0, vcc_lo, s18, v0
	v_add_co_ci_u32_e64 v1, null, s19, v1, vcc_lo
	global_store_dword v[0:1], v9, off
.LBB66_18:
	s_or_b32 exec_lo, exec_lo, s6
	v_cmp_gt_u32_e32 vcc_lo, 16, v3
	s_and_b32 exec_lo, exec_lo, vcc_lo
	s_cbranch_execz .LBB66_26
; %bb.19:
	s_and_saveexec_b32 s6, s0
	s_cbranch_execz .LBB66_21
; %bb.20:
	v_add_nc_u32_e32 v0, v3, v2
	v_lshl_add_u32 v0, v0, 2, 0
	ds_read_b32 v8, v0 offset:64
	ds_read_b32 v9, v0 offset:2176
.LBB66_21:
	s_or_b32 exec_lo, exec_lo, s6
	s_waitcnt lgkmcnt(1)
	ds_bpermute_b32 v0, v4, v8
	s_waitcnt lgkmcnt(1)
	ds_bpermute_b32 v1, v4, v9
	s_waitcnt lgkmcnt(1)
	v_add_f32_e32 v0, v8, v0
	s_waitcnt lgkmcnt(0)
	v_add_f32_e32 v1, v9, v1
	ds_bpermute_b32 v2, v5, v0
	ds_bpermute_b32 v4, v5, v1
	s_waitcnt lgkmcnt(1)
	v_add_f32_e32 v0, v0, v2
	s_waitcnt lgkmcnt(0)
	v_add_f32_e32 v1, v1, v4
	ds_bpermute_b32 v2, v6, v0
	;; [unrolled: 6-line block ×3, first 2 shown]
	ds_bpermute_b32 v1, v7, v0
	s_and_b32 exec_lo, exec_lo, s1
	s_cbranch_execz .LBB66_26
; %bb.22:
	s_andn2_b32 vcc_lo, exec_lo, s5
	s_cbranch_vccnz .LBB66_24
; %bb.23:
	v_add_co_u32 v5, s0, s2, v3
	v_add_co_ci_u32_e64 v6, null, s3, 0, s0
	s_waitcnt lgkmcnt(1)
	v_add_f32_e32 v2, v2, v4
	v_lshlrev_b64 v[5:6], 2, v[5:6]
	v_add_co_u32 v4, vcc_lo, s16, v5
	v_add_co_ci_u32_e64 v5, null, s17, v6, vcc_lo
	global_store_dword v[4:5], v2, off offset:64
.LBB66_24:
	s_andn2_b32 vcc_lo, exec_lo, s4
	s_cbranch_vccnz .LBB66_26
; %bb.25:
	v_add_co_u32 v2, s0, s2, v3
	v_add_co_ci_u32_e64 v3, null, s3, 0, s0
	s_waitcnt lgkmcnt(0)
	v_add_f32_e32 v4, v0, v1
	v_lshlrev_b64 v[2:3], 2, v[2:3]
	v_add_co_u32 v0, vcc_lo, s18, v2
	v_add_co_ci_u32_e64 v1, null, s19, v3, vcc_lo
	global_store_dword v[0:1], v4, off offset:64
.LBB66_26:
	s_endpgm
	.section	.rodata,"a",@progbits
	.p2align	6, 0x0
	.amdhsa_kernel _ZN2at6native12_GLOBAL__N_135GammaBetaBackwardCUDAKernelTemplateIffLj32ELj16ELj128ELb0ELb1ELb0EEEvllPKT_S5_PKT0_S8_PS3_S9_
		.amdhsa_group_segment_fixed_size 0
		.amdhsa_private_segment_fixed_size 0
		.amdhsa_kernarg_size 320
		.amdhsa_user_sgpr_count 6
		.amdhsa_user_sgpr_private_segment_buffer 1
		.amdhsa_user_sgpr_dispatch_ptr 0
		.amdhsa_user_sgpr_queue_ptr 0
		.amdhsa_user_sgpr_kernarg_segment_ptr 1
		.amdhsa_user_sgpr_dispatch_id 0
		.amdhsa_user_sgpr_flat_scratch_init 0
		.amdhsa_user_sgpr_private_segment_size 0
		.amdhsa_wavefront_size32 1
		.amdhsa_uses_dynamic_stack 0
		.amdhsa_system_sgpr_private_segment_wavefront_offset 0
		.amdhsa_system_sgpr_workgroup_id_x 1
		.amdhsa_system_sgpr_workgroup_id_y 1
		.amdhsa_system_sgpr_workgroup_id_z 0
		.amdhsa_system_sgpr_workgroup_info 0
		.amdhsa_system_vgpr_workitem_id 1
		.amdhsa_next_free_vgpr 44
		.amdhsa_next_free_sgpr 28
		.amdhsa_reserve_vcc 1
		.amdhsa_reserve_flat_scratch 0
		.amdhsa_float_round_mode_32 0
		.amdhsa_float_round_mode_16_64 0
		.amdhsa_float_denorm_mode_32 3
		.amdhsa_float_denorm_mode_16_64 3
		.amdhsa_dx10_clamp 1
		.amdhsa_ieee_mode 1
		.amdhsa_fp16_overflow 0
		.amdhsa_workgroup_processor_mode 1
		.amdhsa_memory_ordered 1
		.amdhsa_forward_progress 1
		.amdhsa_shared_vgpr_count 0
		.amdhsa_exception_fp_ieee_invalid_op 0
		.amdhsa_exception_fp_denorm_src 0
		.amdhsa_exception_fp_ieee_div_zero 0
		.amdhsa_exception_fp_ieee_overflow 0
		.amdhsa_exception_fp_ieee_underflow 0
		.amdhsa_exception_fp_ieee_inexact 0
		.amdhsa_exception_int_div_zero 0
	.end_amdhsa_kernel
	.section	.text._ZN2at6native12_GLOBAL__N_135GammaBetaBackwardCUDAKernelTemplateIffLj32ELj16ELj128ELb0ELb1ELb0EEEvllPKT_S5_PKT0_S8_PS3_S9_,"axG",@progbits,_ZN2at6native12_GLOBAL__N_135GammaBetaBackwardCUDAKernelTemplateIffLj32ELj16ELj128ELb0ELb1ELb0EEEvllPKT_S5_PKT0_S8_PS3_S9_,comdat
.Lfunc_end66:
	.size	_ZN2at6native12_GLOBAL__N_135GammaBetaBackwardCUDAKernelTemplateIffLj32ELj16ELj128ELb0ELb1ELb0EEEvllPKT_S5_PKT0_S8_PS3_S9_, .Lfunc_end66-_ZN2at6native12_GLOBAL__N_135GammaBetaBackwardCUDAKernelTemplateIffLj32ELj16ELj128ELb0ELb1ELb0EEEvllPKT_S5_PKT0_S8_PS3_S9_
                                        ; -- End function
	.set _ZN2at6native12_GLOBAL__N_135GammaBetaBackwardCUDAKernelTemplateIffLj32ELj16ELj128ELb0ELb1ELb0EEEvllPKT_S5_PKT0_S8_PS3_S9_.num_vgpr, 44
	.set _ZN2at6native12_GLOBAL__N_135GammaBetaBackwardCUDAKernelTemplateIffLj32ELj16ELj128ELb0ELb1ELb0EEEvllPKT_S5_PKT0_S8_PS3_S9_.num_agpr, 0
	.set _ZN2at6native12_GLOBAL__N_135GammaBetaBackwardCUDAKernelTemplateIffLj32ELj16ELj128ELb0ELb1ELb0EEEvllPKT_S5_PKT0_S8_PS3_S9_.numbered_sgpr, 28
	.set _ZN2at6native12_GLOBAL__N_135GammaBetaBackwardCUDAKernelTemplateIffLj32ELj16ELj128ELb0ELb1ELb0EEEvllPKT_S5_PKT0_S8_PS3_S9_.num_named_barrier, 0
	.set _ZN2at6native12_GLOBAL__N_135GammaBetaBackwardCUDAKernelTemplateIffLj32ELj16ELj128ELb0ELb1ELb0EEEvllPKT_S5_PKT0_S8_PS3_S9_.private_seg_size, 0
	.set _ZN2at6native12_GLOBAL__N_135GammaBetaBackwardCUDAKernelTemplateIffLj32ELj16ELj128ELb0ELb1ELb0EEEvllPKT_S5_PKT0_S8_PS3_S9_.uses_vcc, 1
	.set _ZN2at6native12_GLOBAL__N_135GammaBetaBackwardCUDAKernelTemplateIffLj32ELj16ELj128ELb0ELb1ELb0EEEvllPKT_S5_PKT0_S8_PS3_S9_.uses_flat_scratch, 0
	.set _ZN2at6native12_GLOBAL__N_135GammaBetaBackwardCUDAKernelTemplateIffLj32ELj16ELj128ELb0ELb1ELb0EEEvllPKT_S5_PKT0_S8_PS3_S9_.has_dyn_sized_stack, 0
	.set _ZN2at6native12_GLOBAL__N_135GammaBetaBackwardCUDAKernelTemplateIffLj32ELj16ELj128ELb0ELb1ELb0EEEvllPKT_S5_PKT0_S8_PS3_S9_.has_recursion, 0
	.set _ZN2at6native12_GLOBAL__N_135GammaBetaBackwardCUDAKernelTemplateIffLj32ELj16ELj128ELb0ELb1ELb0EEEvllPKT_S5_PKT0_S8_PS3_S9_.has_indirect_call, 0
	.section	.AMDGPU.csdata,"",@progbits
; Kernel info:
; codeLenInByte = 1996
; TotalNumSgprs: 30
; NumVgprs: 44
; ScratchSize: 0
; MemoryBound: 0
; FloatMode: 240
; IeeeMode: 1
; LDSByteSize: 0 bytes/workgroup (compile time only)
; SGPRBlocks: 0
; VGPRBlocks: 5
; NumSGPRsForWavesPerEU: 30
; NumVGPRsForWavesPerEU: 44
; Occupancy: 16
; WaveLimiterHint : 0
; COMPUTE_PGM_RSRC2:SCRATCH_EN: 0
; COMPUTE_PGM_RSRC2:USER_SGPR: 6
; COMPUTE_PGM_RSRC2:TRAP_HANDLER: 0
; COMPUTE_PGM_RSRC2:TGID_X_EN: 1
; COMPUTE_PGM_RSRC2:TGID_Y_EN: 1
; COMPUTE_PGM_RSRC2:TGID_Z_EN: 0
; COMPUTE_PGM_RSRC2:TIDIG_COMP_CNT: 1
	.section	.text._ZN2at6native12_GLOBAL__N_135GammaBetaBackwardCUDAKernelTemplateIffLj32ELj16ELj128ELb0ELb0ELb0EEEvllPKT_S5_PKT0_S8_PS3_S9_,"axG",@progbits,_ZN2at6native12_GLOBAL__N_135GammaBetaBackwardCUDAKernelTemplateIffLj32ELj16ELj128ELb0ELb0ELb0EEEvllPKT_S5_PKT0_S8_PS3_S9_,comdat
	.globl	_ZN2at6native12_GLOBAL__N_135GammaBetaBackwardCUDAKernelTemplateIffLj32ELj16ELj128ELb0ELb0ELb0EEEvllPKT_S5_PKT0_S8_PS3_S9_ ; -- Begin function _ZN2at6native12_GLOBAL__N_135GammaBetaBackwardCUDAKernelTemplateIffLj32ELj16ELj128ELb0ELb0ELb0EEEvllPKT_S5_PKT0_S8_PS3_S9_
	.p2align	8
	.type	_ZN2at6native12_GLOBAL__N_135GammaBetaBackwardCUDAKernelTemplateIffLj32ELj16ELj128ELb0ELb0ELb0EEEvllPKT_S5_PKT0_S8_PS3_S9_,@function
_ZN2at6native12_GLOBAL__N_135GammaBetaBackwardCUDAKernelTemplateIffLj32ELj16ELj128ELb0ELb0ELb0EEEvllPKT_S5_PKT0_S8_PS3_S9_: ; @_ZN2at6native12_GLOBAL__N_135GammaBetaBackwardCUDAKernelTemplateIffLj32ELj16ELj128ELb0ELb0ELb0EEEvllPKT_S5_PKT0_S8_PS3_S9_
; %bb.0:
	s_clause 0x1
	s_load_dwordx8 s[12:19], s[4:5], 0x0
	s_load_dwordx4 s[20:23], s[4:5], 0x20
	s_lshl_b32 s30, s6, 5
	s_mov_b32 s11, 0
	s_or_b32 s10, s30, 31
	s_waitcnt lgkmcnt(0)
	v_cmp_le_i64_e64 s0, s[14:15], s[10:11]
	s_lshl_b32 s10, s7, 7
	v_cmp_gt_i64_e64 s7, s[12:13], s[10:11]
	s_and_b32 vcc_lo, exec_lo, s0
	v_cndmask_b32_e64 v2, 0, 1, s7
	v_cmp_ne_u32_e64 s0, 1, v2
	s_cbranch_vccz .LBB67_49
; %bb.1:
	v_mov_b32_e32 v49, 0
	v_mov_b32_e32 v55, 0
	s_and_b32 vcc_lo, exec_lo, s0
	s_cbranch_vccnz .LBB67_50
; %bb.2:
	v_lshlrev_b32_e32 v21, 3, v1
	v_mov_b32_e32 v2, 0
	v_add_nc_u32_e32 v5, s30, v0
	s_load_dword s1, s[4:5], 0x44
	s_add_u32 s2, s4, 64
	v_add_co_u32 v11, s0, v21, s10
	v_add_co_ci_u32_e64 v12, null, 0, 0, s0
	v_mov_b32_e32 v6, v2
	v_mul_lo_u32 v7, s15, v11
	v_mad_u64_u32 v[3:4], null, s14, v11, 0
	v_mul_lo_u32 v8, s14, v12
	v_cmp_gt_i64_e64 s0, s[14:15], v[5:6]
	v_lshlrev_b64 v[19:20], 2, v[5:6]
	s_addc_u32 s3, s5, 0
	v_mov_b32_e32 v56, 0
	v_mov_b32_e32 v49, 0
	s_mov_b64 s[26:27], s[10:11]
	v_add3_u32 v4, v4, v8, v7
	v_add_co_u32 v7, vcc_lo, v11, 7
	v_add_co_ci_u32_e64 v8, null, 0, v12, vcc_lo
	v_lshlrev_b64 v[5:6], 2, v[3:4]
	v_mul_lo_u32 v13, s15, v7
	s_waitcnt lgkmcnt(0)
	s_lshl_b32 s28, s1, 7
	v_mul_lo_u32 v14, s14, v8
	v_mad_u64_u32 v[7:8], null, s14, v7, 0
	v_add_co_u32 v22, vcc_lo, s16, v5
	v_add_co_ci_u32_e64 v23, null, s17, v6, vcc_lo
	v_add_co_u32 v9, vcc_lo, v11, 6
	v_add_co_ci_u32_e64 v10, null, 0, v12, vcc_lo
	v_add_co_u32 v24, vcc_lo, s18, v5
	v_mul_lo_u32 v15, s15, v9
	v_mul_lo_u32 v16, s14, v10
	v_mad_u64_u32 v[9:10], null, s14, v9, 0
	v_add3_u32 v8, v8, v14, v13
	v_add_co_ci_u32_e64 v25, null, s19, v6, vcc_lo
	v_add_co_u32 v13, vcc_lo, v11, 5
	v_add_co_ci_u32_e64 v14, null, 0, v12, vcc_lo
	v_add3_u32 v10, v10, v16, v15
	v_lshlrev_b64 v[5:6], 2, v[7:8]
	v_mul_lo_u32 v15, s15, v13
	v_mul_lo_u32 v14, s14, v14
	s_mul_i32 s1, s15, s28
	v_lshlrev_b64 v[7:8], 2, v[9:10]
	v_mad_u64_u32 v[9:10], null, s14, v13, 0
	v_add_co_u32 v26, vcc_lo, s16, v5
	v_add_co_ci_u32_e64 v27, null, s17, v6, vcc_lo
	v_add_co_u32 v28, vcc_lo, s18, v5
	v_add_co_ci_u32_e64 v29, null, s19, v6, vcc_lo
	v_add_co_u32 v30, vcc_lo, s16, v7
	v_add3_u32 v10, v10, v14, v15
	s_mul_hi_u32 s8, s14, s28
	v_add_co_ci_u32_e64 v31, null, s17, v8, vcc_lo
	v_add_co_u32 v13, vcc_lo, v11, 4
	s_add_i32 s9, s8, s1
	v_add_co_u32 v32, s1, s18, v7
	v_add_co_ci_u32_e64 v7, null, 0, v12, vcc_lo
	v_lshlrev_b64 v[5:6], 2, v[9:10]
	v_add_co_u32 v9, vcc_lo, v11, 3
	v_add_co_ci_u32_e64 v10, null, 0, v12, vcc_lo
	v_add_co_ci_u32_e64 v33, null, s19, v8, s1
	v_mul_lo_u32 v14, s15, v13
	v_mul_lo_u32 v15, s14, v7
	v_mad_u64_u32 v[7:8], null, s14, v13, 0
	v_mul_lo_u32 v13, s15, v9
	v_mul_lo_u32 v16, s14, v10
	v_mad_u64_u32 v[9:10], null, s14, v9, 0
	v_add_co_u32 v34, vcc_lo, s16, v5
	v_add_co_ci_u32_e64 v35, null, s17, v6, vcc_lo
	v_add3_u32 v8, v8, v15, v14
	v_add_co_u32 v36, vcc_lo, s18, v5
	v_add_co_ci_u32_e64 v37, null, s19, v6, vcc_lo
	v_add_co_u32 v11, vcc_lo, v11, 2
	v_add3_u32 v10, v10, v16, v13
	v_add_co_ci_u32_e64 v12, null, 0, v12, vcc_lo
	v_lshlrev_b64 v[5:6], 2, v[7:8]
	v_mul_lo_u32 v13, s15, v11
	v_lshlrev_b64 v[7:8], 2, v[9:10]
	v_mul_lo_u32 v12, s14, v12
	v_mad_u64_u32 v[9:10], null, s14, v11, 0
	v_add_co_u32 v38, vcc_lo, s16, v5
	v_add_co_ci_u32_e64 v39, null, s17, v6, vcc_lo
	v_add_co_u32 v40, vcc_lo, s18, v5
	v_add_co_ci_u32_e64 v41, null, s19, v6, vcc_lo
	;; [unrolled: 2-line block ×3, first 2 shown]
	v_add3_u32 v10, v10, v12, v13
	v_add_co_u32 v44, vcc_lo, s18, v7
	v_add_co_ci_u32_e64 v45, null, s19, v8, vcc_lo
	v_add_co_u32 v3, vcc_lo, v3, s14
	v_add_co_ci_u32_e64 v4, null, s15, v4, vcc_lo
	v_lshlrev_b64 v[5:6], 2, v[9:10]
	s_mul_i32 s8, s14, s28
	v_lshlrev_b64 v[3:4], 2, v[3:4]
	s_lshl_b64 s[8:9], s[8:9], 2
	s_add_u32 s24, s10, 0x7f
	v_add_co_u32 v46, vcc_lo, s16, v5
	v_add_co_ci_u32_e64 v47, null, s17, v6, vcc_lo
	v_add_co_u32 v48, vcc_lo, s18, v5
	v_add_co_ci_u32_e64 v50, null, s19, v6, vcc_lo
	;; [unrolled: 2-line block ×4, first 2 shown]
	s_addc_u32 s25, 0, 0
.LBB67_3:                               ; =>This Inner Loop Header: Depth=1
	v_cmp_ge_i64_e64 s1, s[24:25], s[12:13]
	v_add_co_u32 v57, s29, v21, s24
	v_add_co_ci_u32_e64 v58, null, 0, s25, s29
                                        ; implicit-def: $vgpr3_vgpr4_vgpr5_vgpr6_vgpr7_vgpr8_vgpr9_vgpr10
                                        ; implicit-def: $vgpr60
                                        ; implicit-def: $vgpr11_vgpr12_vgpr13_vgpr14_vgpr15_vgpr16_vgpr17_vgpr18
                                        ; implicit-def: $vgpr3
	s_and_b32 vcc_lo, exec_lo, s1
	s_mov_b32 s1, -1
                                        ; implicit-def: $vgpr4
                                        ; implicit-def: $vgpr55
	s_cbranch_vccz .LBB67_25
; %bb.4:                                ;   in Loop: Header=BB67_3 Depth=1
	s_load_dword s1, s[2:3], 0xc
	v_mov_b32_e32 v60, 0
	v_mov_b32_e32 v59, 0
	s_waitcnt lgkmcnt(0)
	s_and_b32 s1, s1, 0xffff
	v_mad_u32_u24 v3, v1, s1, v0
	s_mov_b32 s1, exec_lo
	v_and_b32_e32 v3, 31, v3
	v_cmpx_gt_u32_e32 8, v3
	s_cbranch_execz .LBB67_8
; %bb.5:                                ;   in Loop: Header=BB67_3 Depth=1
	v_add_co_u32 v3, vcc_lo, v57, v3
	v_add_co_ci_u32_e64 v4, null, 0, v58, vcc_lo
	v_mov_b32_e32 v59, 0
	v_add_co_u32 v3, vcc_lo, 0xffffff81, v3
	v_add_co_ci_u32_e64 v4, null, -1, v4, vcc_lo
	v_mov_b32_e32 v60, 0
	s_mov_b32 s29, exec_lo
	v_cmpx_gt_i64_e64 s[12:13], v[3:4]
	s_cbranch_execz .LBB67_7
; %bb.6:                                ;   in Loop: Header=BB67_3 Depth=1
	v_lshlrev_b64 v[3:4], 2, v[3:4]
	v_add_co_u32 v5, vcc_lo, s20, v3
	v_add_co_ci_u32_e64 v6, null, s21, v4, vcc_lo
	v_add_co_u32 v3, vcc_lo, s22, v3
	v_add_co_ci_u32_e64 v4, null, s23, v4, vcc_lo
	global_load_dword v59, v[5:6], off
	global_load_dword v60, v[3:4], off
.LBB67_7:                               ;   in Loop: Header=BB67_3 Depth=1
	s_or_b32 exec_lo, exec_lo, s29
.LBB67_8:                               ;   in Loop: Header=BB67_3 Depth=1
	s_or_b32 exec_lo, exec_lo, s1
	v_add_co_u32 v10, vcc_lo, 0xffffff81, v57
	v_add_co_ci_u32_e64 v11, null, -1, v58, vcc_lo
	v_mov_b32_e32 v9, v2
	v_mov_b32_e32 v3, v2
	;; [unrolled: 1-line block ×7, first 2 shown]
	v_cmp_gt_i64_e32 vcc_lo, s[12:13], v[10:11]
	v_mov_b32_e32 v18, v9
	v_mov_b32_e32 v15, v6
	;; [unrolled: 1-line block ×16, first 2 shown]
	s_and_b32 s29, s0, vcc_lo
	s_and_saveexec_b32 s1, s29
	s_cbranch_execz .LBB67_10
; %bb.9:                                ;   in Loop: Header=BB67_3 Depth=1
	v_add_co_u32 v3, vcc_lo, v22, v19
	v_add_co_ci_u32_e64 v4, null, v23, v20, vcc_lo
	v_add_co_u32 v5, vcc_lo, v24, v19
	v_add_co_ci_u32_e64 v6, null, v25, v20, vcc_lo
	global_load_dword v3, v[3:4], off
	global_load_dword v11, v[5:6], off
	v_mov_b32_e32 v4, v2
	v_mov_b32_e32 v5, v2
	;; [unrolled: 1-line block ×14, first 2 shown]
.LBB67_10:                              ;   in Loop: Header=BB67_3 Depth=1
	s_or_b32 exec_lo, exec_lo, s1
	v_add_co_u32 v61, vcc_lo, 0xffffff82, v57
	v_add_co_ci_u32_e64 v62, null, -1, v58, vcc_lo
	v_cmp_gt_i64_e32 vcc_lo, s[12:13], v[61:62]
	s_and_b32 s29, s0, vcc_lo
	s_and_saveexec_b32 s1, s29
	s_cbranch_execz .LBB67_12
; %bb.11:                               ;   in Loop: Header=BB67_3 Depth=1
	v_add_co_u32 v61, vcc_lo, v51, v19
	v_add_co_ci_u32_e64 v62, null, v52, v20, vcc_lo
	v_add_co_u32 v63, vcc_lo, v53, v19
	v_add_co_ci_u32_e64 v64, null, v54, v20, vcc_lo
	global_load_dword v4, v[61:62], off
	global_load_dword v12, v[63:64], off
.LBB67_12:                              ;   in Loop: Header=BB67_3 Depth=1
	s_or_b32 exec_lo, exec_lo, s1
	v_add_co_u32 v61, vcc_lo, 0xffffff83, v57
	v_add_co_ci_u32_e64 v62, null, -1, v58, vcc_lo
	v_cmp_gt_i64_e32 vcc_lo, s[12:13], v[61:62]
	s_and_b32 s29, s0, vcc_lo
	s_and_saveexec_b32 s1, s29
	s_cbranch_execz .LBB67_14
; %bb.13:                               ;   in Loop: Header=BB67_3 Depth=1
	v_add_co_u32 v61, vcc_lo, v46, v19
	v_add_co_ci_u32_e64 v62, null, v47, v20, vcc_lo
	v_add_co_u32 v63, vcc_lo, v48, v19
	v_add_co_ci_u32_e64 v64, null, v50, v20, vcc_lo
	global_load_dword v5, v[61:62], off
	global_load_dword v13, v[63:64], off
.LBB67_14:                              ;   in Loop: Header=BB67_3 Depth=1
	;; [unrolled: 15-line block ×7, first 2 shown]
	s_or_b32 exec_lo, exec_lo, s1
	s_waitcnt vmcnt(1)
	ds_bpermute_b32 v55, v2, v59
	ds_bpermute_b32 v61, v2, v59 offset:4
	ds_bpermute_b32 v62, v2, v59 offset:8
	s_waitcnt vmcnt(0)
	ds_bpermute_b32 v63, v2, v60
	ds_bpermute_b32 v64, v2, v59 offset:12
	ds_bpermute_b32 v65, v2, v60 offset:4
	;; [unrolled: 1-line block ×4, first 2 shown]
	v_add_f32_e32 v68, v49, v3
	ds_bpermute_b32 v69, v2, v60 offset:12
	ds_bpermute_b32 v70, v2, v59 offset:20
	s_mov_b32 s1, 0
	s_waitcnt lgkmcnt(9)
	v_sub_f32_e32 v11, v11, v55
	s_waitcnt lgkmcnt(8)
	v_sub_f32_e32 v12, v12, v61
	ds_bpermute_b32 v61, v2, v59 offset:24
	s_waitcnt lgkmcnt(8)
	v_sub_f32_e32 v13, v13, v62
	ds_bpermute_b32 v62, v2, v60 offset:20
	v_mul_f32_e32 v3, v3, v11
	ds_bpermute_b32 v11, v2, v60 offset:16
	v_mul_f32_e32 v12, v4, v12
	v_mul_f32_e32 v13, v5, v13
	v_add_f32_e32 v4, v4, v68
	s_waitcnt lgkmcnt(9)
	v_fma_f32 v55, v3, v63, v56
	s_waitcnt lgkmcnt(8)
	v_sub_f32_e32 v3, v14, v64
	ds_bpermute_b32 v63, v2, v60 offset:24
	ds_bpermute_b32 v60, v2, v60 offset:28
	v_add_f32_e32 v4, v5, v4
	s_waitcnt lgkmcnt(9)
	v_fmac_f32_e32 v55, v12, v65
	s_waitcnt lgkmcnt(8)
	v_sub_f32_e32 v12, v15, v66
	v_mul_f32_e32 v14, v6, v3
	ds_bpermute_b32 v3, v2, v59 offset:28
	s_waitcnt lgkmcnt(6)
	v_sub_f32_e32 v5, v16, v70
	v_fmac_f32_e32 v55, v13, v67
	v_mul_f32_e32 v12, v7, v12
	v_add_f32_e32 v4, v6, v4
	s_waitcnt lgkmcnt(5)
	v_sub_f32_e32 v6, v17, v61
	v_mul_f32_e32 v5, v8, v5
	v_fmac_f32_e32 v55, v14, v69
	v_add_f32_e32 v4, v7, v4
	v_mul_f32_e32 v6, v9, v6
	s_waitcnt lgkmcnt(3)
	v_fmac_f32_e32 v55, v12, v11
	v_add_f32_e32 v4, v8, v4
	v_fmac_f32_e32 v55, v5, v62
	v_add_f32_e32 v4, v9, v4
	s_waitcnt lgkmcnt(2)
	v_fmac_f32_e32 v55, v6, v63
.LBB67_25:                              ;   in Loop: Header=BB67_3 Depth=1
	s_and_b32 vcc_lo, exec_lo, s1
	s_cbranch_vccz .LBB67_40
; %bb.26:                               ;   in Loop: Header=BB67_3 Depth=1
	s_load_dword s1, s[2:3], 0x0
	v_mov_b32_e32 v59, 0
	v_mov_b32_e32 v55, 0
	s_waitcnt lgkmcnt(0)
	s_cmp_lt_u32 s6, s1
	s_cselect_b32 s1, 12, 18
	s_add_u32 s34, s2, s1
	s_addc_u32 s35, s3, 0
	s_mov_b32 s1, exec_lo
	global_load_ushort v3, v2, s[34:35]
	s_waitcnt vmcnt(0)
	v_mad_u32_u24 v3, v1, v3, v0
	v_and_b32_e32 v3, 31, v3
	v_cmpx_gt_u32_e32 8, v3
	s_cbranch_execz .LBB67_30
; %bb.27:                               ;   in Loop: Header=BB67_3 Depth=1
	v_add_co_u32 v3, vcc_lo, v57, v3
	v_add_co_ci_u32_e64 v4, null, 0, v58, vcc_lo
	v_mov_b32_e32 v55, 0
	v_add_co_u32 v3, vcc_lo, 0xffffff81, v3
	v_add_co_ci_u32_e64 v4, null, -1, v4, vcc_lo
	v_mov_b32_e32 v59, 0
	s_mov_b32 s29, exec_lo
	v_cmpx_gt_i64_e64 s[12:13], v[3:4]
	s_cbranch_execz .LBB67_29
; %bb.28:                               ;   in Loop: Header=BB67_3 Depth=1
	v_lshlrev_b64 v[3:4], 2, v[3:4]
	v_add_co_u32 v5, vcc_lo, s20, v3
	v_add_co_ci_u32_e64 v6, null, s21, v4, vcc_lo
	v_add_co_u32 v3, vcc_lo, s22, v3
	v_add_co_ci_u32_e64 v4, null, s23, v4, vcc_lo
	global_load_dword v55, v[5:6], off
	global_load_dword v59, v[3:4], off
.LBB67_29:                              ;   in Loop: Header=BB67_3 Depth=1
	s_or_b32 exec_lo, exec_lo, s29
.LBB67_30:                              ;   in Loop: Header=BB67_3 Depth=1
	s_or_b32 exec_lo, exec_lo, s1
	v_mov_b32_e32 v9, v2
	v_mov_b32_e32 v3, v2
	;; [unrolled: 1-line block ×23, first 2 shown]
	s_and_saveexec_b32 s1, s0
	s_cbranch_execnz .LBB67_42
; %bb.31:                               ;   in Loop: Header=BB67_3 Depth=1
	s_or_b32 exec_lo, exec_lo, s1
	s_and_saveexec_b32 s1, s0
	s_cbranch_execnz .LBB67_43
.LBB67_32:                              ;   in Loop: Header=BB67_3 Depth=1
	s_or_b32 exec_lo, exec_lo, s1
	s_and_saveexec_b32 s1, s0
	s_cbranch_execnz .LBB67_44
.LBB67_33:                              ;   in Loop: Header=BB67_3 Depth=1
	s_or_b32 exec_lo, exec_lo, s1
	s_and_saveexec_b32 s1, s0
	s_cbranch_execnz .LBB67_45
.LBB67_34:                              ;   in Loop: Header=BB67_3 Depth=1
	s_or_b32 exec_lo, exec_lo, s1
	s_and_saveexec_b32 s1, s0
	s_cbranch_execnz .LBB67_46
.LBB67_35:                              ;   in Loop: Header=BB67_3 Depth=1
	s_or_b32 exec_lo, exec_lo, s1
	s_and_saveexec_b32 s1, s0
	s_cbranch_execnz .LBB67_47
.LBB67_36:                              ;   in Loop: Header=BB67_3 Depth=1
	s_or_b32 exec_lo, exec_lo, s1
	s_and_saveexec_b32 s1, s0
	s_cbranch_execnz .LBB67_48
.LBB67_37:                              ;   in Loop: Header=BB67_3 Depth=1
	s_or_b32 exec_lo, exec_lo, s1
	s_and_saveexec_b32 s1, s0
	s_cbranch_execz .LBB67_39
.LBB67_38:                              ;   in Loop: Header=BB67_3 Depth=1
	v_add_co_u32 v57, vcc_lo, v26, v19
	v_add_co_ci_u32_e64 v58, null, v27, v20, vcc_lo
	v_add_co_u32 v60, vcc_lo, v28, v19
	v_add_co_ci_u32_e64 v61, null, v29, v20, vcc_lo
	global_load_dword v10, v[57:58], off
	global_load_dword v18, v[60:61], off
.LBB67_39:                              ;   in Loop: Header=BB67_3 Depth=1
	s_or_b32 exec_lo, exec_lo, s1
	s_waitcnt vmcnt(1)
	ds_bpermute_b32 v57, v2, v55
	ds_bpermute_b32 v58, v2, v55 offset:4
	ds_bpermute_b32 v60, v2, v55 offset:8
	s_waitcnt vmcnt(0)
	ds_bpermute_b32 v61, v2, v59
	ds_bpermute_b32 v62, v2, v55 offset:12
	ds_bpermute_b32 v63, v2, v59 offset:4
	;; [unrolled: 1-line block ×5, first 2 shown]
	s_waitcnt lgkmcnt(8)
	v_sub_f32_e32 v11, v11, v57
	ds_bpermute_b32 v57, v2, v59 offset:12
	s_waitcnt lgkmcnt(8)
	v_sub_f32_e32 v12, v12, v58
	s_waitcnt lgkmcnt(7)
	v_sub_f32_e32 v13, v13, v60
	ds_bpermute_b32 v58, v2, v59 offset:20
	v_mul_f32_e32 v11, v3, v11
	v_add_f32_e32 v3, v49, v3
	ds_bpermute_b32 v49, v2, v59 offset:16
	v_mul_f32_e32 v12, v4, v12
	s_waitcnt lgkmcnt(7)
	v_sub_f32_e32 v14, v14, v62
	v_fmac_f32_e32 v56, v11, v61
	ds_bpermute_b32 v11, v2, v55 offset:24
	v_mul_f32_e32 v13, v5, v13
	v_add_f32_e32 v3, v4, v3
	s_waitcnt lgkmcnt(6)
	v_sub_f32_e32 v4, v15, v64
	v_fmac_f32_e32 v56, v12, v63
	v_mul_f32_e32 v12, v6, v14
	s_waitcnt lgkmcnt(4)
	v_sub_f32_e32 v14, v16, v66
	v_add_f32_e32 v5, v5, v3
	v_mul_f32_e32 v4, v7, v4
	v_fmac_f32_e32 v56, v13, v65
	ds_bpermute_b32 v13, v2, v59 offset:24
	ds_bpermute_b32 v60, v2, v59 offset:28
	;; [unrolled: 1-line block ×3, first 2 shown]
	v_add_f32_e32 v5, v6, v5
	s_waitcnt lgkmcnt(6)
	v_fmac_f32_e32 v56, v12, v57
	v_mul_f32_e32 v6, v8, v14
	v_add_f32_e32 v5, v7, v5
	s_waitcnt lgkmcnt(4)
	v_fmac_f32_e32 v56, v4, v49
	s_waitcnt lgkmcnt(3)
	v_sub_f32_e32 v4, v17, v11
	v_add_f32_e32 v5, v8, v5
	v_fmac_f32_e32 v56, v6, v58
	v_mul_f32_e32 v4, v9, v4
	s_waitcnt lgkmcnt(2)
	v_fmac_f32_e32 v56, v4, v13
	v_add_f32_e32 v4, v9, v5
	v_mov_b32_e32 v55, v56
.LBB67_40:                              ;   in Loop: Header=BB67_3 Depth=1
	v_add_co_u32 v22, vcc_lo, v22, s8
	v_add_co_ci_u32_e64 v23, null, s9, v23, vcc_lo
	v_add_co_u32 v24, vcc_lo, v24, s8
	v_add_co_ci_u32_e64 v25, null, s9, v25, vcc_lo
	;; [unrolled: 2-line block ×10, first 2 shown]
	v_add_co_u32 v42, vcc_lo, v42, s8
	s_waitcnt lgkmcnt(0)
	v_sub_f32_e32 v3, v18, v3
	v_add_co_ci_u32_e64 v43, null, s9, v43, vcc_lo
	v_add_co_u32 v44, vcc_lo, v44, s8
	v_add_co_ci_u32_e64 v45, null, s9, v45, vcc_lo
	v_add_co_u32 v46, vcc_lo, v46, s8
	s_add_u32 s26, s26, s28
	v_add_co_ci_u32_e64 v47, null, s9, v47, vcc_lo
	v_add_co_u32 v48, vcc_lo, v48, s8
	v_mul_f32_e32 v3, v10, v3
	s_addc_u32 s27, s27, 0
	v_add_co_ci_u32_e64 v50, null, s9, v50, vcc_lo
	v_add_co_u32 v51, vcc_lo, v51, s8
	v_cmp_lt_i64_e64 s1, s[26:27], s[12:13]
	v_add_co_ci_u32_e64 v52, null, s9, v52, vcc_lo
	v_add_co_u32 v53, vcc_lo, v53, s8
	v_add_f32_e32 v49, v4, v10
	v_fmac_f32_e32 v55, v3, v60
	v_add_co_ci_u32_e64 v54, null, s9, v54, vcc_lo
	s_add_u32 s24, s24, s28
	s_addc_u32 s25, s25, 0
	s_and_b32 vcc_lo, exec_lo, s1
	s_cbranch_vccz .LBB67_50
; %bb.41:                               ;   in Loop: Header=BB67_3 Depth=1
	v_mov_b32_e32 v56, v55
	s_branch .LBB67_3
.LBB67_42:                              ;   in Loop: Header=BB67_3 Depth=1
	v_add_co_u32 v3, vcc_lo, v22, v19
	v_add_co_ci_u32_e64 v4, null, v23, v20, vcc_lo
	v_add_co_u32 v5, vcc_lo, v24, v19
	v_add_co_ci_u32_e64 v6, null, v25, v20, vcc_lo
	global_load_dword v3, v[3:4], off
	global_load_dword v11, v[5:6], off
	v_mov_b32_e32 v4, v2
	v_mov_b32_e32 v5, v2
	;; [unrolled: 1-line block ×14, first 2 shown]
	s_or_b32 exec_lo, exec_lo, s1
	s_and_saveexec_b32 s1, s0
	s_cbranch_execz .LBB67_32
.LBB67_43:                              ;   in Loop: Header=BB67_3 Depth=1
	v_add_co_u32 v57, vcc_lo, v51, v19
	v_add_co_ci_u32_e64 v58, null, v52, v20, vcc_lo
	v_add_co_u32 v60, vcc_lo, v53, v19
	v_add_co_ci_u32_e64 v61, null, v54, v20, vcc_lo
	global_load_dword v4, v[57:58], off
	global_load_dword v12, v[60:61], off
	s_or_b32 exec_lo, exec_lo, s1
	s_and_saveexec_b32 s1, s0
	s_cbranch_execz .LBB67_33
.LBB67_44:                              ;   in Loop: Header=BB67_3 Depth=1
	v_add_co_u32 v57, vcc_lo, v46, v19
	v_add_co_ci_u32_e64 v58, null, v47, v20, vcc_lo
	v_add_co_u32 v60, vcc_lo, v48, v19
	v_add_co_ci_u32_e64 v61, null, v50, v20, vcc_lo
	global_load_dword v5, v[57:58], off
	global_load_dword v13, v[60:61], off
	s_or_b32 exec_lo, exec_lo, s1
	s_and_saveexec_b32 s1, s0
	s_cbranch_execz .LBB67_34
.LBB67_45:                              ;   in Loop: Header=BB67_3 Depth=1
	v_add_co_u32 v57, vcc_lo, v42, v19
	v_add_co_ci_u32_e64 v58, null, v43, v20, vcc_lo
	v_add_co_u32 v60, vcc_lo, v44, v19
	v_add_co_ci_u32_e64 v61, null, v45, v20, vcc_lo
	global_load_dword v6, v[57:58], off
	global_load_dword v14, v[60:61], off
	s_or_b32 exec_lo, exec_lo, s1
	s_and_saveexec_b32 s1, s0
	s_cbranch_execz .LBB67_35
.LBB67_46:                              ;   in Loop: Header=BB67_3 Depth=1
	v_add_co_u32 v57, vcc_lo, v38, v19
	v_add_co_ci_u32_e64 v58, null, v39, v20, vcc_lo
	v_add_co_u32 v60, vcc_lo, v40, v19
	v_add_co_ci_u32_e64 v61, null, v41, v20, vcc_lo
	global_load_dword v7, v[57:58], off
	global_load_dword v15, v[60:61], off
	s_or_b32 exec_lo, exec_lo, s1
	s_and_saveexec_b32 s1, s0
	s_cbranch_execz .LBB67_36
.LBB67_47:                              ;   in Loop: Header=BB67_3 Depth=1
	v_add_co_u32 v57, vcc_lo, v34, v19
	v_add_co_ci_u32_e64 v58, null, v35, v20, vcc_lo
	v_add_co_u32 v60, vcc_lo, v36, v19
	v_add_co_ci_u32_e64 v61, null, v37, v20, vcc_lo
	global_load_dword v8, v[57:58], off
	global_load_dword v16, v[60:61], off
	s_or_b32 exec_lo, exec_lo, s1
	s_and_saveexec_b32 s1, s0
	s_cbranch_execz .LBB67_37
.LBB67_48:                              ;   in Loop: Header=BB67_3 Depth=1
	v_add_co_u32 v57, vcc_lo, v30, v19
	v_add_co_ci_u32_e64 v58, null, v31, v20, vcc_lo
	v_add_co_u32 v60, vcc_lo, v32, v19
	v_add_co_ci_u32_e64 v61, null, v33, v20, vcc_lo
	global_load_dword v9, v[57:58], off
	global_load_dword v17, v[60:61], off
	s_or_b32 exec_lo, exec_lo, s1
	s_and_saveexec_b32 s1, s0
	s_cbranch_execnz .LBB67_38
	s_branch .LBB67_39
.LBB67_49:
                                        ; implicit-def: $vgpr49
                                        ; implicit-def: $vgpr55
	s_branch .LBB67_51
.LBB67_50:
	s_cbranch_execnz .LBB67_82
.LBB67_51:
	v_mov_b32_e32 v49, 0
	v_mov_b32_e32 v55, 0
	s_andn2_b32 vcc_lo, exec_lo, s7
	s_cbranch_vccnz .LBB67_82
; %bb.52:
	s_load_dword s0, s[4:5], 0x44
	v_lshlrev_b32_e32 v50, 3, v1
	s_add_u32 s24, s4, 64
	s_addc_u32 s25, s5, 0
	v_lshlrev_b32_e32 v6, 5, v1
	v_add_co_u32 v10, s1, v50, s10
	v_add_co_ci_u32_e64 v11, null, 0, 0, s1
	v_mul_lo_u32 v4, s15, v10
	v_mad_u64_u32 v[2:3], null, s14, v10, 0
	v_mul_lo_u32 v5, s14, v11
	s_waitcnt lgkmcnt(0)
	s_lshl_b32 s31, s0, 7
	v_add3_u32 v3, v3, v5, v4
	s_mul_i32 s1, s15, s31
	s_mul_hi_u32 s2, s14, s31
	s_mul_i32 s0, s14, s31
	s_add_i32 s1, s2, s1
	v_lshlrev_b64 v[4:5], 2, v[2:3]
	s_lshl_b64 s[26:27], s[0:1], 2
	s_add_u32 s28, s10, 0x7f
	s_addc_u32 s29, 0, 0
	s_lshl_b64 s[0:1], s[10:11], 2
	v_add_co_u32 v6, s0, v6, s0
	v_add_co_ci_u32_e64 v7, null, 0, s1, s0
	v_add_co_u32 v8, vcc_lo, v6, 4
	v_add_co_ci_u32_e64 v9, null, 0, v7, vcc_lo
	v_add_co_u32 v51, vcc_lo, s16, v4
	v_add_co_ci_u32_e64 v52, null, s17, v5, vcc_lo
	;; [unrolled: 2-line block ×6, first 2 shown]
	v_add_co_u32 v41, vcc_lo, v6, 20
	v_mad_u64_u32 v[21:22], null, s14, v4, s[16:17]
	v_mul_lo_u32 v5, s14, v5
	v_mul_lo_u32 v15, s15, v4
	v_mad_u64_u32 v[35:36], null, s14, v4, s[18:19]
	v_add_co_ci_u32_e64 v29, null, 0, v7, vcc_lo
	v_add_co_u32 v43, vcc_lo, v6, 24
	v_add_co_ci_u32_e64 v31, null, 0, v7, vcc_lo
	v_add_co_u32 v6, vcc_lo, v6, 28
	v_mad_u64_u32 v[19:20], null, s14, v8, s[16:17]
	v_mul_lo_u32 v9, s14, v9
	v_mul_lo_u32 v12, s15, v8
	v_mad_u64_u32 v[33:34], null, s14, v8, s[18:19]
	v_add_co_ci_u32_e64 v7, null, 0, v7, vcc_lo
	v_add_co_u32 v4, vcc_lo, v10, 7
	v_add3_u32 v22, v15, v22, v5
	v_add3_u32 v36, v15, v36, v5
	v_add_co_ci_u32_e64 v5, null, 0, v11, vcc_lo
	v_mul_lo_u32 v57, s14, v7
	v_add_co_u32 v7, vcc_lo, v10, 6
	v_add3_u32 v20, v12, v20, v9
	v_add3_u32 v34, v12, v34, v9
	v_add_co_ci_u32_e64 v12, null, 0, v11, vcc_lo
	v_mul_lo_u32 v8, s15, v4
	v_mul_lo_u32 v9, s14, v5
	v_mad_u64_u32 v[4:5], null, s14, v4, 0
	v_mad_u64_u32 v[23:24], null, s14, v13, s[16:17]
	v_mul_lo_u32 v17, s15, v13
	v_mul_lo_u32 v55, s14, v31
	v_mad_u64_u32 v[31:32], null, s14, v6, s[16:17]
	v_mul_lo_u32 v58, s15, v6
	v_mad_u64_u32 v[37:38], null, s14, v13, s[18:19]
	v_mad_u64_u32 v[45:46], null, s14, v6, s[18:19]
	v_mul_lo_u32 v13, s15, v7
	v_mul_lo_u32 v12, s14, v12
	v_mad_u64_u32 v[6:7], null, s14, v7, 0
	v_add3_u32 v5, v5, v9, v8
	v_add_co_u32 v8, vcc_lo, v10, 5
	v_mul_lo_u32 v48, s14, v29
	v_mad_u64_u32 v[29:30], null, s14, v43, s[16:17]
	v_mul_lo_u32 v56, s15, v43
	v_mad_u64_u32 v[43:44], null, s14, v43, s[18:19]
	v_add3_u32 v7, v7, v12, v13
	v_add_co_ci_u32_e64 v9, null, 0, v11, vcc_lo
	v_lshlrev_b64 v[4:5], 2, v[4:5]
	v_mul_lo_u32 v12, s15, v8
	v_lshlrev_b64 v[6:7], 2, v[6:7]
	v_mul_lo_u32 v13, s14, v9
	v_mad_u64_u32 v[8:9], null, s14, v8, 0
	v_add3_u32 v30, v56, v30, v55
	v_add3_u32 v44, v56, v44, v55
	v_add_co_u32 v56, vcc_lo, s16, v4
	v_add3_u32 v32, v58, v32, v57
	v_add3_u32 v46, v58, v46, v57
	v_add_co_ci_u32_e64 v57, null, s17, v5, vcc_lo
	v_add_co_u32 v58, vcc_lo, s18, v4
	v_add_co_ci_u32_e64 v59, null, s19, v5, vcc_lo
	v_add_co_u32 v60, vcc_lo, s16, v6
	v_add_co_ci_u32_e64 v61, null, s17, v7, vcc_lo
	v_add3_u32 v9, v9, v13, v12
	v_add_co_u32 v12, vcc_lo, v10, 4
	v_add_co_ci_u32_e64 v13, null, 0, v11, vcc_lo
	v_add_co_u32 v62, vcc_lo, s18, v6
	v_add_co_ci_u32_e64 v63, null, s19, v7, vcc_lo
	v_lshlrev_b64 v[4:5], 2, v[8:9]
	v_mul_lo_u32 v8, s15, v12
	v_mul_lo_u32 v9, s14, v13
	v_mad_u64_u32 v[6:7], null, s14, v12, 0
	v_mul_lo_u32 v14, s14, v14
	v_add_co_u32 v12, vcc_lo, v10, 3
	v_add_co_ci_u32_e64 v13, null, 0, v11, vcc_lo
	v_add_co_u32 v64, vcc_lo, s16, v4
	v_add_co_ci_u32_e64 v65, null, s17, v5, vcc_lo
	v_add3_u32 v7, v7, v9, v8
	v_add_co_u32 v10, vcc_lo, v10, 2
	v_add3_u32 v24, v17, v24, v14
	v_add3_u32 v38, v17, v38, v14
	v_mul_lo_u32 v14, s15, v12
	v_mul_lo_u32 v13, s14, v13
	v_mad_u64_u32 v[8:9], null, s14, v12, 0
	v_add_co_ci_u32_e64 v11, null, 0, v11, vcc_lo
	v_add_co_u32 v66, vcc_lo, s18, v4
	v_add_co_ci_u32_e64 v67, null, s19, v5, vcc_lo
	v_lshlrev_b64 v[4:5], 2, v[6:7]
	v_mul_lo_u32 v12, s15, v10
	v_mul_lo_u32 v11, s14, v11
	v_mad_u64_u32 v[6:7], null, s14, v10, 0
	v_add3_u32 v9, v9, v13, v14
	v_add_co_u32 v68, vcc_lo, s16, v4
	v_add_co_ci_u32_e64 v69, null, s17, v5, vcc_lo
	v_add_co_u32 v70, vcc_lo, s18, v4
	v_add_co_ci_u32_e64 v71, null, s19, v5, vcc_lo
	v_lshlrev_b64 v[4:5], 2, v[8:9]
	v_add3_u32 v7, v7, v11, v12
	v_add_co_u32 v2, vcc_lo, v2, s14
	v_add_co_ci_u32_e64 v3, null, s15, v3, vcc_lo
	v_lshlrev_b64 v[6:7], 2, v[6:7]
	v_add_co_u32 v72, vcc_lo, s16, v4
	v_add_co_ci_u32_e64 v73, null, s17, v5, vcc_lo
	v_add_co_u32 v74, vcc_lo, s18, v4
	v_lshlrev_b64 v[3:4], 2, v[2:3]
	v_mov_b32_e32 v2, 0
	v_mad_u64_u32 v[25:26], null, s14, v16, s[16:17]
	v_mul_lo_u32 v18, s14, v18
	v_mul_lo_u32 v47, s15, v16
	v_mad_u64_u32 v[27:28], null, s14, v41, s[16:17]
	v_mul_lo_u32 v49, s15, v41
	v_mad_u64_u32 v[39:40], null, s14, v16, s[18:19]
	v_mad_u64_u32 v[41:42], null, s14, v41, s[18:19]
	v_add_co_ci_u32_e64 v75, null, s19, v5, vcc_lo
	v_add_co_u32 v76, vcc_lo, s16, v6
	v_add_co_ci_u32_e64 v77, null, s17, v7, vcc_lo
	v_add_co_u32 v78, vcc_lo, s18, v6
	v_add_nc_u32_e32 v5, s30, v0
	v_mov_b32_e32 v6, v2
	v_add_co_ci_u32_e64 v79, null, s19, v7, vcc_lo
	v_add_co_u32 v80, vcc_lo, s16, v3
	v_add_co_ci_u32_e64 v81, null, s17, v4, vcc_lo
	v_add_co_u32 v82, vcc_lo, s18, v3
	v_add3_u32 v26, v47, v26, v18
	v_add3_u32 v28, v49, v28, v48
	v_add3_u32 v40, v47, v40, v18
	v_add3_u32 v42, v49, v42, v48
	v_lshlrev_b64 v[47:48], 2, v[5:6]
	v_add_co_ci_u32_e64 v83, null, s19, v4, vcc_lo
	v_mov_b32_e32 v55, 0
	v_mov_b32_e32 v49, 0
	s_branch .LBB67_56
.LBB67_53:                              ;   in Loop: Header=BB67_56 Depth=1
	s_or_b32 exec_lo, exec_lo, s1
.LBB67_54:                              ;   in Loop: Header=BB67_56 Depth=1
	s_or_b32 exec_lo, exec_lo, s0
	v_add_co_u32 v3, vcc_lo, v53, v47
	v_add_co_ci_u32_e64 v4, null, v54, v48, vcc_lo
	v_add_co_u32 v7, vcc_lo, v51, v47
	v_add_co_ci_u32_e64 v8, null, v52, v48, vcc_lo
	global_load_dword v84, v[3:4], off
	global_load_dword v85, v[7:8], off
	v_add_co_u32 v3, vcc_lo, v33, v47
	v_add_co_ci_u32_e64 v4, null, v34, v48, vcc_lo
	v_add_co_u32 v10, s2, v39, v47
	v_add_co_ci_u32_e64 v11, null, v40, v48, s2
	global_load_dword v86, v[3:4], off
	v_add_co_u32 v3, vcc_lo, v19, v47
	v_add_co_ci_u32_e64 v4, null, v20, v48, vcc_lo
	v_add_co_u32 v13, s7, v41, v47
	s_waitcnt vmcnt(4)
	ds_bpermute_b32 v90, v2, v6
	global_load_dword v87, v[3:4], off
	v_add_co_u32 v3, vcc_lo, v35, v47
	v_add_co_ci_u32_e64 v4, null, v36, v48, vcc_lo
	v_add_co_u32 v7, vcc_lo, v21, v47
	v_add_co_ci_u32_e64 v8, null, v22, v48, vcc_lo
	global_load_dword v88, v[3:4], off
	global_load_dword v89, v[7:8], off
	v_add_co_u32 v7, s0, v37, v47
	v_add_co_ci_u32_e64 v8, null, v38, v48, s0
	v_add_co_ci_u32_e64 v14, null, v42, v48, s7
	global_load_dword v11, v[10:11], off
	v_add_co_u32 v3, vcc_lo, v23, v47
	v_add_co_u32 v9, s1, v25, v47
	global_load_dword v91, v[7:8], off
	global_load_dword v14, v[13:14], off
	v_add_co_ci_u32_e64 v4, null, v24, v48, vcc_lo
	v_add_co_ci_u32_e64 v10, null, v26, v48, s1
	s_waitcnt vmcnt(9)
	ds_bpermute_b32 v92, v2, v5
	global_load_dword v93, v[3:4], off
	global_load_dword v9, v[9:10], off
	v_add_co_u32 v12, s3, v27, v47
	v_add_co_u32 v15, s8, v43, v47
	v_add_co_u32 v17, s9, v45, v47
	v_add_co_ci_u32_e64 v13, null, v28, v48, s3
	v_add_co_ci_u32_e64 v16, null, v44, v48, s8
	;; [unrolled: 1-line block ×3, first 2 shown]
	v_add_co_u32 v7, vcc_lo, v29, v47
	global_load_dword v12, v[12:13], off
	v_add_co_ci_u32_e64 v8, null, v30, v48, vcc_lo
	global_load_dword v13, v[15:16], off
	global_load_dword v15, v[17:18], off
	v_add_co_u32 v3, s0, v31, v47
	global_load_dword v7, v[7:8], off
	ds_bpermute_b32 v8, v2, v6 offset:12
	ds_bpermute_b32 v17, v2, v5 offset:12
	;; [unrolled: 1-line block ×3, first 2 shown]
	s_waitcnt vmcnt(14) lgkmcnt(4)
	v_sub_f32_e32 v4, v84, v90
	s_waitcnt vmcnt(13)
	v_add_f32_e32 v16, v49, v85
	ds_bpermute_b32 v49, v2, v5 offset:24
	v_mul_f32_e32 v10, v85, v4
	v_add_co_ci_u32_e64 v4, null, v32, v48, s0
	s_waitcnt lgkmcnt(4)
	v_fmac_f32_e32 v55, v10, v92
	global_load_dword v10, v[3:4], off
	ds_bpermute_b32 v3, v2, v6 offset:4
	ds_bpermute_b32 v4, v2, v5 offset:4
	s_waitcnt vmcnt(12)
	v_add_f32_e32 v16, v16, v87
	s_waitcnt vmcnt(10)
	v_add_f32_e32 v16, v16, v89
	s_waitcnt lgkmcnt(1)
	v_sub_f32_e32 v3, v86, v3
	v_mul_f32_e32 v3, v87, v3
	s_waitcnt vmcnt(8)
	v_sub_f32_e32 v8, v91, v8
	s_waitcnt lgkmcnt(0)
	v_fmac_f32_e32 v55, v3, v4
	ds_bpermute_b32 v3, v2, v6 offset:8
	ds_bpermute_b32 v4, v2, v5 offset:8
	s_waitcnt vmcnt(6)
	v_mul_f32_e32 v8, v93, v8
	s_waitcnt lgkmcnt(1)
	v_sub_f32_e32 v3, v88, v3
	v_mul_f32_e32 v3, v89, v3
	s_waitcnt lgkmcnt(0)
	v_fmac_f32_e32 v55, v3, v4
	ds_bpermute_b32 v3, v2, v6 offset:16
	ds_bpermute_b32 v4, v2, v6 offset:20
	v_fmac_f32_e32 v55, v8, v17
	v_add_f32_e32 v8, v16, v93
	s_waitcnt vmcnt(5)
	v_add_f32_e32 v8, v8, v9
	s_waitcnt lgkmcnt(1)
	v_sub_f32_e32 v3, v11, v3
	ds_bpermute_b32 v11, v2, v6 offset:24
	ds_bpermute_b32 v6, v2, v6 offset:28
	s_waitcnt lgkmcnt(2)
	v_sub_f32_e32 v4, v14, v4
	ds_bpermute_b32 v14, v2, v5 offset:20
	ds_bpermute_b32 v5, v2, v5 offset:28
	v_mul_f32_e32 v3, v9, v3
	s_waitcnt vmcnt(4)
	v_mul_f32_e32 v4, v12, v4
	v_fmac_f32_e32 v55, v3, v18
	s_waitcnt vmcnt(3) lgkmcnt(3)
	v_sub_f32_e32 v3, v13, v11
	s_waitcnt vmcnt(2) lgkmcnt(2)
	v_sub_f32_e32 v6, v15, v6
	s_waitcnt lgkmcnt(1)
	v_fmac_f32_e32 v55, v4, v14
	v_add_f32_e32 v4, v8, v12
	s_waitcnt vmcnt(1)
	v_mul_f32_e32 v3, v7, v3
	v_fmac_f32_e32 v55, v3, v49
	v_add_f32_e32 v3, v4, v7
	v_mov_b32_e32 v11, v55
	s_waitcnt vmcnt(0)
	v_mul_f32_e32 v6, v10, v6
	s_waitcnt lgkmcnt(0)
	v_mul_f32_e32 v4, v6, v5
.LBB67_55:                              ;   in Loop: Header=BB67_56 Depth=1
	v_add_co_u32 v51, vcc_lo, v51, s26
	v_add_co_ci_u32_e64 v52, null, s27, v52, vcc_lo
	v_add_co_u32 v53, vcc_lo, v53, s26
	v_add_co_ci_u32_e64 v54, null, s27, v54, vcc_lo
	;; [unrolled: 2-line block ×26, first 2 shown]
	v_add_co_u32 v76, vcc_lo, v76, s26
	s_add_u32 s10, s10, s31
	v_add_co_ci_u32_e64 v77, null, s27, v77, vcc_lo
	v_add_co_u32 v78, vcc_lo, v78, s26
	s_addc_u32 s11, s11, 0
	v_add_co_ci_u32_e64 v79, null, s27, v79, vcc_lo
	v_add_co_u32 v80, vcc_lo, v80, s26
	v_cmp_ge_i64_e64 s0, s[10:11], s[12:13]
	v_add_co_ci_u32_e64 v81, null, s27, v81, vcc_lo
	v_add_co_u32 v82, vcc_lo, v82, s26
	v_add_f32_e32 v55, v11, v4
	v_add_f32_e32 v49, v3, v10
	v_add_co_ci_u32_e64 v83, null, s27, v83, vcc_lo
	s_add_u32 s28, s28, s31
	s_addc_u32 s29, s29, 0
	s_and_b32 vcc_lo, exec_lo, s0
	s_cbranch_vccnz .LBB67_82
.LBB67_56:                              ; =>This Inner Loop Header: Depth=1
	v_cmp_ge_i64_e64 s0, s[28:29], s[12:13]
	v_add_co_u32 v84, s1, v50, s28
	v_add_co_ci_u32_e64 v85, null, 0, s29, s1
                                        ; implicit-def: $vgpr10
                                        ; implicit-def: $vgpr4
                                        ; implicit-def: $vgpr3
                                        ; implicit-def: $vgpr11
	s_and_b32 vcc_lo, exec_lo, s0
	s_mov_b32 s0, -1
	s_cbranch_vccz .LBB67_78
; %bb.57:                               ;   in Loop: Header=BB67_56 Depth=1
	s_load_dword s0, s[24:25], 0xc
	v_mov_b32_e32 v87, 0
	v_mov_b32_e32 v86, 0
	s_waitcnt lgkmcnt(0)
	s_and_b32 s0, s0, 0xffff
	v_mad_u32_u24 v3, v1, s0, v0
	s_mov_b32 s0, exec_lo
	v_and_b32_e32 v3, 31, v3
	v_cmpx_gt_u32_e32 8, v3
	s_cbranch_execz .LBB67_61
; %bb.58:                               ;   in Loop: Header=BB67_56 Depth=1
	v_add_co_u32 v3, vcc_lo, v84, v3
	v_add_co_ci_u32_e64 v4, null, 0, v85, vcc_lo
	v_mov_b32_e32 v86, 0
	v_add_co_u32 v3, vcc_lo, 0xffffff81, v3
	v_add_co_ci_u32_e64 v4, null, -1, v4, vcc_lo
	v_mov_b32_e32 v87, 0
	s_mov_b32 s1, exec_lo
	v_cmpx_gt_i64_e64 s[12:13], v[3:4]
	s_cbranch_execz .LBB67_60
; %bb.59:                               ;   in Loop: Header=BB67_56 Depth=1
	v_lshlrev_b64 v[3:4], 2, v[3:4]
	v_add_co_u32 v5, vcc_lo, s20, v3
	v_add_co_ci_u32_e64 v6, null, s21, v4, vcc_lo
	v_add_co_u32 v3, vcc_lo, s22, v3
	v_add_co_ci_u32_e64 v4, null, s23, v4, vcc_lo
	global_load_dword v86, v[5:6], off
	global_load_dword v87, v[3:4], off
.LBB67_60:                              ;   in Loop: Header=BB67_56 Depth=1
	s_or_b32 exec_lo, exec_lo, s1
.LBB67_61:                              ;   in Loop: Header=BB67_56 Depth=1
	s_or_b32 exec_lo, exec_lo, s0
	v_add_co_u32 v10, vcc_lo, 0xffffff81, v84
	v_add_co_ci_u32_e64 v11, null, -1, v85, vcc_lo
	v_mov_b32_e32 v9, v2
	v_mov_b32_e32 v3, v2
	v_mov_b32_e32 v4, v2
	v_mov_b32_e32 v5, v2
	v_mov_b32_e32 v6, v2
	v_mov_b32_e32 v7, v2
	v_mov_b32_e32 v8, v2
	v_cmp_gt_i64_e32 vcc_lo, s[12:13], v[10:11]
	v_mov_b32_e32 v18, v9
	v_mov_b32_e32 v15, v6
	;; [unrolled: 1-line block ×16, first 2 shown]
	s_and_saveexec_b32 s0, vcc_lo
	s_cbranch_execz .LBB67_63
; %bb.62:                               ;   in Loop: Header=BB67_56 Depth=1
	v_add_co_u32 v3, vcc_lo, v51, v47
	v_add_co_ci_u32_e64 v4, null, v52, v48, vcc_lo
	v_add_co_u32 v5, vcc_lo, v53, v47
	v_add_co_ci_u32_e64 v6, null, v54, v48, vcc_lo
	global_load_dword v3, v[3:4], off
	global_load_dword v11, v[5:6], off
	v_mov_b32_e32 v4, v2
	v_mov_b32_e32 v5, v2
	;; [unrolled: 1-line block ×14, first 2 shown]
.LBB67_63:                              ;   in Loop: Header=BB67_56 Depth=1
	s_or_b32 exec_lo, exec_lo, s0
	v_add_co_u32 v88, vcc_lo, 0xffffff82, v84
	v_add_co_ci_u32_e64 v89, null, -1, v85, vcc_lo
	s_mov_b32 s0, exec_lo
	v_cmpx_gt_i64_e64 s[12:13], v[88:89]
	s_cbranch_execz .LBB67_65
; %bb.64:                               ;   in Loop: Header=BB67_56 Depth=1
	v_add_co_u32 v88, vcc_lo, v80, v47
	v_add_co_ci_u32_e64 v89, null, v81, v48, vcc_lo
	v_add_co_u32 v90, vcc_lo, v82, v47
	v_add_co_ci_u32_e64 v91, null, v83, v48, vcc_lo
	global_load_dword v4, v[88:89], off
	global_load_dword v12, v[90:91], off
.LBB67_65:                              ;   in Loop: Header=BB67_56 Depth=1
	s_or_b32 exec_lo, exec_lo, s0
	v_add_co_u32 v88, vcc_lo, 0xffffff83, v84
	v_add_co_ci_u32_e64 v89, null, -1, v85, vcc_lo
	s_mov_b32 s0, exec_lo
	v_cmpx_gt_i64_e64 s[12:13], v[88:89]
	s_cbranch_execz .LBB67_67
; %bb.66:                               ;   in Loop: Header=BB67_56 Depth=1
	v_add_co_u32 v88, vcc_lo, v76, v47
	v_add_co_ci_u32_e64 v89, null, v77, v48, vcc_lo
	v_add_co_u32 v90, vcc_lo, v78, v47
	v_add_co_ci_u32_e64 v91, null, v79, v48, vcc_lo
	global_load_dword v5, v[88:89], off
	global_load_dword v13, v[90:91], off
.LBB67_67:                              ;   in Loop: Header=BB67_56 Depth=1
	;; [unrolled: 14-line block ×7, first 2 shown]
	s_or_b32 exec_lo, exec_lo, s0
	s_waitcnt vmcnt(1)
	ds_bpermute_b32 v89, v2, v86
	s_waitcnt vmcnt(0)
	ds_bpermute_b32 v88, v2, v87
	s_mov_b32 s0, 0
	s_waitcnt lgkmcnt(1)
	v_sub_f32_e32 v11, v11, v89
	ds_bpermute_b32 v89, v2, v86 offset:4
	v_mul_f32_e32 v11, v3, v11
	v_add_f32_e32 v3, v49, v3
	s_waitcnt lgkmcnt(1)
	v_fma_f32 v11, v11, v88, v55
	ds_bpermute_b32 v88, v2, v87 offset:4
	v_add_f32_e32 v3, v4, v3
	v_add_f32_e32 v3, v5, v3
	s_waitcnt lgkmcnt(1)
	v_sub_f32_e32 v12, v12, v89
	v_add_f32_e32 v3, v6, v3
	v_mul_f32_e32 v12, v4, v12
	ds_bpermute_b32 v4, v2, v87 offset:8
	v_add_f32_e32 v3, v7, v3
	s_waitcnt lgkmcnt(1)
	v_fmac_f32_e32 v11, v12, v88
	ds_bpermute_b32 v12, v2, v86 offset:8
	v_add_f32_e32 v3, v8, v3
	v_add_f32_e32 v3, v9, v3
	s_waitcnt lgkmcnt(0)
	v_sub_f32_e32 v12, v13, v12
	v_mul_f32_e32 v12, v5, v12
	ds_bpermute_b32 v5, v2, v86 offset:12
	v_fmac_f32_e32 v11, v12, v4
	ds_bpermute_b32 v4, v2, v87 offset:12
	s_waitcnt lgkmcnt(1)
	v_sub_f32_e32 v5, v14, v5
	v_mul_f32_e32 v5, v6, v5
	s_waitcnt lgkmcnt(0)
	v_fmac_f32_e32 v11, v5, v4
	ds_bpermute_b32 v5, v2, v86 offset:16
	ds_bpermute_b32 v4, v2, v87 offset:16
	s_waitcnt lgkmcnt(1)
	v_sub_f32_e32 v5, v15, v5
	v_mul_f32_e32 v5, v7, v5
	s_waitcnt lgkmcnt(0)
	v_fmac_f32_e32 v11, v5, v4
	ds_bpermute_b32 v5, v2, v86 offset:20
	;; [unrolled: 7-line block ×4, first 2 shown]
	ds_bpermute_b32 v4, v2, v87 offset:28
	s_waitcnt lgkmcnt(1)
	v_sub_f32_e32 v5, v18, v5
	v_mul_f32_e32 v5, v10, v5
	s_waitcnt lgkmcnt(0)
	v_mul_f32_e32 v4, v5, v4
.LBB67_78:                              ;   in Loop: Header=BB67_56 Depth=1
	s_and_b32 vcc_lo, exec_lo, s0
	s_cbranch_vccz .LBB67_55
; %bb.79:                               ;   in Loop: Header=BB67_56 Depth=1
	s_load_dword s0, s[24:25], 0x0
	v_mov_b32_e32 v5, 0
	v_mov_b32_e32 v6, 0
	s_waitcnt lgkmcnt(0)
	s_cmp_lt_u32 s6, s0
	s_cselect_b32 s0, 12, 18
	s_add_u32 s0, s24, s0
	s_addc_u32 s1, s25, 0
	global_load_ushort v3, v2, s[0:1]
	s_mov_b32 s0, exec_lo
	s_waitcnt vmcnt(0)
	v_mad_u32_u24 v3, v1, v3, v0
	v_and_b32_e32 v3, 31, v3
	v_cmpx_gt_u32_e32 8, v3
	s_cbranch_execz .LBB67_54
; %bb.80:                               ;   in Loop: Header=BB67_56 Depth=1
	v_add_co_u32 v3, vcc_lo, v84, v3
	v_add_co_ci_u32_e64 v4, null, 0, v85, vcc_lo
	v_mov_b32_e32 v6, 0
	v_add_co_u32 v3, vcc_lo, 0xffffff81, v3
	v_add_co_ci_u32_e64 v4, null, -1, v4, vcc_lo
	v_mov_b32_e32 v5, 0
	s_mov_b32 s1, exec_lo
	v_cmpx_gt_i64_e64 s[12:13], v[3:4]
	s_cbranch_execz .LBB67_53
; %bb.81:                               ;   in Loop: Header=BB67_56 Depth=1
	v_lshlrev_b64 v[3:4], 2, v[3:4]
	v_add_co_u32 v5, vcc_lo, s20, v3
	v_add_co_ci_u32_e64 v6, null, s21, v4, vcc_lo
	v_add_co_u32 v3, vcc_lo, s22, v3
	v_add_co_ci_u32_e64 v4, null, s23, v4, vcc_lo
	global_load_dword v6, v[5:6], off
	global_load_dword v5, v[3:4], off
	s_branch .LBB67_53
.LBB67_82:
	v_mad_u32_u24 v2, v1, 33, v0
	v_lshrrev_b32_e32 v3, 5, v0
	s_mov_b32 s0, exec_lo
	v_lshl_add_u32 v2, v2, 2, 0
	v_add_nc_u32_e32 v3, v3, v1
	ds_write_b32 v2, v55
	ds_write_b32 v2, v49 offset:2112
	s_waitcnt lgkmcnt(0)
	s_barrier
	buffer_gl0_inv
	v_cmpx_gt_u32_e32 32, v3
	s_cbranch_execz .LBB67_98
; %bb.83:
	s_load_dwordx4 s[8:11], s[4:5], 0x30
	v_and_b32_e32 v1, 31, v0
                                        ; implicit-def: $vgpr2
	v_cmp_gt_u32_e64 s0, 16, v1
	v_mul_u32_u24_e32 v4, 33, v1
                                        ; implicit-def: $vgpr1
	s_and_saveexec_b32 s1, s0
	s_cbranch_execz .LBB67_85
; %bb.84:
	v_add_nc_u32_e32 v1, v3, v4
	v_lshl_add_u32 v1, v1, 2, 0
	ds_read_b32 v2, v1
	ds_read_b32 v1, v1 offset:2112
.LBB67_85:
	s_or_b32 exec_lo, exec_lo, s1
	v_mbcnt_lo_u32_b32 v8, -1, 0
	s_mov_b32 s7, 0
	v_cmp_eq_u32_e64 s1, 0, v0
	s_lshl_b64 s[2:3], s[6:7], 5
	s_waitcnt lgkmcnt(0)
	s_cmp_lg_u64 s[8:9], 0
	v_xor_b32_e32 v5, 8, v8
	v_xor_b32_e32 v6, 4, v8
	v_xor_b32_e32 v11, 1, v8
	s_cselect_b32 s5, -1, 0
	s_cmp_lg_u64 s[10:11], 0
	v_cmp_gt_i32_e32 vcc_lo, 32, v5
	s_cselect_b32 s4, -1, 0
	v_cndmask_b32_e32 v5, v8, v5, vcc_lo
	v_cmp_gt_i32_e32 vcc_lo, 32, v6
	v_lshlrev_b32_e32 v5, 2, v5
	v_cndmask_b32_e32 v6, v8, v6, vcc_lo
	ds_bpermute_b32 v7, v5, v2
	ds_bpermute_b32 v9, v5, v1
	v_lshlrev_b32_e32 v6, 2, v6
	s_waitcnt lgkmcnt(1)
	v_add_f32_e32 v2, v2, v7
	s_waitcnt lgkmcnt(0)
	v_add_f32_e32 v1, v1, v9
	v_xor_b32_e32 v7, 2, v8
	ds_bpermute_b32 v9, v6, v2
	ds_bpermute_b32 v10, v6, v1
	v_cmp_gt_i32_e32 vcc_lo, 32, v7
	v_cndmask_b32_e32 v7, v8, v7, vcc_lo
	v_cmp_gt_i32_e32 vcc_lo, 32, v11
	v_lshlrev_b32_e32 v7, 2, v7
	v_cndmask_b32_e32 v8, v8, v11, vcc_lo
	v_lshlrev_b32_e32 v8, 2, v8
	s_waitcnt lgkmcnt(1)
	v_add_f32_e32 v2, v2, v9
	s_waitcnt lgkmcnt(0)
	v_add_f32_e32 v1, v1, v10
	ds_bpermute_b32 v9, v7, v2
	ds_bpermute_b32 v10, v7, v1
	s_waitcnt lgkmcnt(1)
	v_add_f32_e32 v9, v2, v9
	s_waitcnt lgkmcnt(0)
	v_add_f32_e32 v10, v1, v10
	v_or_b32_e32 v1, s2, v3
	v_mov_b32_e32 v2, s3
	ds_bpermute_b32 v11, v8, v9
	ds_bpermute_b32 v12, v8, v10
	v_cmp_gt_i64_e32 vcc_lo, s[14:15], v[1:2]
	s_and_b32 s7, s1, vcc_lo
	s_waitcnt lgkmcnt(1)
	v_add_f32_e32 v9, v9, v11
	s_waitcnt lgkmcnt(0)
	v_add_f32_e32 v10, v10, v12
	s_and_saveexec_b32 s6, s7
	s_cbranch_execz .LBB67_90
; %bb.86:
	v_lshlrev_b64 v[0:1], 2, v[1:2]
	s_andn2_b32 vcc_lo, exec_lo, s5
	s_cbranch_vccnz .LBB67_88
; %bb.87:
	v_add_co_u32 v11, vcc_lo, s8, v0
	v_add_co_ci_u32_e64 v12, null, s9, v1, vcc_lo
	global_store_dword v[11:12], v9, off
.LBB67_88:
	s_andn2_b32 vcc_lo, exec_lo, s4
	s_cbranch_vccnz .LBB67_90
; %bb.89:
	v_add_co_u32 v0, vcc_lo, s10, v0
	v_add_co_ci_u32_e64 v1, null, s11, v1, vcc_lo
	global_store_dword v[0:1], v10, off
.LBB67_90:
	s_or_b32 exec_lo, exec_lo, s6
	v_cmp_gt_u32_e32 vcc_lo, 16, v3
	s_and_b32 exec_lo, exec_lo, vcc_lo
	s_cbranch_execz .LBB67_98
; %bb.91:
	s_and_saveexec_b32 s6, s0
	s_cbranch_execz .LBB67_93
; %bb.92:
	v_add_nc_u32_e32 v0, v3, v4
	v_lshl_add_u32 v0, v0, 2, 0
	ds_read_b32 v9, v0 offset:64
	ds_read_b32 v10, v0 offset:2176
.LBB67_93:
	s_or_b32 exec_lo, exec_lo, s6
	s_waitcnt lgkmcnt(1)
	ds_bpermute_b32 v0, v5, v9
	s_waitcnt lgkmcnt(1)
	ds_bpermute_b32 v1, v5, v10
	v_add_nc_u32_e32 v5, 16, v3
	v_or_b32_e32 v5, s2, v5
	s_waitcnt lgkmcnt(1)
	v_add_f32_e32 v0, v9, v0
	s_waitcnt lgkmcnt(0)
	v_add_f32_e32 v1, v10, v1
	ds_bpermute_b32 v2, v6, v0
	ds_bpermute_b32 v4, v6, v1
	v_mov_b32_e32 v6, s3
	v_cmp_gt_i64_e32 vcc_lo, s[14:15], v[5:6]
	s_and_b32 s0, s1, vcc_lo
	s_waitcnt lgkmcnt(1)
	v_add_f32_e32 v0, v0, v2
	s_waitcnt lgkmcnt(0)
	v_add_f32_e32 v1, v1, v4
	ds_bpermute_b32 v2, v7, v0
	ds_bpermute_b32 v4, v7, v1
	s_waitcnt lgkmcnt(1)
	v_add_f32_e32 v2, v0, v2
	s_waitcnt lgkmcnt(0)
	v_add_f32_e32 v0, v1, v4
	ds_bpermute_b32 v4, v8, v2
	ds_bpermute_b32 v1, v8, v0
	s_and_b32 exec_lo, exec_lo, s0
	s_cbranch_execz .LBB67_98
; %bb.94:
	s_andn2_b32 vcc_lo, exec_lo, s5
	s_cbranch_vccnz .LBB67_96
; %bb.95:
	v_add_co_u32 v5, s0, s2, v3
	v_add_co_ci_u32_e64 v6, null, s3, 0, s0
	s_waitcnt lgkmcnt(1)
	v_add_f32_e32 v2, v2, v4
	v_lshlrev_b64 v[5:6], 2, v[5:6]
	v_add_co_u32 v4, vcc_lo, s8, v5
	v_add_co_ci_u32_e64 v5, null, s9, v6, vcc_lo
	global_store_dword v[4:5], v2, off offset:64
.LBB67_96:
	s_andn2_b32 vcc_lo, exec_lo, s4
	s_cbranch_vccnz .LBB67_98
; %bb.97:
	v_add_co_u32 v2, s0, s2, v3
	v_add_co_ci_u32_e64 v3, null, s3, 0, s0
	s_waitcnt lgkmcnt(0)
	v_add_f32_e32 v4, v0, v1
	v_lshlrev_b64 v[2:3], 2, v[2:3]
	v_add_co_u32 v0, vcc_lo, s10, v2
	v_add_co_ci_u32_e64 v1, null, s11, v3, vcc_lo
	global_store_dword v[0:1], v4, off offset:64
.LBB67_98:
	s_endpgm
	.section	.rodata,"a",@progbits
	.p2align	6, 0x0
	.amdhsa_kernel _ZN2at6native12_GLOBAL__N_135GammaBetaBackwardCUDAKernelTemplateIffLj32ELj16ELj128ELb0ELb0ELb0EEEvllPKT_S5_PKT0_S8_PS3_S9_
		.amdhsa_group_segment_fixed_size 0
		.amdhsa_private_segment_fixed_size 0
		.amdhsa_kernarg_size 320
		.amdhsa_user_sgpr_count 6
		.amdhsa_user_sgpr_private_segment_buffer 1
		.amdhsa_user_sgpr_dispatch_ptr 0
		.amdhsa_user_sgpr_queue_ptr 0
		.amdhsa_user_sgpr_kernarg_segment_ptr 1
		.amdhsa_user_sgpr_dispatch_id 0
		.amdhsa_user_sgpr_flat_scratch_init 0
		.amdhsa_user_sgpr_private_segment_size 0
		.amdhsa_wavefront_size32 1
		.amdhsa_uses_dynamic_stack 0
		.amdhsa_system_sgpr_private_segment_wavefront_offset 0
		.amdhsa_system_sgpr_workgroup_id_x 1
		.amdhsa_system_sgpr_workgroup_id_y 1
		.amdhsa_system_sgpr_workgroup_id_z 0
		.amdhsa_system_sgpr_workgroup_info 0
		.amdhsa_system_vgpr_workitem_id 1
		.amdhsa_next_free_vgpr 94
		.amdhsa_next_free_sgpr 36
		.amdhsa_reserve_vcc 1
		.amdhsa_reserve_flat_scratch 0
		.amdhsa_float_round_mode_32 0
		.amdhsa_float_round_mode_16_64 0
		.amdhsa_float_denorm_mode_32 3
		.amdhsa_float_denorm_mode_16_64 3
		.amdhsa_dx10_clamp 1
		.amdhsa_ieee_mode 1
		.amdhsa_fp16_overflow 0
		.amdhsa_workgroup_processor_mode 1
		.amdhsa_memory_ordered 1
		.amdhsa_forward_progress 1
		.amdhsa_shared_vgpr_count 0
		.amdhsa_exception_fp_ieee_invalid_op 0
		.amdhsa_exception_fp_denorm_src 0
		.amdhsa_exception_fp_ieee_div_zero 0
		.amdhsa_exception_fp_ieee_overflow 0
		.amdhsa_exception_fp_ieee_underflow 0
		.amdhsa_exception_fp_ieee_inexact 0
		.amdhsa_exception_int_div_zero 0
	.end_amdhsa_kernel
	.section	.text._ZN2at6native12_GLOBAL__N_135GammaBetaBackwardCUDAKernelTemplateIffLj32ELj16ELj128ELb0ELb0ELb0EEEvllPKT_S5_PKT0_S8_PS3_S9_,"axG",@progbits,_ZN2at6native12_GLOBAL__N_135GammaBetaBackwardCUDAKernelTemplateIffLj32ELj16ELj128ELb0ELb0ELb0EEEvllPKT_S5_PKT0_S8_PS3_S9_,comdat
.Lfunc_end67:
	.size	_ZN2at6native12_GLOBAL__N_135GammaBetaBackwardCUDAKernelTemplateIffLj32ELj16ELj128ELb0ELb0ELb0EEEvllPKT_S5_PKT0_S8_PS3_S9_, .Lfunc_end67-_ZN2at6native12_GLOBAL__N_135GammaBetaBackwardCUDAKernelTemplateIffLj32ELj16ELj128ELb0ELb0ELb0EEEvllPKT_S5_PKT0_S8_PS3_S9_
                                        ; -- End function
	.set _ZN2at6native12_GLOBAL__N_135GammaBetaBackwardCUDAKernelTemplateIffLj32ELj16ELj128ELb0ELb0ELb0EEEvllPKT_S5_PKT0_S8_PS3_S9_.num_vgpr, 94
	.set _ZN2at6native12_GLOBAL__N_135GammaBetaBackwardCUDAKernelTemplateIffLj32ELj16ELj128ELb0ELb0ELb0EEEvllPKT_S5_PKT0_S8_PS3_S9_.num_agpr, 0
	.set _ZN2at6native12_GLOBAL__N_135GammaBetaBackwardCUDAKernelTemplateIffLj32ELj16ELj128ELb0ELb0ELb0EEEvllPKT_S5_PKT0_S8_PS3_S9_.numbered_sgpr, 36
	.set _ZN2at6native12_GLOBAL__N_135GammaBetaBackwardCUDAKernelTemplateIffLj32ELj16ELj128ELb0ELb0ELb0EEEvllPKT_S5_PKT0_S8_PS3_S9_.num_named_barrier, 0
	.set _ZN2at6native12_GLOBAL__N_135GammaBetaBackwardCUDAKernelTemplateIffLj32ELj16ELj128ELb0ELb0ELb0EEEvllPKT_S5_PKT0_S8_PS3_S9_.private_seg_size, 0
	.set _ZN2at6native12_GLOBAL__N_135GammaBetaBackwardCUDAKernelTemplateIffLj32ELj16ELj128ELb0ELb0ELb0EEEvllPKT_S5_PKT0_S8_PS3_S9_.uses_vcc, 1
	.set _ZN2at6native12_GLOBAL__N_135GammaBetaBackwardCUDAKernelTemplateIffLj32ELj16ELj128ELb0ELb0ELb0EEEvllPKT_S5_PKT0_S8_PS3_S9_.uses_flat_scratch, 0
	.set _ZN2at6native12_GLOBAL__N_135GammaBetaBackwardCUDAKernelTemplateIffLj32ELj16ELj128ELb0ELb0ELb0EEEvllPKT_S5_PKT0_S8_PS3_S9_.has_dyn_sized_stack, 0
	.set _ZN2at6native12_GLOBAL__N_135GammaBetaBackwardCUDAKernelTemplateIffLj32ELj16ELj128ELb0ELb0ELb0EEEvllPKT_S5_PKT0_S8_PS3_S9_.has_recursion, 0
	.set _ZN2at6native12_GLOBAL__N_135GammaBetaBackwardCUDAKernelTemplateIffLj32ELj16ELj128ELb0ELb0ELb0EEEvllPKT_S5_PKT0_S8_PS3_S9_.has_indirect_call, 0
	.section	.AMDGPU.csdata,"",@progbits
; Kernel info:
; codeLenInByte = 8668
; TotalNumSgprs: 38
; NumVgprs: 94
; ScratchSize: 0
; MemoryBound: 0
; FloatMode: 240
; IeeeMode: 1
; LDSByteSize: 0 bytes/workgroup (compile time only)
; SGPRBlocks: 0
; VGPRBlocks: 11
; NumSGPRsForWavesPerEU: 38
; NumVGPRsForWavesPerEU: 94
; Occupancy: 10
; WaveLimiterHint : 0
; COMPUTE_PGM_RSRC2:SCRATCH_EN: 0
; COMPUTE_PGM_RSRC2:USER_SGPR: 6
; COMPUTE_PGM_RSRC2:TRAP_HANDLER: 0
; COMPUTE_PGM_RSRC2:TGID_X_EN: 1
; COMPUTE_PGM_RSRC2:TGID_Y_EN: 1
; COMPUTE_PGM_RSRC2:TGID_Z_EN: 0
; COMPUTE_PGM_RSRC2:TIDIG_COMP_CNT: 1
	.section	.text._ZN2at6native12_GLOBAL__N_135GammaBetaBackwardCUDAKernelTemplateIffLj32ELj32ELj256ELb0ELb1ELb0EEEvllPKT_S5_PKT0_S8_PS3_S9_,"axG",@progbits,_ZN2at6native12_GLOBAL__N_135GammaBetaBackwardCUDAKernelTemplateIffLj32ELj32ELj256ELb0ELb1ELb0EEEvllPKT_S5_PKT0_S8_PS3_S9_,comdat
	.globl	_ZN2at6native12_GLOBAL__N_135GammaBetaBackwardCUDAKernelTemplateIffLj32ELj32ELj256ELb0ELb1ELb0EEEvllPKT_S5_PKT0_S8_PS3_S9_ ; -- Begin function _ZN2at6native12_GLOBAL__N_135GammaBetaBackwardCUDAKernelTemplateIffLj32ELj32ELj256ELb0ELb1ELb0EEEvllPKT_S5_PKT0_S8_PS3_S9_
	.p2align	8
	.type	_ZN2at6native12_GLOBAL__N_135GammaBetaBackwardCUDAKernelTemplateIffLj32ELj32ELj256ELb0ELb1ELb0EEEvllPKT_S5_PKT0_S8_PS3_S9_,@function
_ZN2at6native12_GLOBAL__N_135GammaBetaBackwardCUDAKernelTemplateIffLj32ELj32ELj256ELb0ELb1ELb0EEEvllPKT_S5_PKT0_S8_PS3_S9_: ; @_ZN2at6native12_GLOBAL__N_135GammaBetaBackwardCUDAKernelTemplateIffLj32ELj32ELj256ELb0ELb1ELb0EEEvllPKT_S5_PKT0_S8_PS3_S9_
; %bb.0:
	s_load_dwordx4 s[20:23], s[4:5], 0x0
	s_lshl_b32 s2, s7, 8
	s_mov_b32 s3, 0
	s_waitcnt lgkmcnt(0)
	v_cmp_gt_i64_e64 s0, s[20:21], s[2:3]
	s_and_b32 vcc_lo, exec_lo, s0
	s_cbranch_vccnz .LBB68_2
; %bb.1:
	s_mov_b32 s0, s3
	s_branch .LBB68_3
.LBB68_2:
	s_mov_b32 s0, -1
.LBB68_3:
	s_load_dwordx4 s[16:19], s[4:5], 0x30
	v_mov_b32_e32 v17, 0
	v_mov_b32_e32 v2, 0
	s_andn2_b32 vcc_lo, exec_lo, s0
	s_cbranch_vccnz .LBB68_10
; %bb.4:
	s_clause 0x2
	s_load_dword s0, s[4:5], 0x4c
	s_load_dword s1, s[4:5], 0x44
	s_load_dwordx8 s[8:15], s[4:5], 0x10
	v_lshlrev_b32_e32 v4, 3, v1
	v_mov_b32_e32 v3, 0
	v_lshl_add_u32 v2, s6, 5, v0
	v_mov_b32_e32 v8, 4
	v_mov_b32_e32 v9, 8
	v_add_co_u32 v4, s4, v4, s2
	v_add_co_ci_u32_e64 v5, null, 0, 0, s4
	v_mov_b32_e32 v10, 12
	v_mul_lo_u32 v17, s23, v4
	v_mad_u64_u32 v[6:7], null, s22, v4, 0
	v_mul_lo_u32 v18, s22, v5
	v_mov_b32_e32 v11, 16
	v_mov_b32_e32 v12, 20
	;; [unrolled: 1-line block ×3, first 2 shown]
	s_waitcnt lgkmcnt(0)
	s_and_b32 s0, s0, 0xffff
	s_lshl_b32 s4, s1, 8
	v_mad_u32_u24 v15, v1, s0, v0
	s_mul_i32 s1, s23, s4
	v_add3_u32 v7, v7, v18, v17
	s_mul_hi_u32 s7, s22, s4
	v_mov_b32_e32 v14, 28
	v_and_b32_e32 v19, 31, v15
	v_lshlrev_b64 v[15:16], 2, v[2:3]
	v_lshlrev_b64 v[17:18], 2, v[6:7]
	v_mov_b32_e32 v2, 0
	s_mov_b32 s5, 0
	v_add_co_u32 v4, vcc_lo, v4, v19
	v_add_co_ci_u32_e64 v5, null, 0, v5, vcc_lo
	v_add_co_u32 v15, vcc_lo, v17, v15
	v_cmp_gt_u32_e64 s0, 8, v19
	v_lshlrev_b64 v[6:7], 2, v[4:5]
	v_add_co_ci_u32_e64 v16, null, v18, v16, vcc_lo
	v_mov_b32_e32 v17, 0
	s_add_i32 s27, s7, s1
	s_mul_i32 s26, s22, s4
	s_lshl_b64 s[24:25], s[4:5], 2
	s_lshl_b64 s[26:27], s[26:27], 2
	;; [unrolled: 1-line block ×3, first 2 shown]
	s_branch .LBB68_7
.LBB68_5:                               ;   in Loop: Header=BB68_7 Depth=1
	s_or_b32 exec_lo, exec_lo, s5
.LBB68_6:                               ;   in Loop: Header=BB68_7 Depth=1
	s_or_b32 exec_lo, exec_lo, s1
	v_add_co_u32 v20, vcc_lo, s8, v15
	v_add_co_ci_u32_e64 v21, null, s9, v16, vcc_lo
	v_add_co_u32 v22, vcc_lo, s10, v15
	v_add_co_ci_u32_e64 v23, null, s11, v16, vcc_lo
	global_load_dword v30, v[20:21], off
	v_add_co_u32 v20, vcc_lo, v20, s22
	v_add_co_ci_u32_e64 v21, null, s23, v21, vcc_lo
	v_add_co_u32 v24, vcc_lo, v22, s22
	v_add_co_ci_u32_e64 v25, null, s23, v23, vcc_lo
	;; [unrolled: 2-line block ×4, first 2 shown]
	global_load_dword v31, v[22:23], off
	global_load_dword v32, v[20:21], off
	;; [unrolled: 1-line block ×5, first 2 shown]
	v_add_co_u32 v20, vcc_lo, v28, s22
	v_add_co_ci_u32_e64 v21, null, s23, v29, vcc_lo
	v_add_co_u32 v22, vcc_lo, v26, s22
	v_add_co_ci_u32_e64 v23, null, s23, v27, vcc_lo
	global_load_dword v36, v[20:21], off
	v_add_co_u32 v24, vcc_lo, v22, s22
	v_add_co_ci_u32_e64 v25, null, s23, v23, vcc_lo
	v_add_co_u32 v20, vcc_lo, v20, s22
	v_add_co_ci_u32_e64 v21, null, s23, v21, vcc_lo
	;; [unrolled: 2-line block ×4, first 2 shown]
	s_clause 0x1
	global_load_dword v37, v[22:23], off
	global_load_dword v24, v[24:25], off
	;; [unrolled: 1-line block ×5, first 2 shown]
	v_add_co_u32 v20, vcc_lo, v28, s22
	v_add_co_ci_u32_e64 v21, null, s23, v29, vcc_lo
	v_add_co_u32 v22, vcc_lo, v26, s22
	v_add_co_ci_u32_e64 v23, null, s23, v27, vcc_lo
	global_load_dword v26, v[20:21], off
	v_add_co_u32 v20, vcc_lo, v20, s22
	v_add_co_ci_u32_e64 v21, null, s23, v21, vcc_lo
	global_load_dword v27, v[22:23], off
	global_load_dword v28, v[20:21], off
	v_add_co_u32 v20, vcc_lo, v22, s22
	v_add_co_ci_u32_e64 v21, null, s23, v23, vcc_lo
	s_waitcnt vmcnt(16)
	ds_bpermute_b32 v22, v8, v19
	s_waitcnt vmcnt(15)
	ds_bpermute_b32 v23, v3, v18
	ds_bpermute_b32 v29, v9, v19
	global_load_dword v20, v[20:21], off
	ds_bpermute_b32 v21, v3, v19
	ds_bpermute_b32 v40, v8, v18
	;; [unrolled: 1-line block ×5, first 2 shown]
	s_add_u32 s2, s2, s4
	v_add_co_u32 v6, vcc_lo, v6, s24
	s_addc_u32 s3, s3, 0
	v_add_co_ci_u32_e64 v7, null, s25, v7, vcc_lo
	v_add_co_u32 v4, vcc_lo, v4, s4
	v_cmp_lt_i64_e64 s1, s[2:3], s[20:21]
	v_add_co_ci_u32_e64 v5, null, 0, v5, vcc_lo
	v_add_co_u32 v15, vcc_lo, v15, s26
	v_add_co_ci_u32_e64 v16, null, s27, v16, vcc_lo
	s_and_b32 vcc_lo, exec_lo, s1
	s_waitcnt vmcnt(15)
	v_add_f32_e32 v17, v17, v30
	s_waitcnt vmcnt(14) lgkmcnt(4)
	v_sub_f32_e32 v21, v31, v21
	ds_bpermute_b32 v31, v9, v18
	s_waitcnt vmcnt(12)
	v_sub_f32_e32 v22, v33, v22
	ds_bpermute_b32 v33, v10, v18
	v_add_f32_e32 v17, v17, v32
	v_mul_f32_e32 v21, v30, v21
	ds_bpermute_b32 v30, v12, v18
	s_waitcnt vmcnt(11)
	v_add_f32_e32 v17, v17, v34
	v_fmac_f32_e32 v2, v21, v23
	v_mul_f32_e32 v21, v32, v22
	s_waitcnt vmcnt(10)
	v_sub_f32_e32 v22, v35, v29
	ds_bpermute_b32 v23, v11, v18
	ds_bpermute_b32 v29, v13, v19
	ds_bpermute_b32 v19, v14, v19
	s_waitcnt lgkmcnt(9)
	v_fmac_f32_e32 v2, v21, v40
	v_mul_f32_e32 v21, v34, v22
	s_waitcnt vmcnt(9) lgkmcnt(8)
	v_sub_f32_e32 v22, v36, v41
	s_waitcnt lgkmcnt(5)
	v_fmac_f32_e32 v2, v21, v31
	s_waitcnt vmcnt(8)
	v_mul_f32_e32 v21, v37, v22
	v_add_f32_e32 v17, v17, v37
	s_waitcnt vmcnt(6)
	v_sub_f32_e32 v22, v25, v42
	ds_bpermute_b32 v25, v13, v18
	ds_bpermute_b32 v18, v14, v18
	s_waitcnt lgkmcnt(6)
	v_fmac_f32_e32 v2, v21, v33
	v_add_f32_e32 v17, v17, v24
	v_mul_f32_e32 v21, v24, v22
	s_waitcnt vmcnt(4)
	v_sub_f32_e32 v22, v39, v43
	v_add_f32_e32 v17, v17, v38
	s_waitcnt lgkmcnt(4)
	v_fmac_f32_e32 v2, v21, v23
	v_mul_f32_e32 v21, v38, v22
	s_waitcnt vmcnt(3) lgkmcnt(3)
	v_sub_f32_e32 v22, v26, v29
	v_fmac_f32_e32 v2, v21, v30
	s_waitcnt vmcnt(2)
	v_mul_f32_e32 v21, v27, v22
	s_waitcnt vmcnt(1) lgkmcnt(2)
	v_sub_f32_e32 v19, v28, v19
	v_add_f32_e32 v17, v17, v27
	s_waitcnt lgkmcnt(1)
	v_fmac_f32_e32 v2, v21, v25
	s_waitcnt vmcnt(0)
	v_mul_f32_e32 v19, v20, v19
	v_add_f32_e32 v17, v17, v20
	s_waitcnt lgkmcnt(0)
	v_fmac_f32_e32 v2, v19, v18
	s_cbranch_vccz .LBB68_10
.LBB68_7:                               ; =>This Inner Loop Header: Depth=1
	v_mov_b32_e32 v18, 0
	v_mov_b32_e32 v19, 0
	s_and_saveexec_b32 s1, s0
	s_cbranch_execz .LBB68_6
; %bb.8:                                ;   in Loop: Header=BB68_7 Depth=1
	v_mov_b32_e32 v19, 0
	v_mov_b32_e32 v18, 0
	s_mov_b32 s5, exec_lo
	v_cmpx_gt_i64_e64 s[20:21], v[4:5]
	s_cbranch_execz .LBB68_5
; %bb.9:                                ;   in Loop: Header=BB68_7 Depth=1
	v_add_co_u32 v18, vcc_lo, s12, v6
	v_add_co_ci_u32_e64 v19, null, s13, v7, vcc_lo
	v_add_co_u32 v20, vcc_lo, s14, v6
	v_add_co_ci_u32_e64 v21, null, s15, v7, vcc_lo
	global_load_dword v19, v[18:19], off
	global_load_dword v18, v[20:21], off
	s_branch .LBB68_5
.LBB68_10:
	v_mad_u32_u24 v3, v1, 33, v0
	v_lshrrev_b32_e32 v4, 5, v0
	s_mov_b32 s0, exec_lo
	v_lshl_add_u32 v3, v3, 2, 0
	v_add_nc_u32_e32 v1, v4, v1
	ds_write_b32 v3, v2
	ds_write_b32 v3, v17 offset:4224
	s_waitcnt lgkmcnt(0)
	s_barrier
	buffer_gl0_inv
	v_cmpx_gt_u32_e32 32, v1
	s_cbranch_execz .LBB68_16
; %bb.11:
	v_and_b32_e32 v2, 31, v0
	v_mbcnt_lo_u32_b32 v3, -1, 0
	v_mad_u32_u24 v2, v2, 33, v1
	v_xor_b32_e32 v5, 16, v3
	v_xor_b32_e32 v7, 8, v3
	v_lshl_add_u32 v2, v2, 2, 0
	v_cmp_gt_i32_e32 vcc_lo, 32, v5
	ds_read_b32 v4, v2
	ds_read_b32 v2, v2 offset:4224
	v_cndmask_b32_e32 v5, v3, v5, vcc_lo
	v_cmp_gt_i32_e32 vcc_lo, 32, v7
	v_lshlrev_b32_e32 v5, 2, v5
	v_cndmask_b32_e32 v7, v3, v7, vcc_lo
	v_lshlrev_b32_e32 v7, 2, v7
	s_waitcnt lgkmcnt(1)
	ds_bpermute_b32 v6, v5, v4
	s_waitcnt lgkmcnt(1)
	ds_bpermute_b32 v5, v5, v2
	s_waitcnt lgkmcnt(1)
	v_add_f32_e32 v4, v4, v6
	s_waitcnt lgkmcnt(0)
	v_add_f32_e32 v2, v2, v5
	ds_bpermute_b32 v5, v7, v4
	ds_bpermute_b32 v6, v7, v2
	v_xor_b32_e32 v7, 4, v3
	v_cmp_gt_i32_e32 vcc_lo, 32, v7
	v_cndmask_b32_e32 v7, v3, v7, vcc_lo
	v_lshlrev_b32_e32 v7, 2, v7
	s_waitcnt lgkmcnt(1)
	v_add_f32_e32 v4, v4, v5
	s_waitcnt lgkmcnt(0)
	v_add_f32_e32 v2, v2, v6
	ds_bpermute_b32 v5, v7, v4
	ds_bpermute_b32 v6, v7, v2
	v_xor_b32_e32 v7, 2, v3
	v_cmp_gt_i32_e32 vcc_lo, 32, v7
	v_cndmask_b32_e32 v7, v3, v7, vcc_lo
	v_lshlrev_b32_e32 v7, 2, v7
	s_waitcnt lgkmcnt(1)
	v_add_f32_e32 v4, v4, v5
	s_waitcnt lgkmcnt(0)
	v_add_f32_e32 v2, v2, v6
	ds_bpermute_b32 v5, v7, v4
	ds_bpermute_b32 v6, v7, v2
	v_xor_b32_e32 v7, 1, v3
	v_cmp_gt_i32_e32 vcc_lo, 32, v7
	v_cndmask_b32_e32 v3, v3, v7, vcc_lo
	v_cmp_eq_u32_e32 vcc_lo, 0, v0
	v_lshlrev_b32_e32 v3, 2, v3
	s_waitcnt lgkmcnt(1)
	v_add_f32_e32 v4, v4, v5
	s_waitcnt lgkmcnt(0)
	v_add_f32_e32 v2, v2, v6
	ds_bpermute_b32 v5, v3, v4
	ds_bpermute_b32 v3, v3, v2
	s_and_b32 exec_lo, exec_lo, vcc_lo
	s_cbranch_execz .LBB68_16
; %bb.12:
	s_mov_b32 s7, 0
	s_lshl_b64 s[0:1], s[6:7], 5
	s_cmp_eq_u64 s[16:17], 0
	v_or_b32_e32 v0, s0, v1
	v_mov_b32_e32 v1, s1
	v_lshlrev_b64 v[0:1], 2, v[0:1]
	s_cbranch_scc1 .LBB68_14
; %bb.13:
	s_waitcnt lgkmcnt(1)
	v_add_f32_e32 v6, v4, v5
	v_add_co_u32 v4, vcc_lo, s16, v0
	v_add_co_ci_u32_e64 v5, null, s17, v1, vcc_lo
	global_store_dword v[4:5], v6, off
.LBB68_14:
	s_cmp_eq_u64 s[18:19], 0
	s_cbranch_scc1 .LBB68_16
; %bb.15:
	v_add_co_u32 v0, vcc_lo, s18, v0
	s_waitcnt lgkmcnt(0)
	v_add_f32_e32 v2, v2, v3
	v_add_co_ci_u32_e64 v1, null, s19, v1, vcc_lo
	global_store_dword v[0:1], v2, off
.LBB68_16:
	s_endpgm
	.section	.rodata,"a",@progbits
	.p2align	6, 0x0
	.amdhsa_kernel _ZN2at6native12_GLOBAL__N_135GammaBetaBackwardCUDAKernelTemplateIffLj32ELj32ELj256ELb0ELb1ELb0EEEvllPKT_S5_PKT0_S8_PS3_S9_
		.amdhsa_group_segment_fixed_size 0
		.amdhsa_private_segment_fixed_size 0
		.amdhsa_kernarg_size 320
		.amdhsa_user_sgpr_count 6
		.amdhsa_user_sgpr_private_segment_buffer 1
		.amdhsa_user_sgpr_dispatch_ptr 0
		.amdhsa_user_sgpr_queue_ptr 0
		.amdhsa_user_sgpr_kernarg_segment_ptr 1
		.amdhsa_user_sgpr_dispatch_id 0
		.amdhsa_user_sgpr_flat_scratch_init 0
		.amdhsa_user_sgpr_private_segment_size 0
		.amdhsa_wavefront_size32 1
		.amdhsa_uses_dynamic_stack 0
		.amdhsa_system_sgpr_private_segment_wavefront_offset 0
		.amdhsa_system_sgpr_workgroup_id_x 1
		.amdhsa_system_sgpr_workgroup_id_y 1
		.amdhsa_system_sgpr_workgroup_id_z 0
		.amdhsa_system_sgpr_workgroup_info 0
		.amdhsa_system_vgpr_workitem_id 1
		.amdhsa_next_free_vgpr 44
		.amdhsa_next_free_sgpr 28
		.amdhsa_reserve_vcc 1
		.amdhsa_reserve_flat_scratch 0
		.amdhsa_float_round_mode_32 0
		.amdhsa_float_round_mode_16_64 0
		.amdhsa_float_denorm_mode_32 3
		.amdhsa_float_denorm_mode_16_64 3
		.amdhsa_dx10_clamp 1
		.amdhsa_ieee_mode 1
		.amdhsa_fp16_overflow 0
		.amdhsa_workgroup_processor_mode 1
		.amdhsa_memory_ordered 1
		.amdhsa_forward_progress 1
		.amdhsa_shared_vgpr_count 0
		.amdhsa_exception_fp_ieee_invalid_op 0
		.amdhsa_exception_fp_denorm_src 0
		.amdhsa_exception_fp_ieee_div_zero 0
		.amdhsa_exception_fp_ieee_overflow 0
		.amdhsa_exception_fp_ieee_underflow 0
		.amdhsa_exception_fp_ieee_inexact 0
		.amdhsa_exception_int_div_zero 0
	.end_amdhsa_kernel
	.section	.text._ZN2at6native12_GLOBAL__N_135GammaBetaBackwardCUDAKernelTemplateIffLj32ELj32ELj256ELb0ELb1ELb0EEEvllPKT_S5_PKT0_S8_PS3_S9_,"axG",@progbits,_ZN2at6native12_GLOBAL__N_135GammaBetaBackwardCUDAKernelTemplateIffLj32ELj32ELj256ELb0ELb1ELb0EEEvllPKT_S5_PKT0_S8_PS3_S9_,comdat
.Lfunc_end68:
	.size	_ZN2at6native12_GLOBAL__N_135GammaBetaBackwardCUDAKernelTemplateIffLj32ELj32ELj256ELb0ELb1ELb0EEEvllPKT_S5_PKT0_S8_PS3_S9_, .Lfunc_end68-_ZN2at6native12_GLOBAL__N_135GammaBetaBackwardCUDAKernelTemplateIffLj32ELj32ELj256ELb0ELb1ELb0EEEvllPKT_S5_PKT0_S8_PS3_S9_
                                        ; -- End function
	.set _ZN2at6native12_GLOBAL__N_135GammaBetaBackwardCUDAKernelTemplateIffLj32ELj32ELj256ELb0ELb1ELb0EEEvllPKT_S5_PKT0_S8_PS3_S9_.num_vgpr, 44
	.set _ZN2at6native12_GLOBAL__N_135GammaBetaBackwardCUDAKernelTemplateIffLj32ELj32ELj256ELb0ELb1ELb0EEEvllPKT_S5_PKT0_S8_PS3_S9_.num_agpr, 0
	.set _ZN2at6native12_GLOBAL__N_135GammaBetaBackwardCUDAKernelTemplateIffLj32ELj32ELj256ELb0ELb1ELb0EEEvllPKT_S5_PKT0_S8_PS3_S9_.numbered_sgpr, 28
	.set _ZN2at6native12_GLOBAL__N_135GammaBetaBackwardCUDAKernelTemplateIffLj32ELj32ELj256ELb0ELb1ELb0EEEvllPKT_S5_PKT0_S8_PS3_S9_.num_named_barrier, 0
	.set _ZN2at6native12_GLOBAL__N_135GammaBetaBackwardCUDAKernelTemplateIffLj32ELj32ELj256ELb0ELb1ELb0EEEvllPKT_S5_PKT0_S8_PS3_S9_.private_seg_size, 0
	.set _ZN2at6native12_GLOBAL__N_135GammaBetaBackwardCUDAKernelTemplateIffLj32ELj32ELj256ELb0ELb1ELb0EEEvllPKT_S5_PKT0_S8_PS3_S9_.uses_vcc, 1
	.set _ZN2at6native12_GLOBAL__N_135GammaBetaBackwardCUDAKernelTemplateIffLj32ELj32ELj256ELb0ELb1ELb0EEEvllPKT_S5_PKT0_S8_PS3_S9_.uses_flat_scratch, 0
	.set _ZN2at6native12_GLOBAL__N_135GammaBetaBackwardCUDAKernelTemplateIffLj32ELj32ELj256ELb0ELb1ELb0EEEvllPKT_S5_PKT0_S8_PS3_S9_.has_dyn_sized_stack, 0
	.set _ZN2at6native12_GLOBAL__N_135GammaBetaBackwardCUDAKernelTemplateIffLj32ELj32ELj256ELb0ELb1ELb0EEEvllPKT_S5_PKT0_S8_PS3_S9_.has_recursion, 0
	.set _ZN2at6native12_GLOBAL__N_135GammaBetaBackwardCUDAKernelTemplateIffLj32ELj32ELj256ELb0ELb1ELb0EEEvllPKT_S5_PKT0_S8_PS3_S9_.has_indirect_call, 0
	.section	.AMDGPU.csdata,"",@progbits
; Kernel info:
; codeLenInByte = 1692
; TotalNumSgprs: 30
; NumVgprs: 44
; ScratchSize: 0
; MemoryBound: 0
; FloatMode: 240
; IeeeMode: 1
; LDSByteSize: 0 bytes/workgroup (compile time only)
; SGPRBlocks: 0
; VGPRBlocks: 5
; NumSGPRsForWavesPerEU: 30
; NumVGPRsForWavesPerEU: 44
; Occupancy: 16
; WaveLimiterHint : 0
; COMPUTE_PGM_RSRC2:SCRATCH_EN: 0
; COMPUTE_PGM_RSRC2:USER_SGPR: 6
; COMPUTE_PGM_RSRC2:TRAP_HANDLER: 0
; COMPUTE_PGM_RSRC2:TGID_X_EN: 1
; COMPUTE_PGM_RSRC2:TGID_Y_EN: 1
; COMPUTE_PGM_RSRC2:TGID_Z_EN: 0
; COMPUTE_PGM_RSRC2:TIDIG_COMP_CNT: 1
	.section	.text._ZN2at6native12_GLOBAL__N_135GammaBetaBackwardCUDAKernelTemplateIffLj32ELj32ELj256ELb0ELb0ELb0EEEvllPKT_S5_PKT0_S8_PS3_S9_,"axG",@progbits,_ZN2at6native12_GLOBAL__N_135GammaBetaBackwardCUDAKernelTemplateIffLj32ELj32ELj256ELb0ELb0ELb0EEEvllPKT_S5_PKT0_S8_PS3_S9_,comdat
	.globl	_ZN2at6native12_GLOBAL__N_135GammaBetaBackwardCUDAKernelTemplateIffLj32ELj32ELj256ELb0ELb0ELb0EEEvllPKT_S5_PKT0_S8_PS3_S9_ ; -- Begin function _ZN2at6native12_GLOBAL__N_135GammaBetaBackwardCUDAKernelTemplateIffLj32ELj32ELj256ELb0ELb0ELb0EEEvllPKT_S5_PKT0_S8_PS3_S9_
	.p2align	8
	.type	_ZN2at6native12_GLOBAL__N_135GammaBetaBackwardCUDAKernelTemplateIffLj32ELj32ELj256ELb0ELb0ELb0EEEvllPKT_S5_PKT0_S8_PS3_S9_,@function
_ZN2at6native12_GLOBAL__N_135GammaBetaBackwardCUDAKernelTemplateIffLj32ELj32ELj256ELb0ELb0ELb0EEEvllPKT_S5_PKT0_S8_PS3_S9_: ; @_ZN2at6native12_GLOBAL__N_135GammaBetaBackwardCUDAKernelTemplateIffLj32ELj32ELj256ELb0ELb0ELb0EEEvllPKT_S5_PKT0_S8_PS3_S9_
; %bb.0:
	s_clause 0x1
	s_load_dwordx8 s[12:19], s[4:5], 0x0
	s_load_dwordx4 s[20:23], s[4:5], 0x20
	s_lshl_b32 s30, s6, 5
	s_mov_b32 s11, 0
	s_or_b32 s10, s30, 31
	s_waitcnt lgkmcnt(0)
	v_cmp_le_i64_e64 s0, s[14:15], s[10:11]
	s_lshl_b32 s10, s7, 8
	v_cmp_gt_i64_e64 s7, s[12:13], s[10:11]
	s_and_b32 vcc_lo, exec_lo, s0
	v_cndmask_b32_e64 v2, 0, 1, s7
	v_cmp_ne_u32_e64 s0, 1, v2
	s_cbranch_vccz .LBB69_49
; %bb.1:
	v_mov_b32_e32 v49, 0
	v_mov_b32_e32 v55, 0
	s_and_b32 vcc_lo, exec_lo, s0
	s_cbranch_vccnz .LBB69_50
; %bb.2:
	v_lshlrev_b32_e32 v21, 3, v1
	v_mov_b32_e32 v2, 0
	v_add_nc_u32_e32 v5, s30, v0
	s_load_dword s1, s[4:5], 0x44
	s_add_u32 s2, s4, 64
	v_add_co_u32 v11, s0, v21, s10
	v_add_co_ci_u32_e64 v12, null, 0, 0, s0
	v_mov_b32_e32 v6, v2
	v_mul_lo_u32 v7, s15, v11
	v_mad_u64_u32 v[3:4], null, s14, v11, 0
	v_mul_lo_u32 v8, s14, v12
	v_cmp_gt_i64_e64 s0, s[14:15], v[5:6]
	v_lshlrev_b64 v[19:20], 2, v[5:6]
	s_addc_u32 s3, s5, 0
	v_mov_b32_e32 v56, 0
	v_mov_b32_e32 v49, 0
	s_mov_b64 s[26:27], s[10:11]
	v_add3_u32 v4, v4, v8, v7
	v_add_co_u32 v7, vcc_lo, v11, 7
	v_add_co_ci_u32_e64 v8, null, 0, v12, vcc_lo
	v_lshlrev_b64 v[5:6], 2, v[3:4]
	v_mul_lo_u32 v13, s15, v7
	s_waitcnt lgkmcnt(0)
	s_lshl_b32 s28, s1, 8
	v_mul_lo_u32 v14, s14, v8
	v_mad_u64_u32 v[7:8], null, s14, v7, 0
	v_add_co_u32 v22, vcc_lo, s16, v5
	v_add_co_ci_u32_e64 v23, null, s17, v6, vcc_lo
	v_add_co_u32 v9, vcc_lo, v11, 6
	v_add_co_ci_u32_e64 v10, null, 0, v12, vcc_lo
	v_add_co_u32 v24, vcc_lo, s18, v5
	v_mul_lo_u32 v15, s15, v9
	v_mul_lo_u32 v16, s14, v10
	v_mad_u64_u32 v[9:10], null, s14, v9, 0
	v_add3_u32 v8, v8, v14, v13
	v_add_co_ci_u32_e64 v25, null, s19, v6, vcc_lo
	v_add_co_u32 v13, vcc_lo, v11, 5
	v_add_co_ci_u32_e64 v14, null, 0, v12, vcc_lo
	v_add3_u32 v10, v10, v16, v15
	v_lshlrev_b64 v[5:6], 2, v[7:8]
	v_mul_lo_u32 v15, s15, v13
	v_mul_lo_u32 v14, s14, v14
	s_mul_i32 s1, s15, s28
	v_lshlrev_b64 v[7:8], 2, v[9:10]
	v_mad_u64_u32 v[9:10], null, s14, v13, 0
	v_add_co_u32 v26, vcc_lo, s16, v5
	v_add_co_ci_u32_e64 v27, null, s17, v6, vcc_lo
	v_add_co_u32 v28, vcc_lo, s18, v5
	v_add_co_ci_u32_e64 v29, null, s19, v6, vcc_lo
	v_add_co_u32 v30, vcc_lo, s16, v7
	v_add3_u32 v10, v10, v14, v15
	s_mul_hi_u32 s8, s14, s28
	v_add_co_ci_u32_e64 v31, null, s17, v8, vcc_lo
	v_add_co_u32 v13, vcc_lo, v11, 4
	s_add_i32 s9, s8, s1
	v_add_co_u32 v32, s1, s18, v7
	v_add_co_ci_u32_e64 v7, null, 0, v12, vcc_lo
	v_lshlrev_b64 v[5:6], 2, v[9:10]
	v_add_co_u32 v9, vcc_lo, v11, 3
	v_add_co_ci_u32_e64 v10, null, 0, v12, vcc_lo
	v_add_co_ci_u32_e64 v33, null, s19, v8, s1
	v_mul_lo_u32 v14, s15, v13
	v_mul_lo_u32 v15, s14, v7
	v_mad_u64_u32 v[7:8], null, s14, v13, 0
	v_mul_lo_u32 v13, s15, v9
	v_mul_lo_u32 v16, s14, v10
	v_mad_u64_u32 v[9:10], null, s14, v9, 0
	v_add_co_u32 v34, vcc_lo, s16, v5
	v_add_co_ci_u32_e64 v35, null, s17, v6, vcc_lo
	v_add3_u32 v8, v8, v15, v14
	v_add_co_u32 v36, vcc_lo, s18, v5
	v_add_co_ci_u32_e64 v37, null, s19, v6, vcc_lo
	v_add_co_u32 v11, vcc_lo, v11, 2
	v_add3_u32 v10, v10, v16, v13
	v_add_co_ci_u32_e64 v12, null, 0, v12, vcc_lo
	v_lshlrev_b64 v[5:6], 2, v[7:8]
	v_mul_lo_u32 v13, s15, v11
	v_lshlrev_b64 v[7:8], 2, v[9:10]
	v_mul_lo_u32 v12, s14, v12
	v_mad_u64_u32 v[9:10], null, s14, v11, 0
	v_add_co_u32 v38, vcc_lo, s16, v5
	v_add_co_ci_u32_e64 v39, null, s17, v6, vcc_lo
	v_add_co_u32 v40, vcc_lo, s18, v5
	v_add_co_ci_u32_e64 v41, null, s19, v6, vcc_lo
	;; [unrolled: 2-line block ×3, first 2 shown]
	v_add3_u32 v10, v10, v12, v13
	v_add_co_u32 v44, vcc_lo, s18, v7
	v_add_co_ci_u32_e64 v45, null, s19, v8, vcc_lo
	v_add_co_u32 v3, vcc_lo, v3, s14
	v_add_co_ci_u32_e64 v4, null, s15, v4, vcc_lo
	v_lshlrev_b64 v[5:6], 2, v[9:10]
	s_mul_i32 s8, s14, s28
	v_lshlrev_b64 v[3:4], 2, v[3:4]
	s_lshl_b64 s[8:9], s[8:9], 2
	s_add_u32 s24, s10, 0xff
	v_add_co_u32 v46, vcc_lo, s16, v5
	v_add_co_ci_u32_e64 v47, null, s17, v6, vcc_lo
	v_add_co_u32 v48, vcc_lo, s18, v5
	v_add_co_ci_u32_e64 v50, null, s19, v6, vcc_lo
	;; [unrolled: 2-line block ×4, first 2 shown]
	s_addc_u32 s25, 0, 0
.LBB69_3:                               ; =>This Inner Loop Header: Depth=1
	v_cmp_ge_i64_e64 s1, s[24:25], s[12:13]
	v_add_co_u32 v57, s29, v21, s24
	v_add_co_ci_u32_e64 v58, null, 0, s25, s29
                                        ; implicit-def: $vgpr3_vgpr4_vgpr5_vgpr6_vgpr7_vgpr8_vgpr9_vgpr10
                                        ; implicit-def: $vgpr60
                                        ; implicit-def: $vgpr11_vgpr12_vgpr13_vgpr14_vgpr15_vgpr16_vgpr17_vgpr18
                                        ; implicit-def: $vgpr3
	s_and_b32 vcc_lo, exec_lo, s1
	s_mov_b32 s1, -1
                                        ; implicit-def: $vgpr4
                                        ; implicit-def: $vgpr55
	s_cbranch_vccz .LBB69_25
; %bb.4:                                ;   in Loop: Header=BB69_3 Depth=1
	s_load_dword s1, s[2:3], 0xc
	v_mov_b32_e32 v60, 0
	v_mov_b32_e32 v59, 0
	s_waitcnt lgkmcnt(0)
	s_and_b32 s1, s1, 0xffff
	v_mad_u32_u24 v3, v1, s1, v0
	s_mov_b32 s1, exec_lo
	v_and_b32_e32 v3, 31, v3
	v_cmpx_gt_u32_e32 8, v3
	s_cbranch_execz .LBB69_8
; %bb.5:                                ;   in Loop: Header=BB69_3 Depth=1
	v_add_co_u32 v3, vcc_lo, v57, v3
	v_add_co_ci_u32_e64 v4, null, 0, v58, vcc_lo
	v_mov_b32_e32 v59, 0
	v_add_co_u32 v3, vcc_lo, 0xffffff01, v3
	v_add_co_ci_u32_e64 v4, null, -1, v4, vcc_lo
	v_mov_b32_e32 v60, 0
	s_mov_b32 s29, exec_lo
	v_cmpx_gt_i64_e64 s[12:13], v[3:4]
	s_cbranch_execz .LBB69_7
; %bb.6:                                ;   in Loop: Header=BB69_3 Depth=1
	v_lshlrev_b64 v[3:4], 2, v[3:4]
	v_add_co_u32 v5, vcc_lo, s20, v3
	v_add_co_ci_u32_e64 v6, null, s21, v4, vcc_lo
	v_add_co_u32 v3, vcc_lo, s22, v3
	v_add_co_ci_u32_e64 v4, null, s23, v4, vcc_lo
	global_load_dword v59, v[5:6], off
	global_load_dword v60, v[3:4], off
.LBB69_7:                               ;   in Loop: Header=BB69_3 Depth=1
	s_or_b32 exec_lo, exec_lo, s29
.LBB69_8:                               ;   in Loop: Header=BB69_3 Depth=1
	s_or_b32 exec_lo, exec_lo, s1
	v_add_co_u32 v10, vcc_lo, 0xffffff01, v57
	v_add_co_ci_u32_e64 v11, null, -1, v58, vcc_lo
	v_mov_b32_e32 v9, v2
	v_mov_b32_e32 v3, v2
	v_mov_b32_e32 v4, v2
	v_mov_b32_e32 v5, v2
	v_mov_b32_e32 v6, v2
	v_mov_b32_e32 v7, v2
	v_mov_b32_e32 v8, v2
	v_cmp_gt_i64_e32 vcc_lo, s[12:13], v[10:11]
	v_mov_b32_e32 v18, v9
	v_mov_b32_e32 v15, v6
	;; [unrolled: 1-line block ×16, first 2 shown]
	s_and_b32 s29, s0, vcc_lo
	s_and_saveexec_b32 s1, s29
	s_cbranch_execz .LBB69_10
; %bb.9:                                ;   in Loop: Header=BB69_3 Depth=1
	v_add_co_u32 v3, vcc_lo, v22, v19
	v_add_co_ci_u32_e64 v4, null, v23, v20, vcc_lo
	v_add_co_u32 v5, vcc_lo, v24, v19
	v_add_co_ci_u32_e64 v6, null, v25, v20, vcc_lo
	global_load_dword v3, v[3:4], off
	global_load_dword v11, v[5:6], off
	v_mov_b32_e32 v4, v2
	v_mov_b32_e32 v5, v2
	;; [unrolled: 1-line block ×14, first 2 shown]
.LBB69_10:                              ;   in Loop: Header=BB69_3 Depth=1
	s_or_b32 exec_lo, exec_lo, s1
	v_add_co_u32 v61, vcc_lo, 0xffffff02, v57
	v_add_co_ci_u32_e64 v62, null, -1, v58, vcc_lo
	v_cmp_gt_i64_e32 vcc_lo, s[12:13], v[61:62]
	s_and_b32 s29, s0, vcc_lo
	s_and_saveexec_b32 s1, s29
	s_cbranch_execz .LBB69_12
; %bb.11:                               ;   in Loop: Header=BB69_3 Depth=1
	v_add_co_u32 v61, vcc_lo, v51, v19
	v_add_co_ci_u32_e64 v62, null, v52, v20, vcc_lo
	v_add_co_u32 v63, vcc_lo, v53, v19
	v_add_co_ci_u32_e64 v64, null, v54, v20, vcc_lo
	global_load_dword v4, v[61:62], off
	global_load_dword v12, v[63:64], off
.LBB69_12:                              ;   in Loop: Header=BB69_3 Depth=1
	s_or_b32 exec_lo, exec_lo, s1
	v_add_co_u32 v61, vcc_lo, 0xffffff03, v57
	v_add_co_ci_u32_e64 v62, null, -1, v58, vcc_lo
	v_cmp_gt_i64_e32 vcc_lo, s[12:13], v[61:62]
	s_and_b32 s29, s0, vcc_lo
	s_and_saveexec_b32 s1, s29
	s_cbranch_execz .LBB69_14
; %bb.13:                               ;   in Loop: Header=BB69_3 Depth=1
	v_add_co_u32 v61, vcc_lo, v46, v19
	v_add_co_ci_u32_e64 v62, null, v47, v20, vcc_lo
	v_add_co_u32 v63, vcc_lo, v48, v19
	v_add_co_ci_u32_e64 v64, null, v50, v20, vcc_lo
	global_load_dword v5, v[61:62], off
	global_load_dword v13, v[63:64], off
.LBB69_14:                              ;   in Loop: Header=BB69_3 Depth=1
	;; [unrolled: 15-line block ×7, first 2 shown]
	s_or_b32 exec_lo, exec_lo, s1
	s_waitcnt vmcnt(1)
	ds_bpermute_b32 v55, v2, v59
	ds_bpermute_b32 v61, v2, v59 offset:4
	ds_bpermute_b32 v62, v2, v59 offset:8
	s_waitcnt vmcnt(0)
	ds_bpermute_b32 v63, v2, v60
	ds_bpermute_b32 v64, v2, v59 offset:12
	ds_bpermute_b32 v65, v2, v60 offset:4
	;; [unrolled: 1-line block ×4, first 2 shown]
	v_add_f32_e32 v68, v49, v3
	ds_bpermute_b32 v69, v2, v60 offset:12
	ds_bpermute_b32 v70, v2, v59 offset:20
	s_mov_b32 s1, 0
	s_waitcnt lgkmcnt(9)
	v_sub_f32_e32 v11, v11, v55
	s_waitcnt lgkmcnt(8)
	v_sub_f32_e32 v12, v12, v61
	ds_bpermute_b32 v61, v2, v59 offset:24
	s_waitcnt lgkmcnt(8)
	v_sub_f32_e32 v13, v13, v62
	ds_bpermute_b32 v62, v2, v60 offset:20
	v_mul_f32_e32 v3, v3, v11
	ds_bpermute_b32 v11, v2, v60 offset:16
	v_mul_f32_e32 v12, v4, v12
	v_mul_f32_e32 v13, v5, v13
	v_add_f32_e32 v4, v4, v68
	s_waitcnt lgkmcnt(9)
	v_fma_f32 v55, v3, v63, v56
	s_waitcnt lgkmcnt(8)
	v_sub_f32_e32 v3, v14, v64
	ds_bpermute_b32 v63, v2, v60 offset:24
	ds_bpermute_b32 v60, v2, v60 offset:28
	v_add_f32_e32 v4, v5, v4
	s_waitcnt lgkmcnt(9)
	v_fmac_f32_e32 v55, v12, v65
	s_waitcnt lgkmcnt(8)
	v_sub_f32_e32 v12, v15, v66
	v_mul_f32_e32 v14, v6, v3
	ds_bpermute_b32 v3, v2, v59 offset:28
	s_waitcnt lgkmcnt(6)
	v_sub_f32_e32 v5, v16, v70
	v_fmac_f32_e32 v55, v13, v67
	v_mul_f32_e32 v12, v7, v12
	v_add_f32_e32 v4, v6, v4
	s_waitcnt lgkmcnt(5)
	v_sub_f32_e32 v6, v17, v61
	v_mul_f32_e32 v5, v8, v5
	v_fmac_f32_e32 v55, v14, v69
	v_add_f32_e32 v4, v7, v4
	v_mul_f32_e32 v6, v9, v6
	s_waitcnt lgkmcnt(3)
	v_fmac_f32_e32 v55, v12, v11
	v_add_f32_e32 v4, v8, v4
	v_fmac_f32_e32 v55, v5, v62
	v_add_f32_e32 v4, v9, v4
	s_waitcnt lgkmcnt(2)
	v_fmac_f32_e32 v55, v6, v63
.LBB69_25:                              ;   in Loop: Header=BB69_3 Depth=1
	s_and_b32 vcc_lo, exec_lo, s1
	s_cbranch_vccz .LBB69_47
; %bb.26:                               ;   in Loop: Header=BB69_3 Depth=1
	s_load_dword s1, s[2:3], 0x0
	v_mov_b32_e32 v59, 0
	v_mov_b32_e32 v55, 0
	s_waitcnt lgkmcnt(0)
	s_cmp_lt_u32 s6, s1
	s_cselect_b32 s1, 12, 18
	s_add_u32 s34, s2, s1
	s_addc_u32 s35, s3, 0
	s_mov_b32 s1, exec_lo
	global_load_ushort v3, v2, s[34:35]
	s_waitcnt vmcnt(0)
	v_mad_u32_u24 v3, v1, v3, v0
	v_and_b32_e32 v3, 31, v3
	v_cmpx_gt_u32_e32 8, v3
	s_cbranch_execz .LBB69_30
; %bb.27:                               ;   in Loop: Header=BB69_3 Depth=1
	v_add_co_u32 v3, vcc_lo, v57, v3
	v_add_co_ci_u32_e64 v4, null, 0, v58, vcc_lo
	v_mov_b32_e32 v55, 0
	v_add_co_u32 v3, vcc_lo, 0xffffff01, v3
	v_add_co_ci_u32_e64 v4, null, -1, v4, vcc_lo
	v_mov_b32_e32 v59, 0
	s_mov_b32 s29, exec_lo
	v_cmpx_gt_i64_e64 s[12:13], v[3:4]
	s_cbranch_execz .LBB69_29
; %bb.28:                               ;   in Loop: Header=BB69_3 Depth=1
	v_lshlrev_b64 v[3:4], 2, v[3:4]
	v_add_co_u32 v5, vcc_lo, s20, v3
	v_add_co_ci_u32_e64 v6, null, s21, v4, vcc_lo
	v_add_co_u32 v3, vcc_lo, s22, v3
	v_add_co_ci_u32_e64 v4, null, s23, v4, vcc_lo
	global_load_dword v55, v[5:6], off
	global_load_dword v59, v[3:4], off
.LBB69_29:                              ;   in Loop: Header=BB69_3 Depth=1
	s_or_b32 exec_lo, exec_lo, s29
.LBB69_30:                              ;   in Loop: Header=BB69_3 Depth=1
	s_or_b32 exec_lo, exec_lo, s1
	v_mov_b32_e32 v9, v2
	v_mov_b32_e32 v3, v2
	;; [unrolled: 1-line block ×23, first 2 shown]
	s_and_saveexec_b32 s1, s0
	s_cbranch_execz .LBB69_38
; %bb.31:                               ;   in Loop: Header=BB69_3 Depth=1
	v_add_co_u32 v3, vcc_lo, v22, v19
	v_add_co_ci_u32_e64 v4, null, v23, v20, vcc_lo
	v_add_co_u32 v5, vcc_lo, v24, v19
	v_add_co_ci_u32_e64 v6, null, v25, v20, vcc_lo
	global_load_dword v3, v[3:4], off
	global_load_dword v11, v[5:6], off
	v_mov_b32_e32 v4, v2
	v_mov_b32_e32 v5, v2
	;; [unrolled: 1-line block ×14, first 2 shown]
	s_or_b32 exec_lo, exec_lo, s1
	s_and_saveexec_b32 s1, s0
	s_cbranch_execnz .LBB69_39
.LBB69_32:                              ;   in Loop: Header=BB69_3 Depth=1
	s_or_b32 exec_lo, exec_lo, s1
	s_and_saveexec_b32 s1, s0
	s_cbranch_execz .LBB69_40
.LBB69_33:                              ;   in Loop: Header=BB69_3 Depth=1
	v_add_co_u32 v57, vcc_lo, v46, v19
	v_add_co_ci_u32_e64 v58, null, v47, v20, vcc_lo
	v_add_co_u32 v60, vcc_lo, v48, v19
	v_add_co_ci_u32_e64 v61, null, v50, v20, vcc_lo
	global_load_dword v5, v[57:58], off
	global_load_dword v13, v[60:61], off
	s_or_b32 exec_lo, exec_lo, s1
	s_and_saveexec_b32 s1, s0
	s_cbranch_execnz .LBB69_41
.LBB69_34:                              ;   in Loop: Header=BB69_3 Depth=1
	s_or_b32 exec_lo, exec_lo, s1
	s_and_saveexec_b32 s1, s0
	s_cbranch_execz .LBB69_42
.LBB69_35:                              ;   in Loop: Header=BB69_3 Depth=1
	v_add_co_u32 v57, vcc_lo, v38, v19
	v_add_co_ci_u32_e64 v58, null, v39, v20, vcc_lo
	v_add_co_u32 v60, vcc_lo, v40, v19
	v_add_co_ci_u32_e64 v61, null, v41, v20, vcc_lo
	global_load_dword v7, v[57:58], off
	global_load_dword v15, v[60:61], off
	s_or_b32 exec_lo, exec_lo, s1
	s_and_saveexec_b32 s1, s0
	s_cbranch_execnz .LBB69_43
.LBB69_36:                              ;   in Loop: Header=BB69_3 Depth=1
	s_or_b32 exec_lo, exec_lo, s1
	s_and_saveexec_b32 s1, s0
	s_cbranch_execz .LBB69_44
.LBB69_37:                              ;   in Loop: Header=BB69_3 Depth=1
	v_add_co_u32 v57, vcc_lo, v30, v19
	v_add_co_ci_u32_e64 v58, null, v31, v20, vcc_lo
	v_add_co_u32 v60, vcc_lo, v32, v19
	v_add_co_ci_u32_e64 v61, null, v33, v20, vcc_lo
	global_load_dword v9, v[57:58], off
	global_load_dword v17, v[60:61], off
	s_or_b32 exec_lo, exec_lo, s1
	s_and_saveexec_b32 s1, s0
	s_cbranch_execnz .LBB69_45
	s_branch .LBB69_46
.LBB69_38:                              ;   in Loop: Header=BB69_3 Depth=1
	s_or_b32 exec_lo, exec_lo, s1
	s_and_saveexec_b32 s1, s0
	s_cbranch_execz .LBB69_32
.LBB69_39:                              ;   in Loop: Header=BB69_3 Depth=1
	v_add_co_u32 v57, vcc_lo, v51, v19
	v_add_co_ci_u32_e64 v58, null, v52, v20, vcc_lo
	v_add_co_u32 v60, vcc_lo, v53, v19
	v_add_co_ci_u32_e64 v61, null, v54, v20, vcc_lo
	global_load_dword v4, v[57:58], off
	global_load_dword v12, v[60:61], off
	s_or_b32 exec_lo, exec_lo, s1
	s_and_saveexec_b32 s1, s0
	s_cbranch_execnz .LBB69_33
.LBB69_40:                              ;   in Loop: Header=BB69_3 Depth=1
	s_or_b32 exec_lo, exec_lo, s1
	s_and_saveexec_b32 s1, s0
	s_cbranch_execz .LBB69_34
.LBB69_41:                              ;   in Loop: Header=BB69_3 Depth=1
	v_add_co_u32 v57, vcc_lo, v42, v19
	v_add_co_ci_u32_e64 v58, null, v43, v20, vcc_lo
	v_add_co_u32 v60, vcc_lo, v44, v19
	v_add_co_ci_u32_e64 v61, null, v45, v20, vcc_lo
	global_load_dword v6, v[57:58], off
	global_load_dword v14, v[60:61], off
	s_or_b32 exec_lo, exec_lo, s1
	s_and_saveexec_b32 s1, s0
	s_cbranch_execnz .LBB69_35
.LBB69_42:                              ;   in Loop: Header=BB69_3 Depth=1
	s_or_b32 exec_lo, exec_lo, s1
	s_and_saveexec_b32 s1, s0
	s_cbranch_execz .LBB69_36
.LBB69_43:                              ;   in Loop: Header=BB69_3 Depth=1
	v_add_co_u32 v57, vcc_lo, v34, v19
	v_add_co_ci_u32_e64 v58, null, v35, v20, vcc_lo
	v_add_co_u32 v60, vcc_lo, v36, v19
	v_add_co_ci_u32_e64 v61, null, v37, v20, vcc_lo
	global_load_dword v8, v[57:58], off
	global_load_dword v16, v[60:61], off
	s_or_b32 exec_lo, exec_lo, s1
	s_and_saveexec_b32 s1, s0
	s_cbranch_execnz .LBB69_37
.LBB69_44:                              ;   in Loop: Header=BB69_3 Depth=1
	s_or_b32 exec_lo, exec_lo, s1
	s_and_saveexec_b32 s1, s0
	s_cbranch_execz .LBB69_46
.LBB69_45:                              ;   in Loop: Header=BB69_3 Depth=1
	v_add_co_u32 v57, vcc_lo, v26, v19
	v_add_co_ci_u32_e64 v58, null, v27, v20, vcc_lo
	v_add_co_u32 v60, vcc_lo, v28, v19
	v_add_co_ci_u32_e64 v61, null, v29, v20, vcc_lo
	global_load_dword v10, v[57:58], off
	global_load_dword v18, v[60:61], off
.LBB69_46:                              ;   in Loop: Header=BB69_3 Depth=1
	s_or_b32 exec_lo, exec_lo, s1
	s_waitcnt vmcnt(1)
	ds_bpermute_b32 v57, v2, v55
	ds_bpermute_b32 v58, v2, v55 offset:4
	ds_bpermute_b32 v60, v2, v55 offset:8
	s_waitcnt vmcnt(0)
	ds_bpermute_b32 v61, v2, v59
	ds_bpermute_b32 v62, v2, v55 offset:12
	ds_bpermute_b32 v63, v2, v59 offset:4
	;; [unrolled: 1-line block ×5, first 2 shown]
	s_waitcnt lgkmcnt(8)
	v_sub_f32_e32 v11, v11, v57
	ds_bpermute_b32 v57, v2, v59 offset:12
	s_waitcnt lgkmcnt(8)
	v_sub_f32_e32 v12, v12, v58
	s_waitcnt lgkmcnt(7)
	v_sub_f32_e32 v13, v13, v60
	ds_bpermute_b32 v58, v2, v59 offset:20
	v_mul_f32_e32 v11, v3, v11
	v_add_f32_e32 v3, v49, v3
	ds_bpermute_b32 v49, v2, v59 offset:16
	v_mul_f32_e32 v12, v4, v12
	s_waitcnt lgkmcnt(7)
	v_sub_f32_e32 v14, v14, v62
	v_fmac_f32_e32 v56, v11, v61
	ds_bpermute_b32 v11, v2, v55 offset:24
	v_mul_f32_e32 v13, v5, v13
	v_add_f32_e32 v3, v4, v3
	s_waitcnt lgkmcnt(6)
	v_sub_f32_e32 v4, v15, v64
	v_fmac_f32_e32 v56, v12, v63
	v_mul_f32_e32 v12, v6, v14
	s_waitcnt lgkmcnt(4)
	v_sub_f32_e32 v14, v16, v66
	v_add_f32_e32 v5, v5, v3
	v_mul_f32_e32 v4, v7, v4
	v_fmac_f32_e32 v56, v13, v65
	ds_bpermute_b32 v13, v2, v59 offset:24
	ds_bpermute_b32 v60, v2, v59 offset:28
	;; [unrolled: 1-line block ×3, first 2 shown]
	v_add_f32_e32 v5, v6, v5
	s_waitcnt lgkmcnt(6)
	v_fmac_f32_e32 v56, v12, v57
	v_mul_f32_e32 v6, v8, v14
	v_add_f32_e32 v5, v7, v5
	s_waitcnt lgkmcnt(4)
	v_fmac_f32_e32 v56, v4, v49
	s_waitcnt lgkmcnt(3)
	v_sub_f32_e32 v4, v17, v11
	v_add_f32_e32 v5, v8, v5
	v_fmac_f32_e32 v56, v6, v58
	v_mul_f32_e32 v4, v9, v4
	s_waitcnt lgkmcnt(2)
	v_fmac_f32_e32 v56, v4, v13
	v_add_f32_e32 v4, v9, v5
	v_mov_b32_e32 v55, v56
.LBB69_47:                              ;   in Loop: Header=BB69_3 Depth=1
	v_add_co_u32 v22, vcc_lo, v22, s8
	v_add_co_ci_u32_e64 v23, null, s9, v23, vcc_lo
	v_add_co_u32 v24, vcc_lo, v24, s8
	v_add_co_ci_u32_e64 v25, null, s9, v25, vcc_lo
	;; [unrolled: 2-line block ×10, first 2 shown]
	v_add_co_u32 v42, vcc_lo, v42, s8
	s_waitcnt lgkmcnt(0)
	v_sub_f32_e32 v3, v18, v3
	v_add_co_ci_u32_e64 v43, null, s9, v43, vcc_lo
	v_add_co_u32 v44, vcc_lo, v44, s8
	v_add_co_ci_u32_e64 v45, null, s9, v45, vcc_lo
	v_add_co_u32 v46, vcc_lo, v46, s8
	s_add_u32 s26, s26, s28
	v_add_co_ci_u32_e64 v47, null, s9, v47, vcc_lo
	v_add_co_u32 v48, vcc_lo, v48, s8
	v_mul_f32_e32 v3, v10, v3
	s_addc_u32 s27, s27, 0
	v_add_co_ci_u32_e64 v50, null, s9, v50, vcc_lo
	v_add_co_u32 v51, vcc_lo, v51, s8
	v_cmp_lt_i64_e64 s1, s[26:27], s[12:13]
	v_add_co_ci_u32_e64 v52, null, s9, v52, vcc_lo
	v_add_co_u32 v53, vcc_lo, v53, s8
	v_add_f32_e32 v49, v4, v10
	v_fmac_f32_e32 v55, v3, v60
	v_add_co_ci_u32_e64 v54, null, s9, v54, vcc_lo
	s_add_u32 s24, s24, s28
	s_addc_u32 s25, s25, 0
	s_and_b32 vcc_lo, exec_lo, s1
	s_cbranch_vccz .LBB69_50
; %bb.48:                               ;   in Loop: Header=BB69_3 Depth=1
	v_mov_b32_e32 v56, v55
	s_branch .LBB69_3
.LBB69_49:
                                        ; implicit-def: $vgpr49
                                        ; implicit-def: $vgpr55
	s_branch .LBB69_51
.LBB69_50:
	s_cbranch_execnz .LBB69_82
.LBB69_51:
	v_mov_b32_e32 v49, 0
	v_mov_b32_e32 v55, 0
	s_andn2_b32 vcc_lo, exec_lo, s7
	s_cbranch_vccnz .LBB69_82
; %bb.52:
	s_load_dword s0, s[4:5], 0x44
	v_lshlrev_b32_e32 v50, 3, v1
	s_add_u32 s24, s4, 64
	s_addc_u32 s25, s5, 0
	v_lshlrev_b32_e32 v8, 5, v1
	v_add_co_u32 v4, s1, v50, s10
	v_add_co_ci_u32_e64 v5, null, 0, 0, s1
	v_mul_lo_u32 v6, s15, v4
	v_mad_u64_u32 v[2:3], null, s14, v4, 0
	v_mul_lo_u32 v7, s14, v5
	s_waitcnt lgkmcnt(0)
	s_lshl_b32 s31, s0, 8
	v_add3_u32 v3, v3, v7, v6
	s_mul_i32 s1, s15, s31
	s_mul_hi_u32 s2, s14, s31
	s_mul_i32 s0, s14, s31
	s_add_i32 s1, s2, s1
	v_lshlrev_b64 v[6:7], 2, v[2:3]
	s_lshl_b64 s[26:27], s[0:1], 2
	s_add_u32 s28, s10, 0xff
	s_addc_u32 s29, 0, 0
	s_lshl_b64 s[0:1], s[10:11], 2
	v_add_co_u32 v8, s0, v8, s0
	v_add_co_ci_u32_e64 v9, null, 0, s1, s0
	v_add_co_u32 v10, vcc_lo, v8, 4
	v_add_co_ci_u32_e64 v11, null, 0, v9, vcc_lo
	v_add_co_u32 v51, vcc_lo, s16, v6
	v_add_co_ci_u32_e64 v52, null, s17, v7, vcc_lo
	;; [unrolled: 2-line block ×6, first 2 shown]
	v_add_co_u32 v41, vcc_lo, v8, 20
	v_mad_u64_u32 v[21:22], null, s14, v6, s[16:17]
	v_mul_lo_u32 v7, s14, v7
	v_mul_lo_u32 v15, s15, v6
	v_mad_u64_u32 v[35:36], null, s14, v6, s[18:19]
	v_add_co_ci_u32_e64 v29, null, 0, v9, vcc_lo
	v_add_co_u32 v43, vcc_lo, v8, 24
	v_add_co_ci_u32_e64 v31, null, 0, v9, vcc_lo
	v_add_co_u32 v8, vcc_lo, v8, 28
	v_mad_u64_u32 v[19:20], null, s14, v10, s[16:17]
	v_mul_lo_u32 v11, s14, v11
	v_mul_lo_u32 v12, s15, v10
	v_mad_u64_u32 v[33:34], null, s14, v10, s[18:19]
	v_add_co_ci_u32_e64 v9, null, 0, v9, vcc_lo
	v_add_co_u32 v6, vcc_lo, v4, 7
	v_add3_u32 v22, v15, v22, v7
	v_add3_u32 v36, v15, v36, v7
	v_add_co_ci_u32_e64 v7, null, 0, v5, vcc_lo
	v_mul_lo_u32 v57, s14, v9
	v_add_co_u32 v9, vcc_lo, v4, 6
	v_add3_u32 v20, v12, v20, v11
	v_add3_u32 v34, v12, v34, v11
	v_add_co_ci_u32_e64 v12, null, 0, v5, vcc_lo
	v_mul_lo_u32 v10, s15, v6
	v_mul_lo_u32 v11, s14, v7
	v_mad_u64_u32 v[6:7], null, s14, v6, 0
	v_mad_u64_u32 v[23:24], null, s14, v13, s[16:17]
	v_mul_lo_u32 v17, s15, v13
	v_mul_lo_u32 v55, s14, v31
	v_mad_u64_u32 v[31:32], null, s14, v8, s[16:17]
	v_mul_lo_u32 v58, s15, v8
	v_mad_u64_u32 v[37:38], null, s14, v13, s[18:19]
	v_mad_u64_u32 v[45:46], null, s14, v8, s[18:19]
	v_mul_lo_u32 v13, s15, v9
	v_mul_lo_u32 v12, s14, v12
	v_mad_u64_u32 v[8:9], null, s14, v9, 0
	v_add3_u32 v7, v7, v11, v10
	v_add_co_u32 v10, vcc_lo, v4, 5
	v_mul_lo_u32 v48, s14, v29
	v_mad_u64_u32 v[29:30], null, s14, v43, s[16:17]
	v_mul_lo_u32 v56, s15, v43
	v_mad_u64_u32 v[43:44], null, s14, v43, s[18:19]
	v_add3_u32 v9, v9, v12, v13
	v_add_co_ci_u32_e64 v11, null, 0, v5, vcc_lo
	v_lshlrev_b64 v[6:7], 2, v[6:7]
	v_mul_lo_u32 v12, s15, v10
	v_lshlrev_b64 v[8:9], 2, v[8:9]
	v_mul_lo_u32 v13, s14, v11
	v_mad_u64_u32 v[10:11], null, s14, v10, 0
	v_add3_u32 v30, v56, v30, v55
	v_add3_u32 v44, v56, v44, v55
	v_add_co_u32 v56, vcc_lo, s16, v6
	v_add3_u32 v32, v58, v32, v57
	v_add3_u32 v46, v58, v46, v57
	v_add_co_ci_u32_e64 v57, null, s17, v7, vcc_lo
	v_add_co_u32 v58, vcc_lo, s18, v6
	v_add_co_ci_u32_e64 v59, null, s19, v7, vcc_lo
	v_add_co_u32 v60, vcc_lo, s16, v8
	v_add_co_ci_u32_e64 v61, null, s17, v9, vcc_lo
	v_add3_u32 v11, v11, v13, v12
	v_add_co_u32 v12, vcc_lo, v4, 4
	v_add_co_ci_u32_e64 v13, null, 0, v5, vcc_lo
	v_add_co_u32 v62, vcc_lo, s18, v8
	v_mul_lo_u32 v14, s14, v14
	v_add_co_ci_u32_e64 v63, null, s19, v9, vcc_lo
	v_lshlrev_b64 v[6:7], 2, v[10:11]
	v_mul_lo_u32 v10, s15, v12
	v_mul_lo_u32 v11, s14, v13
	v_mad_u64_u32 v[8:9], null, s14, v12, 0
	v_add_co_u32 v12, vcc_lo, v4, 3
	v_add_co_ci_u32_e64 v13, null, 0, v5, vcc_lo
	v_add_co_u32 v64, vcc_lo, s16, v6
	v_add3_u32 v24, v17, v24, v14
	v_add3_u32 v38, v17, v38, v14
	v_add_co_ci_u32_e64 v65, null, s17, v7, vcc_lo
	v_add3_u32 v9, v9, v11, v10
	v_mul_lo_u32 v14, s15, v12
	v_mad_u64_u32 v[10:11], null, s14, v12, 0
	v_add_co_u32 v12, vcc_lo, v4, 2
	v_mul_lo_u32 v13, s14, v13
	v_add_co_ci_u32_e64 v15, null, 0, v5, vcc_lo
	v_add_co_u32 v66, vcc_lo, s18, v6
	v_lshlrev_b64 v[4:5], 2, v[8:9]
	v_add_co_ci_u32_e64 v67, null, s19, v7, vcc_lo
	v_mul_lo_u32 v8, s15, v12
	v_mul_lo_u32 v9, s14, v15
	v_mad_u64_u32 v[6:7], null, s14, v12, 0
	v_add3_u32 v11, v11, v13, v14
	v_add_co_u32 v68, vcc_lo, s16, v4
	v_add_co_ci_u32_e64 v69, null, s17, v5, vcc_lo
	v_add_co_u32 v70, vcc_lo, s18, v4
	v_add_co_ci_u32_e64 v71, null, s19, v5, vcc_lo
	v_lshlrev_b64 v[4:5], 2, v[10:11]
	v_add3_u32 v7, v7, v9, v8
	v_add_co_u32 v2, vcc_lo, v2, s14
	v_add_co_ci_u32_e64 v3, null, s15, v3, vcc_lo
	v_lshlrev_b64 v[6:7], 2, v[6:7]
	v_add_co_u32 v72, vcc_lo, s16, v4
	v_add_co_ci_u32_e64 v73, null, s17, v5, vcc_lo
	v_add_co_u32 v74, vcc_lo, s18, v4
	v_lshlrev_b64 v[3:4], 2, v[2:3]
	v_mov_b32_e32 v2, 0
	v_mad_u64_u32 v[25:26], null, s14, v16, s[16:17]
	v_mul_lo_u32 v18, s14, v18
	v_mul_lo_u32 v47, s15, v16
	v_mad_u64_u32 v[27:28], null, s14, v41, s[16:17]
	v_mul_lo_u32 v49, s15, v41
	v_mad_u64_u32 v[39:40], null, s14, v16, s[18:19]
	v_mad_u64_u32 v[41:42], null, s14, v41, s[18:19]
	v_add_co_ci_u32_e64 v75, null, s19, v5, vcc_lo
	v_add_co_u32 v76, vcc_lo, s16, v6
	v_add_co_ci_u32_e64 v77, null, s17, v7, vcc_lo
	v_add_co_u32 v78, vcc_lo, s18, v6
	v_add_nc_u32_e32 v5, s30, v0
	v_mov_b32_e32 v6, v2
	v_add_co_ci_u32_e64 v79, null, s19, v7, vcc_lo
	v_add_co_u32 v80, vcc_lo, s16, v3
	v_add_co_ci_u32_e64 v81, null, s17, v4, vcc_lo
	v_add_co_u32 v82, vcc_lo, s18, v3
	v_add3_u32 v26, v47, v26, v18
	v_add3_u32 v28, v49, v28, v48
	;; [unrolled: 1-line block ×4, first 2 shown]
	v_lshlrev_b64 v[47:48], 2, v[5:6]
	v_add_co_ci_u32_e64 v83, null, s19, v4, vcc_lo
	v_mov_b32_e32 v55, 0
	v_mov_b32_e32 v49, 0
	s_branch .LBB69_56
.LBB69_53:                              ;   in Loop: Header=BB69_56 Depth=1
	s_or_b32 exec_lo, exec_lo, s1
.LBB69_54:                              ;   in Loop: Header=BB69_56 Depth=1
	s_or_b32 exec_lo, exec_lo, s0
	v_add_co_u32 v3, vcc_lo, v53, v47
	v_add_co_ci_u32_e64 v4, null, v54, v48, vcc_lo
	v_add_co_u32 v7, vcc_lo, v51, v47
	v_add_co_ci_u32_e64 v8, null, v52, v48, vcc_lo
	global_load_dword v84, v[3:4], off
	global_load_dword v85, v[7:8], off
	v_add_co_u32 v3, vcc_lo, v33, v47
	v_add_co_ci_u32_e64 v4, null, v34, v48, vcc_lo
	v_add_co_u32 v10, s2, v39, v47
	v_add_co_ci_u32_e64 v11, null, v40, v48, s2
	global_load_dword v86, v[3:4], off
	v_add_co_u32 v3, vcc_lo, v19, v47
	v_add_co_ci_u32_e64 v4, null, v20, v48, vcc_lo
	v_add_co_u32 v13, s7, v41, v47
	s_waitcnt vmcnt(4)
	ds_bpermute_b32 v90, v2, v6
	global_load_dword v87, v[3:4], off
	v_add_co_u32 v3, vcc_lo, v35, v47
	v_add_co_ci_u32_e64 v4, null, v36, v48, vcc_lo
	v_add_co_u32 v7, vcc_lo, v21, v47
	v_add_co_ci_u32_e64 v8, null, v22, v48, vcc_lo
	global_load_dword v88, v[3:4], off
	global_load_dword v89, v[7:8], off
	v_add_co_u32 v7, s0, v37, v47
	v_add_co_ci_u32_e64 v8, null, v38, v48, s0
	v_add_co_ci_u32_e64 v14, null, v42, v48, s7
	global_load_dword v11, v[10:11], off
	v_add_co_u32 v3, vcc_lo, v23, v47
	v_add_co_u32 v9, s1, v25, v47
	global_load_dword v91, v[7:8], off
	global_load_dword v14, v[13:14], off
	v_add_co_ci_u32_e64 v4, null, v24, v48, vcc_lo
	v_add_co_ci_u32_e64 v10, null, v26, v48, s1
	s_waitcnt vmcnt(9)
	ds_bpermute_b32 v92, v2, v5
	global_load_dword v93, v[3:4], off
	global_load_dword v9, v[9:10], off
	v_add_co_u32 v12, s3, v27, v47
	v_add_co_u32 v15, s8, v43, v47
	;; [unrolled: 1-line block ×3, first 2 shown]
	v_add_co_ci_u32_e64 v13, null, v28, v48, s3
	v_add_co_ci_u32_e64 v16, null, v44, v48, s8
	;; [unrolled: 1-line block ×3, first 2 shown]
	v_add_co_u32 v7, vcc_lo, v29, v47
	global_load_dword v12, v[12:13], off
	v_add_co_ci_u32_e64 v8, null, v30, v48, vcc_lo
	global_load_dword v13, v[15:16], off
	global_load_dword v15, v[17:18], off
	v_add_co_u32 v3, s0, v31, v47
	global_load_dword v7, v[7:8], off
	ds_bpermute_b32 v8, v2, v6 offset:12
	ds_bpermute_b32 v17, v2, v5 offset:12
	ds_bpermute_b32 v18, v2, v5 offset:16
	s_waitcnt vmcnt(14) lgkmcnt(4)
	v_sub_f32_e32 v4, v84, v90
	s_waitcnt vmcnt(13)
	v_add_f32_e32 v16, v49, v85
	ds_bpermute_b32 v49, v2, v5 offset:24
	v_mul_f32_e32 v10, v85, v4
	v_add_co_ci_u32_e64 v4, null, v32, v48, s0
	s_waitcnt lgkmcnt(4)
	v_fmac_f32_e32 v55, v10, v92
	global_load_dword v10, v[3:4], off
	ds_bpermute_b32 v3, v2, v6 offset:4
	ds_bpermute_b32 v4, v2, v5 offset:4
	s_waitcnt vmcnt(12)
	v_add_f32_e32 v16, v16, v87
	s_waitcnt vmcnt(10)
	v_add_f32_e32 v16, v16, v89
	s_waitcnt lgkmcnt(1)
	v_sub_f32_e32 v3, v86, v3
	v_mul_f32_e32 v3, v87, v3
	s_waitcnt vmcnt(8)
	v_sub_f32_e32 v8, v91, v8
	s_waitcnt lgkmcnt(0)
	v_fmac_f32_e32 v55, v3, v4
	ds_bpermute_b32 v3, v2, v6 offset:8
	ds_bpermute_b32 v4, v2, v5 offset:8
	s_waitcnt vmcnt(6)
	v_mul_f32_e32 v8, v93, v8
	s_waitcnt lgkmcnt(1)
	v_sub_f32_e32 v3, v88, v3
	v_mul_f32_e32 v3, v89, v3
	s_waitcnt lgkmcnt(0)
	v_fmac_f32_e32 v55, v3, v4
	ds_bpermute_b32 v3, v2, v6 offset:16
	ds_bpermute_b32 v4, v2, v6 offset:20
	v_fmac_f32_e32 v55, v8, v17
	v_add_f32_e32 v8, v16, v93
	s_waitcnt vmcnt(5)
	v_add_f32_e32 v8, v8, v9
	s_waitcnt lgkmcnt(1)
	v_sub_f32_e32 v3, v11, v3
	ds_bpermute_b32 v11, v2, v6 offset:24
	ds_bpermute_b32 v6, v2, v6 offset:28
	s_waitcnt lgkmcnt(2)
	v_sub_f32_e32 v4, v14, v4
	ds_bpermute_b32 v14, v2, v5 offset:20
	ds_bpermute_b32 v5, v2, v5 offset:28
	v_mul_f32_e32 v3, v9, v3
	s_waitcnt vmcnt(4)
	v_mul_f32_e32 v4, v12, v4
	v_fmac_f32_e32 v55, v3, v18
	s_waitcnt vmcnt(3) lgkmcnt(3)
	v_sub_f32_e32 v3, v13, v11
	s_waitcnt vmcnt(2) lgkmcnt(2)
	v_sub_f32_e32 v6, v15, v6
	s_waitcnt lgkmcnt(1)
	v_fmac_f32_e32 v55, v4, v14
	v_add_f32_e32 v4, v8, v12
	s_waitcnt vmcnt(1)
	v_mul_f32_e32 v3, v7, v3
	v_fmac_f32_e32 v55, v3, v49
	v_add_f32_e32 v3, v4, v7
	v_mov_b32_e32 v11, v55
	s_waitcnt vmcnt(0)
	v_mul_f32_e32 v6, v10, v6
	s_waitcnt lgkmcnt(0)
	v_mul_f32_e32 v4, v6, v5
.LBB69_55:                              ;   in Loop: Header=BB69_56 Depth=1
	v_add_co_u32 v51, vcc_lo, v51, s26
	v_add_co_ci_u32_e64 v52, null, s27, v52, vcc_lo
	v_add_co_u32 v53, vcc_lo, v53, s26
	v_add_co_ci_u32_e64 v54, null, s27, v54, vcc_lo
	;; [unrolled: 2-line block ×26, first 2 shown]
	v_add_co_u32 v76, vcc_lo, v76, s26
	s_add_u32 s10, s10, s31
	v_add_co_ci_u32_e64 v77, null, s27, v77, vcc_lo
	v_add_co_u32 v78, vcc_lo, v78, s26
	s_addc_u32 s11, s11, 0
	v_add_co_ci_u32_e64 v79, null, s27, v79, vcc_lo
	v_add_co_u32 v80, vcc_lo, v80, s26
	v_cmp_ge_i64_e64 s0, s[10:11], s[12:13]
	v_add_co_ci_u32_e64 v81, null, s27, v81, vcc_lo
	v_add_co_u32 v82, vcc_lo, v82, s26
	v_add_f32_e32 v55, v11, v4
	v_add_f32_e32 v49, v3, v10
	v_add_co_ci_u32_e64 v83, null, s27, v83, vcc_lo
	s_add_u32 s28, s28, s31
	s_addc_u32 s29, s29, 0
	s_and_b32 vcc_lo, exec_lo, s0
	s_cbranch_vccnz .LBB69_82
.LBB69_56:                              ; =>This Inner Loop Header: Depth=1
	v_cmp_ge_i64_e64 s0, s[28:29], s[12:13]
	v_add_co_u32 v84, s1, v50, s28
	v_add_co_ci_u32_e64 v85, null, 0, s29, s1
                                        ; implicit-def: $vgpr10
                                        ; implicit-def: $vgpr4
                                        ; implicit-def: $vgpr3
                                        ; implicit-def: $vgpr11
	s_and_b32 vcc_lo, exec_lo, s0
	s_mov_b32 s0, -1
	s_cbranch_vccz .LBB69_78
; %bb.57:                               ;   in Loop: Header=BB69_56 Depth=1
	s_load_dword s0, s[24:25], 0xc
	v_mov_b32_e32 v87, 0
	v_mov_b32_e32 v86, 0
	s_waitcnt lgkmcnt(0)
	s_and_b32 s0, s0, 0xffff
	v_mad_u32_u24 v3, v1, s0, v0
	s_mov_b32 s0, exec_lo
	v_and_b32_e32 v3, 31, v3
	v_cmpx_gt_u32_e32 8, v3
	s_cbranch_execz .LBB69_61
; %bb.58:                               ;   in Loop: Header=BB69_56 Depth=1
	v_add_co_u32 v3, vcc_lo, v84, v3
	v_add_co_ci_u32_e64 v4, null, 0, v85, vcc_lo
	v_mov_b32_e32 v86, 0
	v_add_co_u32 v3, vcc_lo, 0xffffff01, v3
	v_add_co_ci_u32_e64 v4, null, -1, v4, vcc_lo
	v_mov_b32_e32 v87, 0
	s_mov_b32 s1, exec_lo
	v_cmpx_gt_i64_e64 s[12:13], v[3:4]
	s_cbranch_execz .LBB69_60
; %bb.59:                               ;   in Loop: Header=BB69_56 Depth=1
	v_lshlrev_b64 v[3:4], 2, v[3:4]
	v_add_co_u32 v5, vcc_lo, s20, v3
	v_add_co_ci_u32_e64 v6, null, s21, v4, vcc_lo
	v_add_co_u32 v3, vcc_lo, s22, v3
	v_add_co_ci_u32_e64 v4, null, s23, v4, vcc_lo
	global_load_dword v86, v[5:6], off
	global_load_dword v87, v[3:4], off
.LBB69_60:                              ;   in Loop: Header=BB69_56 Depth=1
	s_or_b32 exec_lo, exec_lo, s1
.LBB69_61:                              ;   in Loop: Header=BB69_56 Depth=1
	s_or_b32 exec_lo, exec_lo, s0
	v_add_co_u32 v10, vcc_lo, 0xffffff01, v84
	v_add_co_ci_u32_e64 v11, null, -1, v85, vcc_lo
	v_mov_b32_e32 v9, v2
	v_mov_b32_e32 v3, v2
	;; [unrolled: 1-line block ×7, first 2 shown]
	v_cmp_gt_i64_e32 vcc_lo, s[12:13], v[10:11]
	v_mov_b32_e32 v18, v9
	v_mov_b32_e32 v15, v6
	v_mov_b32_e32 v16, v7
	v_mov_b32_e32 v17, v8
	v_mov_b32_e32 v14, v5
	v_mov_b32_e32 v13, v4
	v_mov_b32_e32 v12, v3
	v_mov_b32_e32 v11, v2
	v_mov_b32_e32 v10, v9
	v_mov_b32_e32 v9, v8
	v_mov_b32_e32 v8, v7
	v_mov_b32_e32 v7, v6
	v_mov_b32_e32 v6, v5
	v_mov_b32_e32 v5, v4
	v_mov_b32_e32 v4, v3
	v_mov_b32_e32 v3, v2
	s_and_saveexec_b32 s0, vcc_lo
	s_cbranch_execz .LBB69_63
; %bb.62:                               ;   in Loop: Header=BB69_56 Depth=1
	v_add_co_u32 v3, vcc_lo, v51, v47
	v_add_co_ci_u32_e64 v4, null, v52, v48, vcc_lo
	v_add_co_u32 v5, vcc_lo, v53, v47
	v_add_co_ci_u32_e64 v6, null, v54, v48, vcc_lo
	global_load_dword v3, v[3:4], off
	global_load_dword v11, v[5:6], off
	v_mov_b32_e32 v4, v2
	v_mov_b32_e32 v5, v2
	;; [unrolled: 1-line block ×14, first 2 shown]
.LBB69_63:                              ;   in Loop: Header=BB69_56 Depth=1
	s_or_b32 exec_lo, exec_lo, s0
	v_add_co_u32 v88, vcc_lo, 0xffffff02, v84
	v_add_co_ci_u32_e64 v89, null, -1, v85, vcc_lo
	s_mov_b32 s0, exec_lo
	v_cmpx_gt_i64_e64 s[12:13], v[88:89]
	s_cbranch_execz .LBB69_65
; %bb.64:                               ;   in Loop: Header=BB69_56 Depth=1
	v_add_co_u32 v88, vcc_lo, v80, v47
	v_add_co_ci_u32_e64 v89, null, v81, v48, vcc_lo
	v_add_co_u32 v90, vcc_lo, v82, v47
	v_add_co_ci_u32_e64 v91, null, v83, v48, vcc_lo
	global_load_dword v4, v[88:89], off
	global_load_dword v12, v[90:91], off
.LBB69_65:                              ;   in Loop: Header=BB69_56 Depth=1
	s_or_b32 exec_lo, exec_lo, s0
	v_add_co_u32 v88, vcc_lo, 0xffffff03, v84
	v_add_co_ci_u32_e64 v89, null, -1, v85, vcc_lo
	s_mov_b32 s0, exec_lo
	v_cmpx_gt_i64_e64 s[12:13], v[88:89]
	s_cbranch_execz .LBB69_67
; %bb.66:                               ;   in Loop: Header=BB69_56 Depth=1
	v_add_co_u32 v88, vcc_lo, v76, v47
	v_add_co_ci_u32_e64 v89, null, v77, v48, vcc_lo
	v_add_co_u32 v90, vcc_lo, v78, v47
	v_add_co_ci_u32_e64 v91, null, v79, v48, vcc_lo
	global_load_dword v5, v[88:89], off
	global_load_dword v13, v[90:91], off
.LBB69_67:                              ;   in Loop: Header=BB69_56 Depth=1
	;; [unrolled: 14-line block ×7, first 2 shown]
	s_or_b32 exec_lo, exec_lo, s0
	s_waitcnt vmcnt(1)
	ds_bpermute_b32 v89, v2, v86
	s_waitcnt vmcnt(0)
	ds_bpermute_b32 v88, v2, v87
	s_mov_b32 s0, 0
	s_waitcnt lgkmcnt(1)
	v_sub_f32_e32 v11, v11, v89
	ds_bpermute_b32 v89, v2, v86 offset:4
	v_mul_f32_e32 v11, v3, v11
	v_add_f32_e32 v3, v49, v3
	s_waitcnt lgkmcnt(1)
	v_fma_f32 v11, v11, v88, v55
	ds_bpermute_b32 v88, v2, v87 offset:4
	v_add_f32_e32 v3, v4, v3
	v_add_f32_e32 v3, v5, v3
	s_waitcnt lgkmcnt(1)
	v_sub_f32_e32 v12, v12, v89
	v_add_f32_e32 v3, v6, v3
	v_mul_f32_e32 v12, v4, v12
	ds_bpermute_b32 v4, v2, v87 offset:8
	v_add_f32_e32 v3, v7, v3
	s_waitcnt lgkmcnt(1)
	v_fmac_f32_e32 v11, v12, v88
	ds_bpermute_b32 v12, v2, v86 offset:8
	v_add_f32_e32 v3, v8, v3
	v_add_f32_e32 v3, v9, v3
	s_waitcnt lgkmcnt(0)
	v_sub_f32_e32 v12, v13, v12
	v_mul_f32_e32 v12, v5, v12
	ds_bpermute_b32 v5, v2, v86 offset:12
	v_fmac_f32_e32 v11, v12, v4
	ds_bpermute_b32 v4, v2, v87 offset:12
	s_waitcnt lgkmcnt(1)
	v_sub_f32_e32 v5, v14, v5
	v_mul_f32_e32 v5, v6, v5
	s_waitcnt lgkmcnt(0)
	v_fmac_f32_e32 v11, v5, v4
	ds_bpermute_b32 v5, v2, v86 offset:16
	ds_bpermute_b32 v4, v2, v87 offset:16
	s_waitcnt lgkmcnt(1)
	v_sub_f32_e32 v5, v15, v5
	v_mul_f32_e32 v5, v7, v5
	s_waitcnt lgkmcnt(0)
	v_fmac_f32_e32 v11, v5, v4
	ds_bpermute_b32 v5, v2, v86 offset:20
	ds_bpermute_b32 v4, v2, v87 offset:20
	s_waitcnt lgkmcnt(1)
	v_sub_f32_e32 v5, v16, v5
	v_mul_f32_e32 v5, v8, v5
	s_waitcnt lgkmcnt(0)
	v_fmac_f32_e32 v11, v5, v4
	ds_bpermute_b32 v5, v2, v86 offset:24
	ds_bpermute_b32 v4, v2, v87 offset:24
	s_waitcnt lgkmcnt(1)
	v_sub_f32_e32 v5, v17, v5
	v_mul_f32_e32 v5, v9, v5
	s_waitcnt lgkmcnt(0)
	v_fmac_f32_e32 v11, v5, v4
	ds_bpermute_b32 v5, v2, v86 offset:28
	ds_bpermute_b32 v4, v2, v87 offset:28
	s_waitcnt lgkmcnt(1)
	v_sub_f32_e32 v5, v18, v5
	v_mul_f32_e32 v5, v10, v5
	s_waitcnt lgkmcnt(0)
	v_mul_f32_e32 v4, v5, v4
.LBB69_78:                              ;   in Loop: Header=BB69_56 Depth=1
	s_and_b32 vcc_lo, exec_lo, s0
	s_cbranch_vccz .LBB69_55
; %bb.79:                               ;   in Loop: Header=BB69_56 Depth=1
	s_load_dword s0, s[24:25], 0x0
	v_mov_b32_e32 v5, 0
	v_mov_b32_e32 v6, 0
	s_waitcnt lgkmcnt(0)
	s_cmp_lt_u32 s6, s0
	s_cselect_b32 s0, 12, 18
	s_add_u32 s0, s24, s0
	s_addc_u32 s1, s25, 0
	global_load_ushort v3, v2, s[0:1]
	s_mov_b32 s0, exec_lo
	s_waitcnt vmcnt(0)
	v_mad_u32_u24 v3, v1, v3, v0
	v_and_b32_e32 v3, 31, v3
	v_cmpx_gt_u32_e32 8, v3
	s_cbranch_execz .LBB69_54
; %bb.80:                               ;   in Loop: Header=BB69_56 Depth=1
	v_add_co_u32 v3, vcc_lo, v84, v3
	v_add_co_ci_u32_e64 v4, null, 0, v85, vcc_lo
	v_mov_b32_e32 v6, 0
	v_add_co_u32 v3, vcc_lo, 0xffffff01, v3
	v_add_co_ci_u32_e64 v4, null, -1, v4, vcc_lo
	v_mov_b32_e32 v5, 0
	s_mov_b32 s1, exec_lo
	v_cmpx_gt_i64_e64 s[12:13], v[3:4]
	s_cbranch_execz .LBB69_53
; %bb.81:                               ;   in Loop: Header=BB69_56 Depth=1
	v_lshlrev_b64 v[3:4], 2, v[3:4]
	v_add_co_u32 v5, vcc_lo, s20, v3
	v_add_co_ci_u32_e64 v6, null, s21, v4, vcc_lo
	v_add_co_u32 v3, vcc_lo, s22, v3
	v_add_co_ci_u32_e64 v4, null, s23, v4, vcc_lo
	global_load_dword v6, v[5:6], off
	global_load_dword v5, v[3:4], off
	s_branch .LBB69_53
.LBB69_82:
	v_mad_u32_u24 v2, v1, 33, v0
	v_lshrrev_b32_e32 v3, 5, v0
	s_mov_b32 s7, 0
	s_mov_b32 s0, exec_lo
	v_lshl_add_u32 v2, v2, 2, 0
	v_add_nc_u32_e32 v1, v3, v1
	ds_write_b32 v2, v55
	ds_write_b32 v2, v49 offset:4224
	s_waitcnt lgkmcnt(0)
	s_barrier
	buffer_gl0_inv
	v_cmpx_gt_u32_e32 32, v1
	s_cbranch_execz .LBB69_88
; %bb.83:
	v_and_b32_e32 v2, 31, v0
	v_mbcnt_lo_u32_b32 v3, -1, 0
	s_lshl_b64 s[0:1], s[6:7], 5
	v_mad_u32_u24 v2, v2, 33, v1
	v_xor_b32_e32 v5, 16, v3
	v_xor_b32_e32 v7, 8, v3
	v_or_b32_e32 v1, s0, v1
	v_cmp_eq_u32_e64 s0, 0, v0
	v_lshl_add_u32 v2, v2, 2, 0
	v_cmp_gt_i32_e32 vcc_lo, 32, v5
	ds_read_b32 v4, v2
	ds_read_b32 v2, v2 offset:4224
	v_cndmask_b32_e32 v5, v3, v5, vcc_lo
	v_cmp_gt_i32_e32 vcc_lo, 32, v7
	v_lshlrev_b32_e32 v5, 2, v5
	v_cndmask_b32_e32 v7, v3, v7, vcc_lo
	v_lshlrev_b32_e32 v7, 2, v7
	s_waitcnt lgkmcnt(1)
	ds_bpermute_b32 v6, v5, v4
	s_waitcnt lgkmcnt(1)
	ds_bpermute_b32 v5, v5, v2
	s_waitcnt lgkmcnt(1)
	v_add_f32_e32 v4, v4, v6
	s_waitcnt lgkmcnt(0)
	v_add_f32_e32 v2, v2, v5
	ds_bpermute_b32 v5, v7, v4
	ds_bpermute_b32 v6, v7, v2
	v_xor_b32_e32 v7, 4, v3
	v_cmp_gt_i32_e32 vcc_lo, 32, v7
	v_cndmask_b32_e32 v7, v3, v7, vcc_lo
	v_lshlrev_b32_e32 v7, 2, v7
	s_waitcnt lgkmcnt(1)
	v_add_f32_e32 v4, v4, v5
	s_waitcnt lgkmcnt(0)
	v_add_f32_e32 v2, v2, v6
	ds_bpermute_b32 v5, v7, v4
	ds_bpermute_b32 v6, v7, v2
	v_xor_b32_e32 v7, 2, v3
	v_cmp_gt_i32_e32 vcc_lo, 32, v7
	v_cndmask_b32_e32 v7, v3, v7, vcc_lo
	v_lshlrev_b32_e32 v7, 2, v7
	s_waitcnt lgkmcnt(1)
	v_add_f32_e32 v4, v4, v5
	s_waitcnt lgkmcnt(0)
	v_add_f32_e32 v2, v2, v6
	ds_bpermute_b32 v5, v7, v4
	ds_bpermute_b32 v6, v7, v2
	v_xor_b32_e32 v7, 1, v3
	v_cmp_gt_i32_e32 vcc_lo, 32, v7
	v_cndmask_b32_e32 v3, v3, v7, vcc_lo
	v_lshlrev_b32_e32 v7, 2, v3
	s_waitcnt lgkmcnt(1)
	v_add_f32_e32 v5, v4, v5
	s_waitcnt lgkmcnt(0)
	v_add_f32_e32 v3, v2, v6
	v_mov_b32_e32 v2, s1
	ds_bpermute_b32 v6, v7, v5
	ds_bpermute_b32 v4, v7, v3
	v_cmp_gt_i64_e32 vcc_lo, s[14:15], v[1:2]
	s_and_b32 s0, s0, vcc_lo
	s_and_b32 exec_lo, exec_lo, s0
	s_cbranch_execz .LBB69_88
; %bb.84:
	s_load_dwordx4 s[0:3], s[4:5], 0x30
	v_lshlrev_b64 v[0:1], 2, v[1:2]
	s_waitcnt lgkmcnt(0)
	s_cmp_eq_u64 s[0:1], 0
	s_cbranch_scc1 .LBB69_86
; %bb.85:
	v_add_f32_e32 v2, v5, v6
	v_add_co_u32 v5, vcc_lo, s0, v0
	v_add_co_ci_u32_e64 v6, null, s1, v1, vcc_lo
	global_store_dword v[5:6], v2, off
.LBB69_86:
	s_cmp_eq_u64 s[2:3], 0
	s_cbranch_scc1 .LBB69_88
; %bb.87:
	v_add_co_u32 v0, vcc_lo, s2, v0
	v_add_f32_e32 v2, v3, v4
	v_add_co_ci_u32_e64 v1, null, s3, v1, vcc_lo
	global_store_dword v[0:1], v2, off
.LBB69_88:
	s_endpgm
	.section	.rodata,"a",@progbits
	.p2align	6, 0x0
	.amdhsa_kernel _ZN2at6native12_GLOBAL__N_135GammaBetaBackwardCUDAKernelTemplateIffLj32ELj32ELj256ELb0ELb0ELb0EEEvllPKT_S5_PKT0_S8_PS3_S9_
		.amdhsa_group_segment_fixed_size 0
		.amdhsa_private_segment_fixed_size 0
		.amdhsa_kernarg_size 320
		.amdhsa_user_sgpr_count 6
		.amdhsa_user_sgpr_private_segment_buffer 1
		.amdhsa_user_sgpr_dispatch_ptr 0
		.amdhsa_user_sgpr_queue_ptr 0
		.amdhsa_user_sgpr_kernarg_segment_ptr 1
		.amdhsa_user_sgpr_dispatch_id 0
		.amdhsa_user_sgpr_flat_scratch_init 0
		.amdhsa_user_sgpr_private_segment_size 0
		.amdhsa_wavefront_size32 1
		.amdhsa_uses_dynamic_stack 0
		.amdhsa_system_sgpr_private_segment_wavefront_offset 0
		.amdhsa_system_sgpr_workgroup_id_x 1
		.amdhsa_system_sgpr_workgroup_id_y 1
		.amdhsa_system_sgpr_workgroup_id_z 0
		.amdhsa_system_sgpr_workgroup_info 0
		.amdhsa_system_vgpr_workitem_id 1
		.amdhsa_next_free_vgpr 94
		.amdhsa_next_free_sgpr 36
		.amdhsa_reserve_vcc 1
		.amdhsa_reserve_flat_scratch 0
		.amdhsa_float_round_mode_32 0
		.amdhsa_float_round_mode_16_64 0
		.amdhsa_float_denorm_mode_32 3
		.amdhsa_float_denorm_mode_16_64 3
		.amdhsa_dx10_clamp 1
		.amdhsa_ieee_mode 1
		.amdhsa_fp16_overflow 0
		.amdhsa_workgroup_processor_mode 1
		.amdhsa_memory_ordered 1
		.amdhsa_forward_progress 1
		.amdhsa_shared_vgpr_count 0
		.amdhsa_exception_fp_ieee_invalid_op 0
		.amdhsa_exception_fp_denorm_src 0
		.amdhsa_exception_fp_ieee_div_zero 0
		.amdhsa_exception_fp_ieee_overflow 0
		.amdhsa_exception_fp_ieee_underflow 0
		.amdhsa_exception_fp_ieee_inexact 0
		.amdhsa_exception_int_div_zero 0
	.end_amdhsa_kernel
	.section	.text._ZN2at6native12_GLOBAL__N_135GammaBetaBackwardCUDAKernelTemplateIffLj32ELj32ELj256ELb0ELb0ELb0EEEvllPKT_S5_PKT0_S8_PS3_S9_,"axG",@progbits,_ZN2at6native12_GLOBAL__N_135GammaBetaBackwardCUDAKernelTemplateIffLj32ELj32ELj256ELb0ELb0ELb0EEEvllPKT_S5_PKT0_S8_PS3_S9_,comdat
.Lfunc_end69:
	.size	_ZN2at6native12_GLOBAL__N_135GammaBetaBackwardCUDAKernelTemplateIffLj32ELj32ELj256ELb0ELb0ELb0EEEvllPKT_S5_PKT0_S8_PS3_S9_, .Lfunc_end69-_ZN2at6native12_GLOBAL__N_135GammaBetaBackwardCUDAKernelTemplateIffLj32ELj32ELj256ELb0ELb0ELb0EEEvllPKT_S5_PKT0_S8_PS3_S9_
                                        ; -- End function
	.set _ZN2at6native12_GLOBAL__N_135GammaBetaBackwardCUDAKernelTemplateIffLj32ELj32ELj256ELb0ELb0ELb0EEEvllPKT_S5_PKT0_S8_PS3_S9_.num_vgpr, 94
	.set _ZN2at6native12_GLOBAL__N_135GammaBetaBackwardCUDAKernelTemplateIffLj32ELj32ELj256ELb0ELb0ELb0EEEvllPKT_S5_PKT0_S8_PS3_S9_.num_agpr, 0
	.set _ZN2at6native12_GLOBAL__N_135GammaBetaBackwardCUDAKernelTemplateIffLj32ELj32ELj256ELb0ELb0ELb0EEEvllPKT_S5_PKT0_S8_PS3_S9_.numbered_sgpr, 36
	.set _ZN2at6native12_GLOBAL__N_135GammaBetaBackwardCUDAKernelTemplateIffLj32ELj32ELj256ELb0ELb0ELb0EEEvllPKT_S5_PKT0_S8_PS3_S9_.num_named_barrier, 0
	.set _ZN2at6native12_GLOBAL__N_135GammaBetaBackwardCUDAKernelTemplateIffLj32ELj32ELj256ELb0ELb0ELb0EEEvllPKT_S5_PKT0_S8_PS3_S9_.private_seg_size, 0
	.set _ZN2at6native12_GLOBAL__N_135GammaBetaBackwardCUDAKernelTemplateIffLj32ELj32ELj256ELb0ELb0ELb0EEEvllPKT_S5_PKT0_S8_PS3_S9_.uses_vcc, 1
	.set _ZN2at6native12_GLOBAL__N_135GammaBetaBackwardCUDAKernelTemplateIffLj32ELj32ELj256ELb0ELb0ELb0EEEvllPKT_S5_PKT0_S8_PS3_S9_.uses_flat_scratch, 0
	.set _ZN2at6native12_GLOBAL__N_135GammaBetaBackwardCUDAKernelTemplateIffLj32ELj32ELj256ELb0ELb0ELb0EEEvllPKT_S5_PKT0_S8_PS3_S9_.has_dyn_sized_stack, 0
	.set _ZN2at6native12_GLOBAL__N_135GammaBetaBackwardCUDAKernelTemplateIffLj32ELj32ELj256ELb0ELb0ELb0EEEvllPKT_S5_PKT0_S8_PS3_S9_.has_recursion, 0
	.set _ZN2at6native12_GLOBAL__N_135GammaBetaBackwardCUDAKernelTemplateIffLj32ELj32ELj256ELb0ELb0ELb0EEEvllPKT_S5_PKT0_S8_PS3_S9_.has_indirect_call, 0
	.section	.AMDGPU.csdata,"",@progbits
; Kernel info:
; codeLenInByte = 8348
; TotalNumSgprs: 38
; NumVgprs: 94
; ScratchSize: 0
; MemoryBound: 0
; FloatMode: 240
; IeeeMode: 1
; LDSByteSize: 0 bytes/workgroup (compile time only)
; SGPRBlocks: 0
; VGPRBlocks: 11
; NumSGPRsForWavesPerEU: 38
; NumVGPRsForWavesPerEU: 94
; Occupancy: 10
; WaveLimiterHint : 0
; COMPUTE_PGM_RSRC2:SCRATCH_EN: 0
; COMPUTE_PGM_RSRC2:USER_SGPR: 6
; COMPUTE_PGM_RSRC2:TRAP_HANDLER: 0
; COMPUTE_PGM_RSRC2:TGID_X_EN: 1
; COMPUTE_PGM_RSRC2:TGID_Y_EN: 1
; COMPUTE_PGM_RSRC2:TGID_Z_EN: 0
; COMPUTE_PGM_RSRC2:TIDIG_COMP_CNT: 1
	.section	.text._ZN2at6native12_GLOBAL__N_118cuComputeGradInputIN3c104HalfEfLb0EEEvPKT_S7_llPKT0_SA_S7_PS5_,"axG",@progbits,_ZN2at6native12_GLOBAL__N_118cuComputeGradInputIN3c104HalfEfLb0EEEvPKT_S7_llPKT0_SA_S7_PS5_,comdat
	.globl	_ZN2at6native12_GLOBAL__N_118cuComputeGradInputIN3c104HalfEfLb0EEEvPKT_S7_llPKT0_SA_S7_PS5_ ; -- Begin function _ZN2at6native12_GLOBAL__N_118cuComputeGradInputIN3c104HalfEfLb0EEEvPKT_S7_llPKT0_SA_S7_PS5_
	.p2align	8
	.type	_ZN2at6native12_GLOBAL__N_118cuComputeGradInputIN3c104HalfEfLb0EEEvPKT_S7_llPKT0_SA_S7_PS5_,@function
_ZN2at6native12_GLOBAL__N_118cuComputeGradInputIN3c104HalfEfLb0EEEvPKT_S7_llPKT0_SA_S7_PS5_: ; @_ZN2at6native12_GLOBAL__N_118cuComputeGradInputIN3c104HalfEfLb0EEEvPKT_S7_llPKT0_SA_S7_PS5_
; %bb.0:
	s_load_dwordx4 s[16:19], s[4:5], 0x10
	s_mov_b32 s6, s7
	s_ashr_i32 s7, s7, 31
	s_waitcnt lgkmcnt(0)
	v_cmp_le_i64_e64 s0, s[16:17], s[6:7]
	s_and_b32 vcc_lo, exec_lo, s0
	s_cbranch_vccnz .LBB70_49
; %bb.1:
	s_clause 0x1
	s_load_dword s0, s[4:5], 0x4c
	s_load_dwordx8 s[8:15], s[4:5], 0x20
	s_flbit_i32 s1, s19
	s_clause 0x1
	s_load_dword s31, s[4:5], 0x44
	s_load_dwordx4 s[20:23], s[4:5], 0x0
	v_cmp_gt_i64_e64 s33, s[18:19], 0
	v_lshlrev_b32_e32 v8, 3, v0
	v_mbcnt_lo_u32_b32 v16, -1, 0
	v_cndmask_b32_e64 v15, 0, 1, s33
	v_add_nc_u32_e32 v19, 0, v8
	s_waitcnt lgkmcnt(0)
	s_lshr_b32 s26, s0, 16
	s_and_b32 s27, s0, 0xffff
	s_cmp_lg_u64 s[12:13], 0
	v_mad_u32_u24 v4, v1, s27, v0
	s_cselect_b32 s28, -1, 0
	s_cmp_gt_u32 s27, 1
	s_mul_i32 s34, s26, s27
	s_cselect_b32 s29, -1, 0
	s_cmp_gt_u32 s26, 1
	v_lshlrev_b32_e32 v11, 3, v4
	s_cselect_b32 s30, -1, 0
	s_xor_b32 s0, s18, s19
	s_add_i32 s1, s1, -1
	s_ashr_i32 s0, s0, 31
	s_ashr_i32 s35, s34, 31
	s_add_i32 s0, s0, 32
	v_add_nc_u32_e32 v17, 0, v11
	s_min_u32 s2, s1, s0
	s_lshl_b64 s[0:1], s[18:19], s2
	s_min_u32 s0, s0, 1
	s_or_b32 s0, s1, s0
	v_cmp_ne_u32_e64 s1, 0, v1
	v_cvt_f32_i32_e32 v2, s0
	s_sub_i32 s0, 32, s2
	v_ldexp_f32 v14, v2, s0
	v_cmp_eq_u32_e64 s0, 0, v1
	v_div_scale_f32 v3, null, v14, v14, 1.0
	v_div_scale_f32 v7, vcc_lo, 1.0, v14, 1.0
	v_rcp_f32_e32 v6, v3
	v_fma_f32 v2, -v3, v6, 1.0
	v_fmac_f32_e32 v6, v2, v6
	v_mov_b32_e32 v2, 0
	v_mul_f32_e32 v9, v7, v6
	v_mov_b32_e32 v5, v2
	v_fma_f32 v10, -v3, v9, v7
	v_cmp_gt_i64_e64 s2, s[18:19], v[4:5]
	v_fmac_f32_e32 v9, v10, v6
	v_add_nc_u32_e32 v10, s34, v4
	v_fma_f32 v3, -v3, v9, v7
	v_ashrrev_i32_e32 v7, 31, v10
	v_div_fmas_f32 v3, v3, v6, v9
	v_sub_co_u32 v6, vcc_lo, v10, s34
	v_subrev_co_ci_u32_e64 v7, null, s35, v7, vcc_lo
	v_div_fixup_f32 v18, v3, v14, 1.0
	s_branch .LBB70_4
.LBB70_2:                               ;   in Loop: Header=BB70_4 Depth=1
	s_inst_prefetch 0x2
	s_or_b32 exec_lo, exec_lo, s24
.LBB70_3:                               ;   in Loop: Header=BB70_4 Depth=1
	s_add_i32 s6, s31, s6
	s_waitcnt_vscnt null, 0x0
	s_ashr_i32 s7, s6, 31
	s_barrier
	v_cmp_le_i64_e64 s3, s[16:17], s[6:7]
	buffer_gl0_inv
	s_and_b32 vcc_lo, exec_lo, s3
	s_cbranch_vccnz .LBB70_49
.LBB70_4:                               ; =>This Loop Header: Depth=1
                                        ;     Child Loop BB70_8 Depth 2
                                        ;     Child Loop BB70_20 Depth 2
	;; [unrolled: 1-line block ×6, first 2 shown]
	s_mul_i32 s3, s6, s19
	s_mul_hi_u32 s4, s6, s18
	s_mul_i32 s24, s7, s18
	s_add_i32 s3, s4, s3
	s_lshl_b64 s[4:5], s[6:7], 2
	s_add_i32 s25, s3, s24
	s_add_u32 s36, s8, s4
	s_addc_u32 s37, s9, s5
	s_add_u32 s4, s10, s4
	s_addc_u32 s5, s11, s5
	s_load_dword s7, s[36:37], 0x0
	s_load_dword s40, s[4:5], 0x0
	s_mul_i32 s24, s6, s18
	v_cmp_ne_u32_e64 s3, 1, v15
	s_lshl_b64 s[24:25], s[24:25], 1
	s_mov_b32 s4, -1
	s_add_u32 s36, s22, s24
	s_addc_u32 s37, s23, s25
	s_add_u32 s38, s20, s24
	s_addc_u32 s39, s21, s25
	s_andn2_b32 vcc_lo, exec_lo, s28
                                        ; implicit-def: $vgpr8_vgpr9
	s_cbranch_vccnz .LBB70_16
; %bb.5:                                ;   in Loop: Header=BB70_4 Depth=1
	s_and_b32 vcc_lo, exec_lo, s3
	s_cbranch_vccnz .LBB70_14
; %bb.6:                                ;   in Loop: Header=BB70_4 Depth=1
	v_mov_b32_e32 v8, 0
	v_mov_b32_e32 v9, 0
	s_mov_b32 s4, 0
	s_branch .LBB70_8
.LBB70_7:                               ;   in Loop: Header=BB70_8 Depth=2
	s_or_b32 exec_lo, exec_lo, s3
	s_waitcnt lgkmcnt(0)
	v_subrev_f32_e32 v10, s7, v13
	v_mul_f32_e32 v11, v3, v12
	s_add_i32 s4, s4, s34
	v_fmac_f32_e32 v8, v3, v12
	s_ashr_i32 s5, s4, 31
	v_mul_f32_e32 v10, v10, v11
	v_cmp_le_i64_e64 s3, s[18:19], s[4:5]
	v_fmac_f32_e32 v9, s40, v10
	s_and_b32 vcc_lo, exec_lo, s3
	s_cbranch_vccnz .LBB70_15
.LBB70_8:                               ;   Parent Loop BB70_4 Depth=1
                                        ; =>  This Inner Loop Header: Depth=2
	v_add_nc_u32_e32 v10, s4, v4
	v_mov_b32_e32 v3, 0
	v_ashrrev_i32_e32 v11, 31, v10
	v_cmp_gt_i64_e32 vcc_lo, s[18:19], v[10:11]
	v_lshlrev_b64 v[10:11], 1, v[10:11]
	s_and_saveexec_b32 s5, vcc_lo
	s_cbranch_execz .LBB70_10
; %bb.9:                                ;   in Loop: Header=BB70_8 Depth=2
	v_add_co_u32 v12, s3, s12, v10
	v_add_co_ci_u32_e64 v13, null, s13, v11, s3
	global_load_ushort v3, v[12:13], off
	s_waitcnt vmcnt(0)
	v_cvt_f32_f16_e32 v3, v3
.LBB70_10:                              ;   in Loop: Header=BB70_8 Depth=2
	s_or_b32 exec_lo, exec_lo, s5
	v_mov_b32_e32 v12, 0
	v_mov_b32_e32 v13, 0
	s_and_saveexec_b32 s5, vcc_lo
	s_cbranch_execz .LBB70_12
; %bb.11:                               ;   in Loop: Header=BB70_8 Depth=2
	v_add_co_u32 v20, s3, s36, v10
	v_add_co_ci_u32_e64 v21, null, s37, v11, s3
	global_load_ushort v13, v[20:21], off
	s_waitcnt vmcnt(0)
	v_cvt_f32_f16_e32 v13, v13
.LBB70_12:                              ;   in Loop: Header=BB70_8 Depth=2
	s_or_b32 exec_lo, exec_lo, s5
	s_and_saveexec_b32 s3, vcc_lo
	s_cbranch_execz .LBB70_7
; %bb.13:                               ;   in Loop: Header=BB70_8 Depth=2
	v_add_co_u32 v10, vcc_lo, s38, v10
	v_add_co_ci_u32_e64 v11, null, s39, v11, vcc_lo
	global_load_ushort v10, v[10:11], off
	s_waitcnt vmcnt(0)
	v_cvt_f32_f16_e32 v12, v10
	s_branch .LBB70_7
.LBB70_14:                              ;   in Loop: Header=BB70_4 Depth=1
	v_mov_b32_e32 v3, v2
	v_mov_b32_e32 v9, v3
	;; [unrolled: 1-line block ×3, first 2 shown]
.LBB70_15:                              ;   in Loop: Header=BB70_4 Depth=1
	s_mov_b32 s4, 0
.LBB70_16:                              ;   in Loop: Header=BB70_4 Depth=1
	s_andn2_b32 vcc_lo, exec_lo, s4
	s_cbranch_vccnz .LBB70_25
; %bb.17:                               ;   in Loop: Header=BB70_4 Depth=1
	s_andn2_b32 vcc_lo, exec_lo, s33
	s_cbranch_vccnz .LBB70_24
; %bb.18:                               ;   in Loop: Header=BB70_4 Depth=1
	v_mov_b32_e32 v8, 0
	v_mov_b32_e32 v9, 0
	s_mov_b32 s4, 0
	s_inst_prefetch 0x1
	s_branch .LBB70_20
	.p2align	6
.LBB70_19:                              ;   in Loop: Header=BB70_20 Depth=2
	s_or_b32 exec_lo, exec_lo, s3
	s_waitcnt lgkmcnt(0)
	v_subrev_f32_e32 v3, s7, v3
	s_add_i32 s4, s4, s34
	v_add_f32_e32 v8, v8, v12
	s_ashr_i32 s5, s4, 31
	v_cmp_le_i64_e64 s3, s[18:19], s[4:5]
	v_mul_f32_e32 v3, v3, v12
	v_fmac_f32_e32 v9, s40, v3
	s_and_b32 vcc_lo, exec_lo, s3
	s_cbranch_vccnz .LBB70_25
.LBB70_20:                              ;   Parent Loop BB70_4 Depth=1
                                        ; =>  This Inner Loop Header: Depth=2
	v_add_nc_u32_e32 v10, s4, v4
	v_mov_b32_e32 v3, 0
	v_ashrrev_i32_e32 v11, 31, v10
	v_cmp_gt_i64_e32 vcc_lo, s[18:19], v[10:11]
	v_lshlrev_b64 v[10:11], 1, v[10:11]
	s_and_saveexec_b32 s5, vcc_lo
	s_cbranch_execz .LBB70_22
; %bb.21:                               ;   in Loop: Header=BB70_20 Depth=2
	v_add_co_u32 v12, s3, s36, v10
	v_add_co_ci_u32_e64 v13, null, s37, v11, s3
	global_load_ushort v3, v[12:13], off
	s_waitcnt vmcnt(0)
	v_cvt_f32_f16_e32 v3, v3
.LBB70_22:                              ;   in Loop: Header=BB70_20 Depth=2
	s_or_b32 exec_lo, exec_lo, s5
	v_mov_b32_e32 v12, 0
	s_and_saveexec_b32 s3, vcc_lo
	s_cbranch_execz .LBB70_19
; %bb.23:                               ;   in Loop: Header=BB70_20 Depth=2
	v_add_co_u32 v10, vcc_lo, s38, v10
	v_add_co_ci_u32_e64 v11, null, s39, v11, vcc_lo
	global_load_ushort v10, v[10:11], off
	s_waitcnt vmcnt(0)
	v_cvt_f32_f16_e32 v12, v10
	s_branch .LBB70_19
.LBB70_24:                              ;   in Loop: Header=BB70_4 Depth=1
	v_mov_b32_e32 v3, v2
	v_mov_b32_e32 v9, v3
	;; [unrolled: 1-line block ×3, first 2 shown]
.LBB70_25:                              ;   in Loop: Header=BB70_4 Depth=1
	s_inst_prefetch 0x2
	s_andn2_b32 vcc_lo, exec_lo, s29
	s_cbranch_vccnz .LBB70_28
; %bb.26:                               ;   in Loop: Header=BB70_4 Depth=1
	s_mov_b32 s3, s27
.LBB70_27:                              ;   Parent Loop BB70_4 Depth=1
                                        ; =>  This Inner Loop Header: Depth=2
	s_lshr_b32 s4, s3, 1
	s_cmp_lt_u32 s3, 4
	v_xor_b32_e32 v3, s4, v16
	s_mov_b32 s3, s4
	v_cmp_gt_i32_e32 vcc_lo, 32, v3
	v_cndmask_b32_e32 v3, v16, v3, vcc_lo
	v_lshlrev_b32_e32 v3, 2, v3
	ds_bpermute_b32 v10, v3, v9
	ds_bpermute_b32 v3, v3, v8
	s_waitcnt lgkmcnt(0)
	v_add_f32_e32 v9, v9, v10
	v_add_f32_e32 v8, v8, v3
	s_cbranch_scc0 .LBB70_27
.LBB70_28:                              ;   in Loop: Header=BB70_4 Depth=1
	s_andn2_b32 vcc_lo, exec_lo, s30
	s_mov_b32 s5, s26
	s_cbranch_vccnz .LBB70_40
	.p2align	6
.LBB70_29:                              ;   Parent Loop BB70_4 Depth=1
                                        ; =>  This Inner Loop Header: Depth=2
	s_lshr_b32 s41, s5, 1
	s_and_b32 s4, s5, 0xfffe
	v_cmp_le_u32_e64 s3, s41, v1
	v_cmp_gt_u32_e64 s4, s4, v1
	v_cmp_gt_u32_e32 vcc_lo, s41, v1
	s_and_b32 s4, s3, s4
	s_and_saveexec_b32 s3, s4
	s_cbranch_execz .LBB70_31
; %bb.30:                               ;   in Loop: Header=BB70_29 Depth=2
	v_subrev_nc_u32_e32 v3, s41, v1
	v_mad_u32_u24 v3, v3, s27, v0
	v_lshl_add_u32 v3, v3, 3, 0
	ds_write_b64 v3, v[8:9]
.LBB70_31:                              ;   in Loop: Header=BB70_29 Depth=2
	s_or_b32 exec_lo, exec_lo, s3
	s_waitcnt lgkmcnt(0)
	s_barrier
	buffer_gl0_inv
	s_and_saveexec_b32 s3, vcc_lo
	s_cbranch_execz .LBB70_33
; %bb.32:                               ;   in Loop: Header=BB70_29 Depth=2
	ds_read_b64 v[10:11], v17
	s_waitcnt lgkmcnt(0)
	v_add_f32_e32 v9, v9, v11
	v_add_f32_e32 v8, v8, v10
.LBB70_33:                              ;   in Loop: Header=BB70_29 Depth=2
	s_or_b32 exec_lo, exec_lo, s3
	s_cmp_lt_u32 s5, 4
	s_barrier
	buffer_gl0_inv
	s_cbranch_scc1 .LBB70_35
; %bb.34:                               ;   in Loop: Header=BB70_29 Depth=2
	s_mov_b32 s5, s41
	s_branch .LBB70_29
.LBB70_35:                              ;   in Loop: Header=BB70_4 Depth=1
	s_and_saveexec_b32 s3, s0
; %bb.36:                               ;   in Loop: Header=BB70_4 Depth=1
	ds_write_b64 v19, v[8:9]
; %bb.37:                               ;   in Loop: Header=BB70_4 Depth=1
	s_or_b32 exec_lo, exec_lo, s3
	s_waitcnt lgkmcnt(0)
	s_barrier
	buffer_gl0_inv
	s_and_saveexec_b32 s3, s1
; %bb.38:                               ;   in Loop: Header=BB70_4 Depth=1
	ds_read_b64 v[8:9], v19
; %bb.39:                               ;   in Loop: Header=BB70_4 Depth=1
	s_or_b32 exec_lo, exec_lo, s3
.LBB70_40:                              ;   in Loop: Header=BB70_4 Depth=1
	s_waitcnt lgkmcnt(0)
	v_mul_f32_e32 v3, s40, v18
	s_add_u32 s4, s14, s24
	s_addc_u32 s5, s15, s25
	s_andn2_b32 vcc_lo, exec_lo, s28
	s_cbranch_vccnz .LBB70_45
; %bb.41:                               ;   in Loop: Header=BB70_4 Depth=1
	s_and_saveexec_b32 s24, s2
	s_cbranch_execz .LBB70_44
; %bb.42:                               ;   in Loop: Header=BB70_4 Depth=1
	v_mov_b32_e32 v11, v7
	v_mov_b32_e32 v13, v5
	;; [unrolled: 1-line block ×4, first 2 shown]
	s_mov_b32 s25, 0
	s_inst_prefetch 0x1
	.p2align	6
.LBB70_43:                              ;   Parent Loop BB70_4 Depth=1
                                        ; =>  This Inner Loop Header: Depth=2
	v_lshlrev_b64 v[20:21], 1, v[12:13]
	v_add_co_u32 v12, vcc_lo, s38, v20
	v_add_co_ci_u32_e64 v13, null, s39, v21, vcc_lo
	v_add_co_u32 v22, vcc_lo, s36, v20
	v_add_co_ci_u32_e64 v23, null, s37, v21, vcc_lo
	global_load_ushort v12, v[12:13], off
	global_load_ushort v13, v[22:23], off
	v_add_co_u32 v24, vcc_lo, s12, v20
	v_add_co_ci_u32_e64 v25, null, s13, v21, vcc_lo
	v_add_co_u32 v10, vcc_lo, v10, s34
	v_add_co_ci_u32_e64 v11, null, s35, v11, vcc_lo
	global_load_ushort v22, v[24:25], off
	v_add_co_u32 v20, s3, s4, v20
	v_cmp_le_i64_e32 vcc_lo, s[18:19], v[10:11]
	v_add_co_ci_u32_e64 v21, null, s5, v21, s3
	s_or_b32 s25, vcc_lo, s25
	s_waitcnt vmcnt(2)
	v_cvt_f32_f16_e32 v12, v12
	s_waitcnt vmcnt(1)
	v_cvt_f32_f16_e32 v13, v13
	v_mul_f32_e32 v12, v14, v12
	v_subrev_f32_e32 v13, s7, v13
	s_waitcnt vmcnt(0)
	v_fma_mix_f32 v12, v12, v22, -v8 op_sel_hi:[0,1,0]
	v_mul_f32_e32 v22, s40, v13
	v_ashrrev_i32_e32 v13, 31, v10
	v_fma_f32 v12, -v9, v22, v12
	v_fma_mixlo_f16 v22, v3, v12, 0
	v_mov_b32_e32 v12, v10
	global_store_short v[20:21], v22, off
	s_andn2_b32 exec_lo, exec_lo, s25
	s_cbranch_execnz .LBB70_43
.LBB70_44:                              ;   in Loop: Header=BB70_4 Depth=1
	s_inst_prefetch 0x2
	s_or_b32 exec_lo, exec_lo, s24
	s_cbranch_execnz .LBB70_3
	s_branch .LBB70_46
.LBB70_45:                              ;   in Loop: Header=BB70_4 Depth=1
.LBB70_46:                              ;   in Loop: Header=BB70_4 Depth=1
	s_and_saveexec_b32 s24, s2
	s_cbranch_execz .LBB70_2
; %bb.47:                               ;   in Loop: Header=BB70_4 Depth=1
	v_mov_b32_e32 v11, v7
	v_mov_b32_e32 v13, v5
	;; [unrolled: 1-line block ×5, first 2 shown]
	s_mov_b32 s25, 0
	s_inst_prefetch 0x1
	.p2align	6
.LBB70_48:                              ;   Parent Loop BB70_4 Depth=1
                                        ; =>  This Inner Loop Header: Depth=2
	v_lshlrev_b64 v[21:22], 1, v[12:13]
	v_add_co_u32 v12, vcc_lo, s36, v21
	v_add_co_ci_u32_e64 v13, null, s37, v22, vcc_lo
	v_add_co_u32 v23, vcc_lo, s38, v21
	v_add_co_ci_u32_e64 v24, null, s39, v22, vcc_lo
	global_load_ushort v12, v[12:13], off
	v_add_co_u32 v10, vcc_lo, v10, s34
	global_load_ushort v13, v[23:24], off
	v_add_co_ci_u32_e64 v11, null, s35, v11, vcc_lo
	v_add_co_u32 v21, s3, s4, v21
	v_add_co_ci_u32_e64 v22, null, s5, v22, s3
	v_cmp_le_i64_e32 vcc_lo, s[18:19], v[10:11]
	s_or_b32 s25, vcc_lo, s25
	s_waitcnt vmcnt(1)
	v_cvt_f32_f16_e32 v12, v12
	s_waitcnt vmcnt(0)
	v_fma_mix_f32 v23, v14, v13, -v8 op_sel_hi:[0,1,0]
	v_ashrrev_i32_e32 v13, 31, v10
	v_subrev_f32_e32 v12, s7, v12
	v_mul_f32_e32 v12, v20, v12
	v_fma_f32 v12, -v12, v9, v23
	v_fma_mixlo_f16 v23, v3, v12, 0
	v_mov_b32_e32 v12, v10
	global_store_short v[21:22], v23, off
	s_andn2_b32 exec_lo, exec_lo, s25
	s_cbranch_execnz .LBB70_48
	s_branch .LBB70_2
.LBB70_49:
	s_endpgm
	.section	.rodata,"a",@progbits
	.p2align	6, 0x0
	.amdhsa_kernel _ZN2at6native12_GLOBAL__N_118cuComputeGradInputIN3c104HalfEfLb0EEEvPKT_S7_llPKT0_SA_S7_PS5_
		.amdhsa_group_segment_fixed_size 0
		.amdhsa_private_segment_fixed_size 0
		.amdhsa_kernarg_size 320
		.amdhsa_user_sgpr_count 6
		.amdhsa_user_sgpr_private_segment_buffer 1
		.amdhsa_user_sgpr_dispatch_ptr 0
		.amdhsa_user_sgpr_queue_ptr 0
		.amdhsa_user_sgpr_kernarg_segment_ptr 1
		.amdhsa_user_sgpr_dispatch_id 0
		.amdhsa_user_sgpr_flat_scratch_init 0
		.amdhsa_user_sgpr_private_segment_size 0
		.amdhsa_wavefront_size32 1
		.amdhsa_uses_dynamic_stack 0
		.amdhsa_system_sgpr_private_segment_wavefront_offset 0
		.amdhsa_system_sgpr_workgroup_id_x 1
		.amdhsa_system_sgpr_workgroup_id_y 1
		.amdhsa_system_sgpr_workgroup_id_z 0
		.amdhsa_system_sgpr_workgroup_info 0
		.amdhsa_system_vgpr_workitem_id 1
		.amdhsa_next_free_vgpr 26
		.amdhsa_next_free_sgpr 42
		.amdhsa_reserve_vcc 1
		.amdhsa_reserve_flat_scratch 0
		.amdhsa_float_round_mode_32 0
		.amdhsa_float_round_mode_16_64 0
		.amdhsa_float_denorm_mode_32 3
		.amdhsa_float_denorm_mode_16_64 3
		.amdhsa_dx10_clamp 1
		.amdhsa_ieee_mode 1
		.amdhsa_fp16_overflow 0
		.amdhsa_workgroup_processor_mode 1
		.amdhsa_memory_ordered 1
		.amdhsa_forward_progress 1
		.amdhsa_shared_vgpr_count 0
		.amdhsa_exception_fp_ieee_invalid_op 0
		.amdhsa_exception_fp_denorm_src 0
		.amdhsa_exception_fp_ieee_div_zero 0
		.amdhsa_exception_fp_ieee_overflow 0
		.amdhsa_exception_fp_ieee_underflow 0
		.amdhsa_exception_fp_ieee_inexact 0
		.amdhsa_exception_int_div_zero 0
	.end_amdhsa_kernel
	.section	.text._ZN2at6native12_GLOBAL__N_118cuComputeGradInputIN3c104HalfEfLb0EEEvPKT_S7_llPKT0_SA_S7_PS5_,"axG",@progbits,_ZN2at6native12_GLOBAL__N_118cuComputeGradInputIN3c104HalfEfLb0EEEvPKT_S7_llPKT0_SA_S7_PS5_,comdat
.Lfunc_end70:
	.size	_ZN2at6native12_GLOBAL__N_118cuComputeGradInputIN3c104HalfEfLb0EEEvPKT_S7_llPKT0_SA_S7_PS5_, .Lfunc_end70-_ZN2at6native12_GLOBAL__N_118cuComputeGradInputIN3c104HalfEfLb0EEEvPKT_S7_llPKT0_SA_S7_PS5_
                                        ; -- End function
	.set _ZN2at6native12_GLOBAL__N_118cuComputeGradInputIN3c104HalfEfLb0EEEvPKT_S7_llPKT0_SA_S7_PS5_.num_vgpr, 26
	.set _ZN2at6native12_GLOBAL__N_118cuComputeGradInputIN3c104HalfEfLb0EEEvPKT_S7_llPKT0_SA_S7_PS5_.num_agpr, 0
	.set _ZN2at6native12_GLOBAL__N_118cuComputeGradInputIN3c104HalfEfLb0EEEvPKT_S7_llPKT0_SA_S7_PS5_.numbered_sgpr, 42
	.set _ZN2at6native12_GLOBAL__N_118cuComputeGradInputIN3c104HalfEfLb0EEEvPKT_S7_llPKT0_SA_S7_PS5_.num_named_barrier, 0
	.set _ZN2at6native12_GLOBAL__N_118cuComputeGradInputIN3c104HalfEfLb0EEEvPKT_S7_llPKT0_SA_S7_PS5_.private_seg_size, 0
	.set _ZN2at6native12_GLOBAL__N_118cuComputeGradInputIN3c104HalfEfLb0EEEvPKT_S7_llPKT0_SA_S7_PS5_.uses_vcc, 1
	.set _ZN2at6native12_GLOBAL__N_118cuComputeGradInputIN3c104HalfEfLb0EEEvPKT_S7_llPKT0_SA_S7_PS5_.uses_flat_scratch, 0
	.set _ZN2at6native12_GLOBAL__N_118cuComputeGradInputIN3c104HalfEfLb0EEEvPKT_S7_llPKT0_SA_S7_PS5_.has_dyn_sized_stack, 0
	.set _ZN2at6native12_GLOBAL__N_118cuComputeGradInputIN3c104HalfEfLb0EEEvPKT_S7_llPKT0_SA_S7_PS5_.has_recursion, 0
	.set _ZN2at6native12_GLOBAL__N_118cuComputeGradInputIN3c104HalfEfLb0EEEvPKT_S7_llPKT0_SA_S7_PS5_.has_indirect_call, 0
	.section	.AMDGPU.csdata,"",@progbits
; Kernel info:
; codeLenInByte = 1836
; TotalNumSgprs: 44
; NumVgprs: 26
; ScratchSize: 0
; MemoryBound: 0
; FloatMode: 240
; IeeeMode: 1
; LDSByteSize: 0 bytes/workgroup (compile time only)
; SGPRBlocks: 0
; VGPRBlocks: 3
; NumSGPRsForWavesPerEU: 44
; NumVGPRsForWavesPerEU: 26
; Occupancy: 16
; WaveLimiterHint : 0
; COMPUTE_PGM_RSRC2:SCRATCH_EN: 0
; COMPUTE_PGM_RSRC2:USER_SGPR: 6
; COMPUTE_PGM_RSRC2:TRAP_HANDLER: 0
; COMPUTE_PGM_RSRC2:TGID_X_EN: 1
; COMPUTE_PGM_RSRC2:TGID_Y_EN: 1
; COMPUTE_PGM_RSRC2:TGID_Z_EN: 0
; COMPUTE_PGM_RSRC2:TIDIG_COMP_CNT: 1
	.section	.text._ZN2at6native12_GLOBAL__N_128layer_norm_grad_input_kernelIN3c104HalfEfLb0EEEvPKT_S7_PKT0_SA_S7_PS5_i,"axG",@progbits,_ZN2at6native12_GLOBAL__N_128layer_norm_grad_input_kernelIN3c104HalfEfLb0EEEvPKT_S7_PKT0_SA_S7_PS5_i,comdat
	.globl	_ZN2at6native12_GLOBAL__N_128layer_norm_grad_input_kernelIN3c104HalfEfLb0EEEvPKT_S7_PKT0_SA_S7_PS5_i ; -- Begin function _ZN2at6native12_GLOBAL__N_128layer_norm_grad_input_kernelIN3c104HalfEfLb0EEEvPKT_S7_PKT0_SA_S7_PS5_i
	.p2align	8
	.type	_ZN2at6native12_GLOBAL__N_128layer_norm_grad_input_kernelIN3c104HalfEfLb0EEEvPKT_S7_PKT0_SA_S7_PS5_i,@function
_ZN2at6native12_GLOBAL__N_128layer_norm_grad_input_kernelIN3c104HalfEfLb0EEEvPKT_S7_PKT0_SA_S7_PS5_i: ; @_ZN2at6native12_GLOBAL__N_128layer_norm_grad_input_kernelIN3c104HalfEfLb0EEEvPKT_S7_PKT0_SA_S7_PS5_i
; %bb.0:
	s_clause 0x2
	s_load_dword s16, s[4:5], 0x30
	s_load_dwordx8 s[8:15], s[4:5], 0x0
	s_load_dwordx2 s[2:3], s[4:5], 0x20
	s_mov_b32 s7, 0
	v_lshlrev_b32_e32 v1, 2, v0
	v_mov_b32_e32 v10, 0
	v_mov_b32_e32 v9, 0
	v_or_b32_e32 v2, 3, v1
	s_waitcnt lgkmcnt(0)
	s_ashr_i32 s0, s16, 31
	s_mul_hi_u32 s17, s16, s6
	s_mul_i32 s18, s0, s6
	s_lshl_b64 s[0:1], s[6:7], 2
	s_add_i32 s19, s17, s18
	s_add_u32 s12, s12, s0
	s_addc_u32 s13, s13, s1
	s_add_u32 s0, s14, s0
	s_addc_u32 s1, s15, s1
	s_load_dword s14, s[12:13], 0x0
	s_load_dword s15, s[0:1], 0x0
	s_mul_i32 s18, s16, s6
	s_mov_b32 s0, exec_lo
	s_lshl_b64 s[12:13], s[18:19], 1
	s_add_u32 s6, s10, s12
	s_addc_u32 s17, s11, s13
	s_add_u32 s18, s8, s12
	s_addc_u32 s19, s9, s13
	v_cmpx_gt_u32_e64 s16, v2
	s_cbranch_execz .LBB71_12
; %bb.1:
	s_load_dword s20, s[4:5], 0x44
	s_cmp_lg_u64 s[2:3], 0
	v_mov_b32_e32 v2, 0
	v_mov_b32_e32 v10, 0
	v_mov_b32_e32 v9, 0
	s_cselect_b32 s1, -1, 0
	s_waitcnt lgkmcnt(0)
	s_and_b32 s20, s20, 0xffff
	s_lshl_b32 s20, s20, 2
	s_branch .LBB71_3
.LBB71_2:                               ;   in Loop: Header=BB71_3 Depth=1
	global_load_ushort v5, v[5:6], off offset:6
	global_load_ushort v3, v[3:4], off offset:6
	s_waitcnt vmcnt(6)
	v_cvt_f32_f16_e32 v4, v17
	v_cvt_f32_f16_e32 v6, v16
	v_fma_mix_f32 v7, v12, v17, v10 op_sel_hi:[0,1,0]
	s_waitcnt vmcnt(5)
	v_cvt_f32_f16_e32 v8, v19
	s_waitcnt vmcnt(4)
	v_cvt_f32_f16_e32 v10, v14
	v_mul_f32_e32 v4, v12, v4
	v_subrev_f32_e32 v6, s14, v6
	s_waitcnt vmcnt(3)
	v_cvt_f32_f16_e32 v12, v20
	s_waitcnt vmcnt(2)
	v_cvt_f32_f16_e32 v16, v18
	v_mul_f32_e32 v10, v11, v10
	v_subrev_f32_e32 v8, s14, v8
	v_mul_f32_e32 v4, v6, v4
	v_subrev_f32_e32 v12, s14, v12
	v_mul_f32_e32 v6, v15, v16
	v_add_nc_u32_e32 v1, s20, v1
	v_mul_f32_e32 v8, v8, v10
	v_fmac_f32_e32 v9, s15, v4
	v_fma_mix_f32 v7, v11, v14, v7 op_sel_hi:[0,1,0]
	v_mul_f32_e32 v6, v12, v6
	v_fmac_f32_e32 v9, s15, v8
	v_add_nc_u32_e32 v8, 3, v1
	v_fma_mix_f32 v7, v15, v18, v7 op_sel_hi:[0,1,0]
	v_fmac_f32_e32 v9, s15, v6
	v_cmp_le_u32_e32 vcc_lo, s16, v8
	s_or_b32 s7, vcc_lo, s7
	s_waitcnt vmcnt(1)
	v_cvt_f32_f16_e32 v4, v5
	s_waitcnt vmcnt(0)
	v_cvt_f32_f16_e32 v3, v3
	v_fma_mix_f32 v10, v13, v5, v7 op_sel_hi:[0,1,0]
	v_mul_f32_e32 v4, v13, v4
	v_subrev_f32_e32 v3, s14, v3
	v_mul_f32_e32 v3, v3, v4
	v_fmac_f32_e32 v9, s15, v3
	s_andn2_b32 exec_lo, exec_lo, s7
	s_cbranch_execz .LBB71_11
.LBB71_3:                               ; =>This Inner Loop Header: Depth=1
	v_lshlrev_b64 v[7:8], 1, v[1:2]
	v_mov_b32_e32 v11, 1.0
	v_mov_b32_e32 v12, 1.0
	s_and_b32 vcc_lo, exec_lo, s1
	s_cbranch_vccz .LBB71_5
; %bb.4:                                ;   in Loop: Header=BB71_3 Depth=1
	v_add_co_u32 v3, vcc_lo, s2, v7
	v_add_co_ci_u32_e64 v4, null, s3, v8, vcc_lo
	global_load_ushort v3, v[3:4], off
	s_waitcnt vmcnt(0)
	v_cvt_f32_f16_e32 v12, v3
.LBB71_5:                               ;   in Loop: Header=BB71_3 Depth=1
	v_add_co_u32 v3, vcc_lo, s6, v7
	v_add_co_ci_u32_e64 v4, null, s17, v8, vcc_lo
	v_add_co_u32 v5, vcc_lo, s18, v7
	v_add_co_ci_u32_e64 v6, null, s19, v8, vcc_lo
	global_load_ushort v16, v[3:4], off
	global_load_ushort v17, v[5:6], off
	s_andn2_b32 vcc_lo, exec_lo, s1
	s_cbranch_vccnz .LBB71_7
; %bb.6:                                ;   in Loop: Header=BB71_3 Depth=1
	v_add_co_u32 v13, vcc_lo, s2, v7
	v_add_co_ci_u32_e64 v14, null, s3, v8, vcc_lo
	global_load_ushort v11, v[13:14], off offset:2
	s_waitcnt vmcnt(0)
	v_cvt_f32_f16_e32 v11, v11
.LBB71_7:                               ;   in Loop: Header=BB71_3 Depth=1
	global_load_ushort v19, v[3:4], off offset:2
	global_load_ushort v14, v[5:6], off offset:2
	v_mov_b32_e32 v13, 1.0
	v_mov_b32_e32 v15, 1.0
	s_andn2_b32 vcc_lo, exec_lo, s1
	s_cbranch_vccnz .LBB71_9
; %bb.8:                                ;   in Loop: Header=BB71_3 Depth=1
	v_add_co_u32 v20, vcc_lo, s2, v7
	v_add_co_ci_u32_e64 v21, null, s3, v8, vcc_lo
	global_load_ushort v15, v[20:21], off offset:4
	s_waitcnt vmcnt(0)
	v_cvt_f32_f16_e32 v15, v15
.LBB71_9:                               ;   in Loop: Header=BB71_3 Depth=1
	global_load_ushort v20, v[3:4], off offset:4
	global_load_ushort v18, v[5:6], off offset:4
	s_andn2_b32 vcc_lo, exec_lo, s1
	s_cbranch_vccnz .LBB71_2
; %bb.10:                               ;   in Loop: Header=BB71_3 Depth=1
	v_add_co_u32 v7, vcc_lo, s2, v7
	v_add_co_ci_u32_e64 v8, null, s3, v8, vcc_lo
	global_load_ushort v7, v[7:8], off offset:6
	s_waitcnt vmcnt(0)
	v_cvt_f32_f16_e32 v13, v7
	s_branch .LBB71_2
.LBB71_11:
	s_or_b32 exec_lo, exec_lo, s7
.LBB71_12:
	s_or_b32 exec_lo, exec_lo, s0
	s_mov_b32 s1, exec_lo
	v_cmpx_gt_u32_e64 s16, v1
	s_cbranch_execz .LBB71_19
; %bb.13:
	v_mov_b32_e32 v2, 0
	s_cmp_lg_u64 s[2:3], 0
	s_cselect_b32 s7, -1, 0
	v_lshlrev_b64 v[2:3], 1, v[1:2]
	v_add_co_u32 v6, vcc_lo, s12, v2
	v_add_co_ci_u32_e64 v7, null, s13, v3, vcc_lo
	v_add_co_u32 v2, vcc_lo, s2, v2
	v_add_co_ci_u32_e64 v3, null, s3, v3, vcc_lo
	;; [unrolled: 2-line block ×4, first 2 shown]
	s_mov_b32 s8, 0
	s_inst_prefetch 0x1
	s_branch .LBB71_16
	.p2align	6
.LBB71_14:                              ;   in Loop: Header=BB71_16 Depth=1
	global_load_ushort v8, v[2:3], off
	s_waitcnt vmcnt(0)
	v_cvt_f32_f16_e32 v8, v8
.LBB71_15:                              ;   in Loop: Header=BB71_16 Depth=1
	global_load_ushort v11, v[6:7], off
	global_load_ushort v12, v[4:5], off
	v_add_nc_u32_e32 v1, 1, v1
	v_add_co_u32 v2, vcc_lo, v2, 2
	v_add_co_ci_u32_e64 v3, null, 0, v3, vcc_lo
	v_add_co_u32 v4, vcc_lo, v4, 2
	v_add_co_ci_u32_e64 v5, null, 0, v5, vcc_lo
	v_cmp_le_u32_e32 vcc_lo, s16, v1
	v_add_co_u32 v6, s0, v6, 2
	v_add_co_ci_u32_e64 v7, null, 0, v7, s0
	s_or_b32 s8, vcc_lo, s8
	s_waitcnt vmcnt(1)
	v_cvt_f32_f16_e32 v13, v11
	s_waitcnt vmcnt(0)
	v_cvt_f32_f16_e32 v12, v12
	v_fma_mix_f32 v10, v8, v11, v10 op_sel_hi:[0,1,0]
	v_mul_f32_e32 v13, v8, v13
	s_waitcnt lgkmcnt(0)
	v_subrev_f32_e32 v12, s14, v12
	v_mul_f32_e32 v12, v12, v13
	v_fmac_f32_e32 v9, s15, v12
	s_andn2_b32 exec_lo, exec_lo, s8
	s_cbranch_execz .LBB71_18
.LBB71_16:                              ; =>This Inner Loop Header: Depth=1
	s_andn2_b32 vcc_lo, exec_lo, s7
	s_cbranch_vccz .LBB71_14
; %bb.17:                               ;   in Loop: Header=BB71_16 Depth=1
	v_mov_b32_e32 v8, 1.0
	s_branch .LBB71_15
.LBB71_18:
	s_inst_prefetch 0x2
	s_or_b32 exec_lo, exec_lo, s8
.LBB71_19:
	s_or_b32 exec_lo, exec_lo, s1
	v_mbcnt_lo_u32_b32 v1, -1, 0
	s_waitcnt lgkmcnt(0)
	s_barrier
	buffer_gl0_inv
	v_lshl_or_b32 v3, v1, 2, 64
	v_cmp_gt_u32_e32 vcc_lo, 24, v1
	ds_bpermute_b32 v2, v3, v10
	v_cndmask_b32_e64 v4, 0, 8, vcc_lo
	v_cmp_gt_u32_e32 vcc_lo, 28, v1
	v_add_lshl_u32 v4, v4, v1, 2
	v_cndmask_b32_e64 v5, 0, 4, vcc_lo
	v_cmp_gt_u32_e32 vcc_lo, 30, v1
	v_add_lshl_u32 v5, v5, v1, 2
	s_waitcnt lgkmcnt(0)
	v_add_f32_e32 v2, v10, v2
	ds_bpermute_b32 v6, v4, v2
	s_waitcnt lgkmcnt(0)
	v_add_f32_e32 v2, v2, v6
	v_cndmask_b32_e64 v6, 0, 2, vcc_lo
	v_cmp_ne_u32_e32 vcc_lo, 31, v1
	ds_bpermute_b32 v7, v5, v2
	v_add_lshl_u32 v6, v6, v1, 2
	v_add_co_ci_u32_e64 v8, null, 0, v1, vcc_lo
	s_waitcnt lgkmcnt(0)
	v_add_f32_e32 v2, v2, v7
	ds_bpermute_b32 v7, v6, v2
	s_waitcnt lgkmcnt(0)
	v_add_f32_e32 v1, v2, v7
	v_lshlrev_b32_e32 v7, 2, v8
	v_and_b32_e32 v8, 31, v0
	v_lshrrev_b32_e32 v2, 3, v0
	ds_bpermute_b32 v10, v7, v1
	v_cmp_eq_u32_e32 vcc_lo, 0, v8
	s_and_saveexec_b32 s0, vcc_lo
	s_cbranch_execz .LBB71_21
; %bb.20:
	v_add_nc_u32_e32 v11, 0, v2
	s_waitcnt lgkmcnt(0)
	v_add_f32_e32 v1, v1, v10
	ds_write_b32 v11, v1
.LBB71_21:
	s_or_b32 exec_lo, exec_lo, s0
	s_waitcnt lgkmcnt(0)
	s_barrier
	buffer_gl0_inv
	s_load_dword s7, s[4:5], 0x44
	v_mov_b32_e32 v1, 0
	v_lshl_add_u32 v8, v8, 2, 0
	s_waitcnt lgkmcnt(0)
	s_bfe_u32 s0, s7, 0xb0005
	v_cmp_gt_u32_e64 s0, s0, v0
	s_and_saveexec_b32 s1, s0
; %bb.22:
	ds_read_b32 v1, v8
; %bb.23:
	s_or_b32 exec_lo, exec_lo, s1
	v_cmp_gt_u32_e64 s1, 32, v0
	s_and_saveexec_b32 s8, s1
	s_cbranch_execz .LBB71_25
; %bb.24:
	s_waitcnt lgkmcnt(0)
	ds_bpermute_b32 v10, v3, v1
	s_waitcnt lgkmcnt(0)
	v_add_f32_e32 v1, v1, v10
	ds_bpermute_b32 v10, v4, v1
	s_waitcnt lgkmcnt(0)
	v_add_f32_e32 v1, v1, v10
	;; [unrolled: 3-line block ×5, first 2 shown]
.LBB71_25:
	s_or_b32 exec_lo, exec_lo, s8
	ds_bpermute_b32 v10, v3, v9
	s_waitcnt lgkmcnt(0)
	s_barrier
	buffer_gl0_inv
	v_add_f32_e32 v9, v9, v10
	ds_bpermute_b32 v10, v4, v9
	s_waitcnt lgkmcnt(0)
	v_add_f32_e32 v9, v9, v10
	ds_bpermute_b32 v10, v5, v9
	s_waitcnt lgkmcnt(0)
	;; [unrolled: 3-line block ×3, first 2 shown]
	v_add_f32_e32 v9, v9, v10
	ds_bpermute_b32 v10, v7, v9
	s_and_saveexec_b32 s8, vcc_lo
	s_cbranch_execz .LBB71_27
; %bb.26:
	v_add_nc_u32_e32 v2, 0, v2
	s_waitcnt lgkmcnt(0)
	v_add_f32_e32 v9, v9, v10
	ds_write_b32 v2, v9
.LBB71_27:
	s_or_b32 exec_lo, exec_lo, s8
	v_mov_b32_e32 v2, 0
	s_waitcnt lgkmcnt(0)
	s_barrier
	buffer_gl0_inv
	s_and_saveexec_b32 s8, s0
; %bb.28:
	ds_read_b32 v2, v8
; %bb.29:
	s_or_b32 exec_lo, exec_lo, s8
	s_and_saveexec_b32 s0, s1
	s_cbranch_execz .LBB71_31
; %bb.30:
	s_waitcnt lgkmcnt(0)
	ds_bpermute_b32 v3, v3, v2
	s_waitcnt lgkmcnt(0)
	v_add_f32_e32 v2, v2, v3
	ds_bpermute_b32 v3, v4, v2
	s_waitcnt lgkmcnt(0)
	v_add_f32_e32 v2, v2, v3
	;; [unrolled: 3-line block ×5, first 2 shown]
.LBB71_31:
	s_or_b32 exec_lo, exec_lo, s0
	s_mov_b32 s0, exec_lo
	v_cmpx_eq_u32_e32 0, v0
	s_cbranch_execz .LBB71_33
; %bb.32:
	v_mov_b32_e32 v3, 0
	s_waitcnt lgkmcnt(0)
	ds_write_b64 v3, v[1:2]
.LBB71_33:
	s_or_b32 exec_lo, exec_lo, s0
	s_waitcnt lgkmcnt(0)
	s_barrier
	buffer_gl0_inv
	s_mov_b32 s0, exec_lo
	v_cmpx_gt_i32_e64 s16, v0
	s_cbranch_execz .LBB71_39
; %bb.34:
	v_cvt_f32_i32_e32 v6, s16
	s_load_dwordx2 s[4:5], s[4:5], 0x28
	s_and_b32 s1, 0xffff, s7
	s_mov_b32 s8, 0
	v_div_scale_f32 v1, null, v6, v6, 1.0
	v_div_scale_f32 v3, vcc_lo, 1.0, v6, 1.0
	v_rcp_f32_e32 v4, v1
	v_fma_f32 v2, -v1, v4, 1.0
	s_waitcnt lgkmcnt(0)
	s_add_u32 s4, s4, s12
	s_addc_u32 s5, s5, s13
	s_cmp_lg_u64 s[2:3], 0
	s_cselect_b32 s7, -1, 0
	v_fmac_f32_e32 v4, v2, v4
	v_mul_f32_e32 v5, v3, v4
	v_fma_f32 v2, -v1, v5, v3
	v_fmac_f32_e32 v5, v2, v4
	v_mov_b32_e32 v2, 0
	v_fma_f32 v1, -v1, v5, v3
	ds_read_b64 v[2:3], v2
	v_div_fmas_f32 v1, v1, v4, v5
	v_div_fixup_f32 v1, v1, v6, 1.0
	v_mul_f32_e32 v7, s15, v1
	s_inst_prefetch 0x1
	s_branch .LBB71_37
	.p2align	6
.LBB71_35:                              ;   in Loop: Header=BB71_37 Depth=1
	v_add_co_u32 v9, vcc_lo, s2, v4
	v_add_co_ci_u32_e64 v10, null, s3, v5, vcc_lo
	global_load_ushort v9, v[9:10], off
	s_waitcnt vmcnt(0)
	v_cvt_f32_f16_e32 v9, v9
.LBB71_36:                              ;   in Loop: Header=BB71_37 Depth=1
	s_waitcnt vmcnt(1)
	v_cvt_f32_f16_e32 v8, v8
	v_mul_f32_e32 v9, v9, v6
	v_add_nc_u32_e32 v0, s1, v0
	v_add_co_u32 v4, s0, s4, v4
	v_subrev_f32_e32 v8, s14, v8
	v_add_co_ci_u32_e64 v5, null, s5, v5, s0
	v_cmp_le_i32_e32 vcc_lo, s16, v0
	v_mul_f32_e32 v8, s15, v8
	s_or_b32 s8, vcc_lo, s8
	s_waitcnt lgkmcnt(0)
	v_mul_f32_e32 v8, v3, v8
	s_waitcnt vmcnt(0)
	v_fma_mix_f32 v1, v9, v1, -v8 op_sel_hi:[0,1,0]
	v_sub_f32_e32 v1, v1, v2
	v_fma_mixlo_f16 v1, v7, v1, 0
	global_store_short v[4:5], v1, off
	s_andn2_b32 exec_lo, exec_lo, s8
	s_cbranch_execz .LBB71_39
.LBB71_37:                              ; =>This Inner Loop Header: Depth=1
	v_ashrrev_i32_e32 v1, 31, v0
	v_lshlrev_b64 v[4:5], 1, v[0:1]
	v_add_co_u32 v8, vcc_lo, s6, v4
	v_add_co_ci_u32_e64 v9, null, s17, v5, vcc_lo
	v_add_co_u32 v10, vcc_lo, s18, v4
	v_add_co_ci_u32_e64 v11, null, s19, v5, vcc_lo
	global_load_ushort v8, v[8:9], off
	global_load_ushort v1, v[10:11], off
	s_andn2_b32 vcc_lo, exec_lo, s7
	s_cbranch_vccz .LBB71_35
; %bb.38:                               ;   in Loop: Header=BB71_37 Depth=1
	v_mov_b32_e32 v9, 1.0
	s_branch .LBB71_36
.LBB71_39:
	s_inst_prefetch 0x2
	s_endpgm
	.section	.rodata,"a",@progbits
	.p2align	6, 0x0
	.amdhsa_kernel _ZN2at6native12_GLOBAL__N_128layer_norm_grad_input_kernelIN3c104HalfEfLb0EEEvPKT_S7_PKT0_SA_S7_PS5_i
		.amdhsa_group_segment_fixed_size 0
		.amdhsa_private_segment_fixed_size 0
		.amdhsa_kernarg_size 312
		.amdhsa_user_sgpr_count 6
		.amdhsa_user_sgpr_private_segment_buffer 1
		.amdhsa_user_sgpr_dispatch_ptr 0
		.amdhsa_user_sgpr_queue_ptr 0
		.amdhsa_user_sgpr_kernarg_segment_ptr 1
		.amdhsa_user_sgpr_dispatch_id 0
		.amdhsa_user_sgpr_flat_scratch_init 0
		.amdhsa_user_sgpr_private_segment_size 0
		.amdhsa_wavefront_size32 1
		.amdhsa_uses_dynamic_stack 0
		.amdhsa_system_sgpr_private_segment_wavefront_offset 0
		.amdhsa_system_sgpr_workgroup_id_x 1
		.amdhsa_system_sgpr_workgroup_id_y 0
		.amdhsa_system_sgpr_workgroup_id_z 0
		.amdhsa_system_sgpr_workgroup_info 0
		.amdhsa_system_vgpr_workitem_id 0
		.amdhsa_next_free_vgpr 22
		.amdhsa_next_free_sgpr 21
		.amdhsa_reserve_vcc 1
		.amdhsa_reserve_flat_scratch 0
		.amdhsa_float_round_mode_32 0
		.amdhsa_float_round_mode_16_64 0
		.amdhsa_float_denorm_mode_32 3
		.amdhsa_float_denorm_mode_16_64 3
		.amdhsa_dx10_clamp 1
		.amdhsa_ieee_mode 1
		.amdhsa_fp16_overflow 0
		.amdhsa_workgroup_processor_mode 1
		.amdhsa_memory_ordered 1
		.amdhsa_forward_progress 1
		.amdhsa_shared_vgpr_count 0
		.amdhsa_exception_fp_ieee_invalid_op 0
		.amdhsa_exception_fp_denorm_src 0
		.amdhsa_exception_fp_ieee_div_zero 0
		.amdhsa_exception_fp_ieee_overflow 0
		.amdhsa_exception_fp_ieee_underflow 0
		.amdhsa_exception_fp_ieee_inexact 0
		.amdhsa_exception_int_div_zero 0
	.end_amdhsa_kernel
	.section	.text._ZN2at6native12_GLOBAL__N_128layer_norm_grad_input_kernelIN3c104HalfEfLb0EEEvPKT_S7_PKT0_SA_S7_PS5_i,"axG",@progbits,_ZN2at6native12_GLOBAL__N_128layer_norm_grad_input_kernelIN3c104HalfEfLb0EEEvPKT_S7_PKT0_SA_S7_PS5_i,comdat
.Lfunc_end71:
	.size	_ZN2at6native12_GLOBAL__N_128layer_norm_grad_input_kernelIN3c104HalfEfLb0EEEvPKT_S7_PKT0_SA_S7_PS5_i, .Lfunc_end71-_ZN2at6native12_GLOBAL__N_128layer_norm_grad_input_kernelIN3c104HalfEfLb0EEEvPKT_S7_PKT0_SA_S7_PS5_i
                                        ; -- End function
	.set _ZN2at6native12_GLOBAL__N_128layer_norm_grad_input_kernelIN3c104HalfEfLb0EEEvPKT_S7_PKT0_SA_S7_PS5_i.num_vgpr, 22
	.set _ZN2at6native12_GLOBAL__N_128layer_norm_grad_input_kernelIN3c104HalfEfLb0EEEvPKT_S7_PKT0_SA_S7_PS5_i.num_agpr, 0
	.set _ZN2at6native12_GLOBAL__N_128layer_norm_grad_input_kernelIN3c104HalfEfLb0EEEvPKT_S7_PKT0_SA_S7_PS5_i.numbered_sgpr, 21
	.set _ZN2at6native12_GLOBAL__N_128layer_norm_grad_input_kernelIN3c104HalfEfLb0EEEvPKT_S7_PKT0_SA_S7_PS5_i.num_named_barrier, 0
	.set _ZN2at6native12_GLOBAL__N_128layer_norm_grad_input_kernelIN3c104HalfEfLb0EEEvPKT_S7_PKT0_SA_S7_PS5_i.private_seg_size, 0
	.set _ZN2at6native12_GLOBAL__N_128layer_norm_grad_input_kernelIN3c104HalfEfLb0EEEvPKT_S7_PKT0_SA_S7_PS5_i.uses_vcc, 1
	.set _ZN2at6native12_GLOBAL__N_128layer_norm_grad_input_kernelIN3c104HalfEfLb0EEEvPKT_S7_PKT0_SA_S7_PS5_i.uses_flat_scratch, 0
	.set _ZN2at6native12_GLOBAL__N_128layer_norm_grad_input_kernelIN3c104HalfEfLb0EEEvPKT_S7_PKT0_SA_S7_PS5_i.has_dyn_sized_stack, 0
	.set _ZN2at6native12_GLOBAL__N_128layer_norm_grad_input_kernelIN3c104HalfEfLb0EEEvPKT_S7_PKT0_SA_S7_PS5_i.has_recursion, 0
	.set _ZN2at6native12_GLOBAL__N_128layer_norm_grad_input_kernelIN3c104HalfEfLb0EEEvPKT_S7_PKT0_SA_S7_PS5_i.has_indirect_call, 0
	.section	.AMDGPU.csdata,"",@progbits
; Kernel info:
; codeLenInByte = 2068
; TotalNumSgprs: 23
; NumVgprs: 22
; ScratchSize: 0
; MemoryBound: 0
; FloatMode: 240
; IeeeMode: 1
; LDSByteSize: 0 bytes/workgroup (compile time only)
; SGPRBlocks: 0
; VGPRBlocks: 2
; NumSGPRsForWavesPerEU: 23
; NumVGPRsForWavesPerEU: 22
; Occupancy: 16
; WaveLimiterHint : 0
; COMPUTE_PGM_RSRC2:SCRATCH_EN: 0
; COMPUTE_PGM_RSRC2:USER_SGPR: 6
; COMPUTE_PGM_RSRC2:TRAP_HANDLER: 0
; COMPUTE_PGM_RSRC2:TGID_X_EN: 1
; COMPUTE_PGM_RSRC2:TGID_Y_EN: 0
; COMPUTE_PGM_RSRC2:TGID_Z_EN: 0
; COMPUTE_PGM_RSRC2:TIDIG_COMP_CNT: 0
	.section	.text._ZN2at6native12_GLOBAL__N_133GammaBetaBackwardSimpleCUDAKernelIN3c104HalfEfLb0EEEvllPKT_S7_PKT0_SA_PS5_SB_,"axG",@progbits,_ZN2at6native12_GLOBAL__N_133GammaBetaBackwardSimpleCUDAKernelIN3c104HalfEfLb0EEEvllPKT_S7_PKT0_SA_PS5_SB_,comdat
	.globl	_ZN2at6native12_GLOBAL__N_133GammaBetaBackwardSimpleCUDAKernelIN3c104HalfEfLb0EEEvllPKT_S7_PKT0_SA_PS5_SB_ ; -- Begin function _ZN2at6native12_GLOBAL__N_133GammaBetaBackwardSimpleCUDAKernelIN3c104HalfEfLb0EEEvllPKT_S7_PKT0_SA_PS5_SB_
	.p2align	8
	.type	_ZN2at6native12_GLOBAL__N_133GammaBetaBackwardSimpleCUDAKernelIN3c104HalfEfLb0EEEvllPKT_S7_PKT0_SA_PS5_SB_,@function
_ZN2at6native12_GLOBAL__N_133GammaBetaBackwardSimpleCUDAKernelIN3c104HalfEfLb0EEEvllPKT_S7_PKT0_SA_PS5_SB_: ; @_ZN2at6native12_GLOBAL__N_133GammaBetaBackwardSimpleCUDAKernelIN3c104HalfEfLb0EEEvllPKT_S7_PKT0_SA_PS5_SB_
; %bb.0:
	s_clause 0x1
	s_load_dword s0, s[4:5], 0x4c
	s_load_dwordx16 s[8:23], s[4:5], 0x0
	v_mov_b32_e32 v1, 0
	s_waitcnt lgkmcnt(0)
	s_and_b32 s0, s0, 0xffff
	v_mad_u64_u32 v[2:3], null, s0, s6, v[0:1]
	s_mov_b32 s0, exec_lo
	v_cmpx_gt_i64_e64 s[10:11], v[2:3]
	s_cbranch_execz .LBB72_14
; %bb.1:
	v_cmp_lt_i64_e64 s0, s[8:9], 1
	v_lshlrev_b64 v[2:3], 1, v[2:3]
	v_mov_b32_e32 v0, 0
	s_and_b32 vcc_lo, exec_lo, s0
	s_cbranch_vccnz .LBB72_10
; %bb.2:
	s_cmp_lg_u64 s[20:21], 0
	v_mov_b32_e32 v0, v2
	v_mov_b32_e32 v4, 0
	;; [unrolled: 1-line block ×4, first 2 shown]
	s_cselect_b32 s2, -1, 0
	s_cmp_lg_u64 s[22:23], 0
	s_cselect_b32 s3, -1, 0
	s_lshl_b64 s[0:1], s[10:11], 1
	s_branch .LBB72_5
.LBB72_3:                               ;   in Loop: Header=BB72_5 Depth=1
	v_add_co_u32 v7, vcc_lo, s12, v0
	v_add_co_ci_u32_e64 v8, null, s13, v1, vcc_lo
	global_load_ushort v7, v[7:8], off
	s_waitcnt vmcnt(0)
	v_cvt_f32_f16_e32 v7, v7
.LBB72_4:                               ;   in Loop: Header=BB72_5 Depth=1
	s_add_u32 s8, s8, -1
	s_addc_u32 s9, s9, -1
	v_add_co_u32 v0, vcc_lo, v0, s0
	s_add_u32 s18, s18, 4
	v_add_f32_e32 v4, v4, v6
	v_add_f32_e32 v5, v5, v7
	v_add_co_ci_u32_e64 v1, null, s1, v1, vcc_lo
	s_addc_u32 s19, s19, 0
	s_add_u32 s16, s16, 4
	s_addc_u32 s17, s17, 0
	s_cmp_eq_u64 s[8:9], 0
	s_cbranch_scc1 .LBB72_9
.LBB72_5:                               ; =>This Inner Loop Header: Depth=1
	v_mov_b32_e32 v6, 0
	s_andn2_b32 vcc_lo, exec_lo, s2
	s_cbranch_vccnz .LBB72_7
; %bb.6:                                ;   in Loop: Header=BB72_5 Depth=1
	v_add_co_u32 v6, vcc_lo, s14, v0
	v_add_co_ci_u32_e64 v7, null, s15, v1, vcc_lo
	v_add_co_u32 v8, vcc_lo, s12, v0
	v_add_co_ci_u32_e64 v9, null, s13, v1, vcc_lo
	global_load_ushort v6, v[6:7], off
	global_load_ushort v7, v[8:9], off
	s_load_dword s4, s[16:17], 0x0
	s_load_dword s5, s[18:19], 0x0
	s_waitcnt vmcnt(1)
	v_cvt_f32_f16_e32 v6, v6
	s_waitcnt vmcnt(0)
	v_cvt_f32_f16_e32 v7, v7
	s_waitcnt lgkmcnt(0)
	v_subrev_f32_e32 v6, s4, v6
	v_mul_f32_e32 v6, v6, v7
	v_mul_f32_e32 v6, s5, v6
.LBB72_7:                               ;   in Loop: Header=BB72_5 Depth=1
	s_andn2_b32 vcc_lo, exec_lo, s3
	s_cbranch_vccz .LBB72_3
; %bb.8:                                ;   in Loop: Header=BB72_5 Depth=1
	v_mov_b32_e32 v7, 0
	s_branch .LBB72_4
.LBB72_9:
	v_cvt_f16_f32_e32 v1, v4
	v_cvt_f16_f32_e32 v0, v5
.LBB72_10:
	s_cmp_lg_u64 s[20:21], 0
	s_cbranch_scc0 .LBB72_12
; %bb.11:
	v_add_co_u32 v4, vcc_lo, s20, v2
	v_add_co_ci_u32_e64 v5, null, s21, v3, vcc_lo
	global_store_short v[4:5], v1, off
.LBB72_12:
	s_cmp_eq_u64 s[22:23], 0
	s_cbranch_scc1 .LBB72_14
; %bb.13:
	v_add_co_u32 v1, vcc_lo, s22, v2
	v_add_co_ci_u32_e64 v2, null, s23, v3, vcc_lo
	global_store_short v[1:2], v0, off
.LBB72_14:
	s_endpgm
	.section	.rodata,"a",@progbits
	.p2align	6, 0x0
	.amdhsa_kernel _ZN2at6native12_GLOBAL__N_133GammaBetaBackwardSimpleCUDAKernelIN3c104HalfEfLb0EEEvllPKT_S7_PKT0_SA_PS5_SB_
		.amdhsa_group_segment_fixed_size 0
		.amdhsa_private_segment_fixed_size 0
		.amdhsa_kernarg_size 320
		.amdhsa_user_sgpr_count 6
		.amdhsa_user_sgpr_private_segment_buffer 1
		.amdhsa_user_sgpr_dispatch_ptr 0
		.amdhsa_user_sgpr_queue_ptr 0
		.amdhsa_user_sgpr_kernarg_segment_ptr 1
		.amdhsa_user_sgpr_dispatch_id 0
		.amdhsa_user_sgpr_flat_scratch_init 0
		.amdhsa_user_sgpr_private_segment_size 0
		.amdhsa_wavefront_size32 1
		.amdhsa_uses_dynamic_stack 0
		.amdhsa_system_sgpr_private_segment_wavefront_offset 0
		.amdhsa_system_sgpr_workgroup_id_x 1
		.amdhsa_system_sgpr_workgroup_id_y 0
		.amdhsa_system_sgpr_workgroup_id_z 0
		.amdhsa_system_sgpr_workgroup_info 0
		.amdhsa_system_vgpr_workitem_id 0
		.amdhsa_next_free_vgpr 10
		.amdhsa_next_free_sgpr 24
		.amdhsa_reserve_vcc 1
		.amdhsa_reserve_flat_scratch 0
		.amdhsa_float_round_mode_32 0
		.amdhsa_float_round_mode_16_64 0
		.amdhsa_float_denorm_mode_32 3
		.amdhsa_float_denorm_mode_16_64 3
		.amdhsa_dx10_clamp 1
		.amdhsa_ieee_mode 1
		.amdhsa_fp16_overflow 0
		.amdhsa_workgroup_processor_mode 1
		.amdhsa_memory_ordered 1
		.amdhsa_forward_progress 1
		.amdhsa_shared_vgpr_count 0
		.amdhsa_exception_fp_ieee_invalid_op 0
		.amdhsa_exception_fp_denorm_src 0
		.amdhsa_exception_fp_ieee_div_zero 0
		.amdhsa_exception_fp_ieee_overflow 0
		.amdhsa_exception_fp_ieee_underflow 0
		.amdhsa_exception_fp_ieee_inexact 0
		.amdhsa_exception_int_div_zero 0
	.end_amdhsa_kernel
	.section	.text._ZN2at6native12_GLOBAL__N_133GammaBetaBackwardSimpleCUDAKernelIN3c104HalfEfLb0EEEvllPKT_S7_PKT0_SA_PS5_SB_,"axG",@progbits,_ZN2at6native12_GLOBAL__N_133GammaBetaBackwardSimpleCUDAKernelIN3c104HalfEfLb0EEEvllPKT_S7_PKT0_SA_PS5_SB_,comdat
.Lfunc_end72:
	.size	_ZN2at6native12_GLOBAL__N_133GammaBetaBackwardSimpleCUDAKernelIN3c104HalfEfLb0EEEvllPKT_S7_PKT0_SA_PS5_SB_, .Lfunc_end72-_ZN2at6native12_GLOBAL__N_133GammaBetaBackwardSimpleCUDAKernelIN3c104HalfEfLb0EEEvllPKT_S7_PKT0_SA_PS5_SB_
                                        ; -- End function
	.set _ZN2at6native12_GLOBAL__N_133GammaBetaBackwardSimpleCUDAKernelIN3c104HalfEfLb0EEEvllPKT_S7_PKT0_SA_PS5_SB_.num_vgpr, 10
	.set _ZN2at6native12_GLOBAL__N_133GammaBetaBackwardSimpleCUDAKernelIN3c104HalfEfLb0EEEvllPKT_S7_PKT0_SA_PS5_SB_.num_agpr, 0
	.set _ZN2at6native12_GLOBAL__N_133GammaBetaBackwardSimpleCUDAKernelIN3c104HalfEfLb0EEEvllPKT_S7_PKT0_SA_PS5_SB_.numbered_sgpr, 24
	.set _ZN2at6native12_GLOBAL__N_133GammaBetaBackwardSimpleCUDAKernelIN3c104HalfEfLb0EEEvllPKT_S7_PKT0_SA_PS5_SB_.num_named_barrier, 0
	.set _ZN2at6native12_GLOBAL__N_133GammaBetaBackwardSimpleCUDAKernelIN3c104HalfEfLb0EEEvllPKT_S7_PKT0_SA_PS5_SB_.private_seg_size, 0
	.set _ZN2at6native12_GLOBAL__N_133GammaBetaBackwardSimpleCUDAKernelIN3c104HalfEfLb0EEEvllPKT_S7_PKT0_SA_PS5_SB_.uses_vcc, 1
	.set _ZN2at6native12_GLOBAL__N_133GammaBetaBackwardSimpleCUDAKernelIN3c104HalfEfLb0EEEvllPKT_S7_PKT0_SA_PS5_SB_.uses_flat_scratch, 0
	.set _ZN2at6native12_GLOBAL__N_133GammaBetaBackwardSimpleCUDAKernelIN3c104HalfEfLb0EEEvllPKT_S7_PKT0_SA_PS5_SB_.has_dyn_sized_stack, 0
	.set _ZN2at6native12_GLOBAL__N_133GammaBetaBackwardSimpleCUDAKernelIN3c104HalfEfLb0EEEvllPKT_S7_PKT0_SA_PS5_SB_.has_recursion, 0
	.set _ZN2at6native12_GLOBAL__N_133GammaBetaBackwardSimpleCUDAKernelIN3c104HalfEfLb0EEEvllPKT_S7_PKT0_SA_PS5_SB_.has_indirect_call, 0
	.section	.AMDGPU.csdata,"",@progbits
; Kernel info:
; codeLenInByte = 416
; TotalNumSgprs: 26
; NumVgprs: 10
; ScratchSize: 0
; MemoryBound: 0
; FloatMode: 240
; IeeeMode: 1
; LDSByteSize: 0 bytes/workgroup (compile time only)
; SGPRBlocks: 0
; VGPRBlocks: 1
; NumSGPRsForWavesPerEU: 26
; NumVGPRsForWavesPerEU: 10
; Occupancy: 16
; WaveLimiterHint : 0
; COMPUTE_PGM_RSRC2:SCRATCH_EN: 0
; COMPUTE_PGM_RSRC2:USER_SGPR: 6
; COMPUTE_PGM_RSRC2:TRAP_HANDLER: 0
; COMPUTE_PGM_RSRC2:TGID_X_EN: 1
; COMPUTE_PGM_RSRC2:TGID_Y_EN: 0
; COMPUTE_PGM_RSRC2:TGID_Z_EN: 0
; COMPUTE_PGM_RSRC2:TIDIG_COMP_CNT: 0
	.section	.text._ZN2at6native12_GLOBAL__N_135GammaBetaBackwardCUDAKernelTemplateIN3c104HalfEfLj64ELj1ELj32ELb1ELb1ELb0EEEvllPKT_S7_PKT0_SA_PS5_SB_,"axG",@progbits,_ZN2at6native12_GLOBAL__N_135GammaBetaBackwardCUDAKernelTemplateIN3c104HalfEfLj64ELj1ELj32ELb1ELb1ELb0EEEvllPKT_S7_PKT0_SA_PS5_SB_,comdat
	.globl	_ZN2at6native12_GLOBAL__N_135GammaBetaBackwardCUDAKernelTemplateIN3c104HalfEfLj64ELj1ELj32ELb1ELb1ELb0EEEvllPKT_S7_PKT0_SA_PS5_SB_ ; -- Begin function _ZN2at6native12_GLOBAL__N_135GammaBetaBackwardCUDAKernelTemplateIN3c104HalfEfLj64ELj1ELj32ELb1ELb1ELb0EEEvllPKT_S7_PKT0_SA_PS5_SB_
	.p2align	8
	.type	_ZN2at6native12_GLOBAL__N_135GammaBetaBackwardCUDAKernelTemplateIN3c104HalfEfLj64ELj1ELj32ELb1ELb1ELb0EEEvllPKT_S7_PKT0_SA_PS5_SB_,@function
_ZN2at6native12_GLOBAL__N_135GammaBetaBackwardCUDAKernelTemplateIN3c104HalfEfLj64ELj1ELj32ELb1ELb1ELb0EEEvllPKT_S7_PKT0_SA_PS5_SB_: ; @_ZN2at6native12_GLOBAL__N_135GammaBetaBackwardCUDAKernelTemplateIN3c104HalfEfLj64ELj1ELj32ELb1ELb1ELb0EEEvllPKT_S7_PKT0_SA_PS5_SB_
; %bb.0:
	s_load_dwordx4 s[16:19], s[4:5], 0x0
	s_lshl_b32 s2, s7, 5
	s_mov_b32 s3, 0
	s_waitcnt lgkmcnt(0)
	v_cmp_gt_i64_e64 s0, s[16:17], s[2:3]
	s_and_b32 vcc_lo, exec_lo, s0
	s_cbranch_vccnz .LBB73_2
; %bb.1:
	s_add_u32 s24, s4, 64
	s_addc_u32 s25, s5, 0
	s_mov_b32 s0, s3
	s_branch .LBB73_3
.LBB73_2:
	s_mov_b32 s0, -1
                                        ; implicit-def: $sgpr24_sgpr25
.LBB73_3:
	s_load_dwordx4 s[20:23], s[4:5], 0x30
	v_mov_b32_e32 v5, 0
	v_mov_b32_e32 v4, 0
	s_andn2_b32 vcc_lo, exec_lo, s0
	s_cbranch_vccnz .LBB73_9
; %bb.4:
	s_clause 0x2
	s_load_dword s0, s[4:5], 0x4c
	s_load_dword s1, s[4:5], 0x44
	s_load_dwordx8 s[8:15], s[4:5], 0x10
	v_lshlrev_b32_e32 v4, 5, v1
	s_add_u32 s24, s4, 64
	s_addc_u32 s25, s5, 0
	v_mov_b32_e32 v3, 0
	v_lshl_or_b32 v2, s6, 6, v0
	v_mov_b32_e32 v8, 4
	v_mov_b32_e32 v9, 8
	;; [unrolled: 1-line block ×4, first 2 shown]
	v_lshlrev_b64 v[39:40], 1, v[2:3]
	v_mov_b32_e32 v12, 20
	v_mov_b32_e32 v13, 24
	;; [unrolled: 1-line block ×7, first 2 shown]
	s_waitcnt lgkmcnt(0)
	s_and_b32 s0, s0, 0xffff
	s_lshl_b32 s26, s1, 5
	v_mad_u32_u24 v5, v1, s0, v0
	v_add_co_u32 v42, s0, v4, s2
	v_add_co_ci_u32_e64 v43, null, 0, 0, s0
	v_and_b32_e32 v41, 31, v5
	v_mul_lo_u32 v6, s19, v42
	v_mad_u64_u32 v[4:5], null, s18, v42, 0
	v_mul_lo_u32 v7, s18, v43
	s_mul_i32 s0, s19, s26
	s_mul_hi_u32 s1, s18, s26
	v_mov_b32_e32 v19, 48
	v_mov_b32_e32 v20, 52
	;; [unrolled: 1-line block ×5, first 2 shown]
	v_add3_u32 v5, v5, v7, v6
	v_mov_b32_e32 v24, 0x44
	v_mov_b32_e32 v25, 0x48
	;; [unrolled: 1-line block ×4, first 2 shown]
	v_lshlrev_b64 v[6:7], 1, v[4:5]
	v_add_co_u32 v4, vcc_lo, v42, v41
	v_add_co_ci_u32_e64 v5, null, 0, v43, vcc_lo
	v_mov_b32_e32 v28, 0x54
	v_add_co_u32 v2, vcc_lo, v6, v39
	v_add_co_ci_u32_e64 v39, null, v7, v40, vcc_lo
	v_lshlrev_b64 v[6:7], 2, v[4:5]
	v_mov_b32_e32 v29, 0x58
	v_mov_b32_e32 v30, 0x5c
	;; [unrolled: 1-line block ×12, first 2 shown]
	s_mov_b32 s27, 0
	s_add_i32 s1, s1, s0
	s_mul_i32 s0, s18, s26
	s_lshl_b64 s[28:29], s[26:27], 2
	s_lshl_b64 s[4:5], s[0:1], 1
	;; [unrolled: 1-line block ×3, first 2 shown]
	s_branch .LBB73_6
.LBB73_5:                               ;   in Loop: Header=BB73_6 Depth=1
	s_or_b32 exec_lo, exec_lo, s0
	v_add_co_u32 v45, vcc_lo, s10, v2
	v_add_co_ci_u32_e64 v46, null, s11, v39, vcc_lo
	v_add_co_u32 v47, vcc_lo, s8, v2
	v_add_co_ci_u32_e64 v48, null, s9, v39, vcc_lo
	v_add_co_u32 v49, vcc_lo, v45, s30
	global_load_ushort v55, v[45:46], off
	v_add_co_ci_u32_e64 v50, null, s31, v46, vcc_lo
	v_add_co_u32 v46, vcc_lo, v47, s30
	global_load_ushort v44, v[47:48], off
	global_load_ushort v54, v[49:50], off
	v_add_co_ci_u32_e64 v47, null, s31, v48, vcc_lo
	v_add_co_u32 v48, vcc_lo, v49, s30
	v_add_co_ci_u32_e64 v49, null, s31, v50, vcc_lo
	global_load_ushort v45, v[46:47], off
	v_add_co_u32 v50, vcc_lo, v46, s30
	global_load_ushort v52, v[48:49], off
	v_add_co_ci_u32_e64 v51, null, s31, v47, vcc_lo
	v_add_co_u32 v48, vcc_lo, v48, s30
	v_add_co_ci_u32_e64 v49, null, s31, v49, vcc_lo
	global_load_ushort v46, v[50:51], off
	v_add_co_u32 v56, vcc_lo, v50, s30
	;; [unrolled: 6-line block ×4, first 2 shown]
	global_load_ushort v49, v[58:59], off
	v_add_co_ci_u32_e64 v57, null, s31, v57, vcc_lo
	v_add_co_u32 v58, s0, v58, s30
	v_add_co_ci_u32_e64 v59, null, s31, v59, s0
	global_load_ushort v53, v[56:57], off
	v_add_co_u32 v56, vcc_lo, v56, s30
	v_add_co_ci_u32_e64 v57, null, s31, v57, vcc_lo
	global_load_ushort v65, v[58:59], off
	v_add_co_u32 v62, s0, v58, s30
	global_load_ushort v64, v[56:57], off
	v_add_co_ci_u32_e64 v63, null, s31, v59, s0
	v_add_co_u32 v60, vcc_lo, v56, s30
	v_add_co_ci_u32_e64 v61, null, s31, v57, vcc_lo
	global_load_ushort v66, v[62:63], off
	v_add_co_u32 v56, vcc_lo, v62, s30
	global_load_ushort v67, v[60:61], off
	v_add_co_ci_u32_e64 v57, null, s31, v63, vcc_lo
	s_add_u32 s2, s2, s26
	s_addc_u32 s3, s3, 0
	global_load_ushort v69, v[56:57], off
	v_add_co_u32 v58, s0, v60, s30
	v_add_co_ci_u32_e64 v59, null, s31, v61, s0
	v_add_co_u32 v62, s0, v56, s30
	v_add_co_ci_u32_e64 v63, null, s31, v57, s0
	global_load_ushort v68, v[58:59], off
	v_add_co_u32 v60, vcc_lo, v58, s30
	v_add_co_ci_u32_e64 v61, null, s31, v59, vcc_lo
	v_add_co_u32 v56, vcc_lo, v62, s30
	global_load_ushort v62, v[62:63], off
	v_add_co_ci_u32_e64 v57, null, s31, v63, vcc_lo
	global_load_ushort v63, v[60:61], off
	v_add_co_u32 v58, s0, v60, s30
	v_add_co_u32 v60, vcc_lo, v56, s30
	global_load_ushort v70, v[56:57], off
	s_waitcnt vmcnt(22)
	ds_bpermute_b32 v56, v3, v42
	v_add_co_ci_u32_e64 v59, null, s31, v61, s0
	v_add_co_ci_u32_e64 v61, null, s31, v57, vcc_lo
	ds_bpermute_b32 v57, v8, v42
	global_load_ushort v71, v[58:59], off
	v_cmp_lt_i64_e64 s0, s[2:3], s[16:17]
	global_load_ushort v72, v[60:61], off
	s_waitcnt vmcnt(22)
	v_cvt_f32_f16_e32 v55, v55
	s_waitcnt vmcnt(21)
	v_cvt_f32_f16_e32 v44, v44
	s_waitcnt lgkmcnt(1)
	v_sub_f32_e32 v55, v55, v56
	ds_bpermute_b32 v56, v3, v41
	s_waitcnt vmcnt(20)
	v_cvt_f32_f16_e32 v54, v54
	v_add_f32_e32 v43, v43, v44
	v_mul_f32_e32 v55, v55, v44
	ds_bpermute_b32 v44, v31, v42
	s_waitcnt lgkmcnt(2)
	v_sub_f32_e32 v54, v54, v57
	ds_bpermute_b32 v57, v8, v41
	s_waitcnt vmcnt(19)
	v_cvt_f32_f16_e32 v45, v45
	s_waitcnt vmcnt(18)
	v_cvt_f32_f16_e32 v52, v52
	v_mul_f32_e32 v54, v54, v45
	v_add_f32_e32 v43, v43, v45
	ds_bpermute_b32 v45, v32, v42
	s_waitcnt vmcnt(17)
	v_cvt_f32_f16_e32 v46, v46
	s_waitcnt vmcnt(16)
	v_cvt_f32_f16_e32 v47, v47
	s_waitcnt lgkmcnt(3)
	v_fmac_f32_e32 v40, v55, v56
	v_add_co_u32 v55, vcc_lo, v58, s30
	v_add_co_ci_u32_e64 v56, null, s31, v59, vcc_lo
	v_add_f32_e32 v43, v43, v46
	s_waitcnt lgkmcnt(1)
	v_fmac_f32_e32 v40, v54, v57
	ds_bpermute_b32 v54, v9, v42
	v_add_co_u32 v57, vcc_lo, v60, s30
	v_add_co_ci_u32_e64 v58, null, s31, v61, vcc_lo
	v_add_co_u32 v59, vcc_lo, v55, s30
	global_load_ushort v73, v[55:56], off
	ds_bpermute_b32 v55, v11, v41
	s_waitcnt vmcnt(15)
	v_cvt_f32_f16_e32 v48, v48
	v_add_co_ci_u32_e64 v60, null, s31, v56, vcc_lo
	ds_bpermute_b32 v56, v12, v41
	s_waitcnt vmcnt(13)
	v_cvt_f32_f16_e32 v49, v49
	global_load_ushort v74, v[57:58], off
	global_load_ushort v75, v[59:60], off
	s_waitcnt lgkmcnt(2)
	v_sub_f32_e32 v52, v52, v54
	ds_bpermute_b32 v54, v9, v41
	v_mul_f32_e32 v52, v52, v46
	s_waitcnt lgkmcnt(0)
	v_fmac_f32_e32 v40, v52, v54
	ds_bpermute_b32 v52, v10, v42
	ds_bpermute_b32 v54, v10, v41
	s_waitcnt lgkmcnt(1)
	v_sub_f32_e32 v52, v47, v52
	v_cvt_f32_f16_e32 v47, v51
	v_mul_f32_e32 v51, v52, v47
	v_add_f32_e32 v43, v43, v47
	ds_bpermute_b32 v47, v31, v41
	s_waitcnt lgkmcnt(1)
	v_fmac_f32_e32 v40, v51, v54
	ds_bpermute_b32 v54, v11, v42
	v_add_co_u32 v51, vcc_lo, v57, s30
	v_add_co_ci_u32_e64 v52, null, s31, v58, vcc_lo
	global_load_ushort v76, v[51:52], off
	s_waitcnt lgkmcnt(0)
	v_sub_f32_e32 v54, v48, v54
	v_cvt_f32_f16_e32 v48, v50
	v_mul_f32_e32 v50, v54, v48
	v_add_co_u32 v54, vcc_lo, v59, s30
	v_add_f32_e32 v43, v43, v48
	ds_bpermute_b32 v48, v33, v42
	v_fmac_f32_e32 v40, v50, v55
	ds_bpermute_b32 v50, v12, v42
	v_add_co_ci_u32_e64 v55, null, s31, v60, vcc_lo
	ds_bpermute_b32 v60, v17, v41
	s_waitcnt lgkmcnt(1)
	v_sub_f32_e32 v50, v49, v50
	s_waitcnt vmcnt(15)
	v_cvt_f32_f16_e32 v49, v53
	ds_bpermute_b32 v53, v14, v41
	v_mul_f32_e32 v50, v50, v49
	v_add_f32_e32 v43, v43, v49
	ds_bpermute_b32 v49, v32, v41
	v_fmac_f32_e32 v40, v50, v56
	ds_bpermute_b32 v50, v13, v42
	v_add_co_u32 v56, vcc_lo, v51, s30
	v_add_co_ci_u32_e64 v57, null, s31, v52, vcc_lo
	ds_bpermute_b32 v52, v13, v41
	s_waitcnt vmcnt(14)
	v_cvt_f32_f16_e32 v51, v65
	v_add_co_u32 v58, vcc_lo, v54, s30
	global_load_ushort v65, v[56:57], off
	v_add_co_ci_u32_e64 v59, null, s31, v55, vcc_lo
	s_waitcnt lgkmcnt(1)
	v_sub_f32_e32 v51, v51, v50
	s_waitcnt vmcnt(14)
	v_cvt_f32_f16_e32 v50, v64
	global_load_ushort v64, v[54:55], off
	v_add_co_u32 v54, vcc_lo, v56, s30
	ds_bpermute_b32 v56, v15, v41
	v_mul_f32_e32 v51, v51, v50
	v_add_co_ci_u32_e64 v55, null, s31, v57, vcc_lo
	v_add_f32_e32 v43, v43, v50
	s_waitcnt lgkmcnt(1)
	v_fmac_f32_e32 v40, v51, v52
	ds_bpermute_b32 v51, v14, v42
	s_waitcnt vmcnt(14)
	v_cvt_f32_f16_e32 v52, v66
	global_load_ushort v66, v[58:59], off
	s_waitcnt lgkmcnt(0)
	v_sub_f32_e32 v52, v52, v51
	s_waitcnt vmcnt(14)
	v_cvt_f32_f16_e32 v51, v67
	v_mul_f32_e32 v52, v52, v51
	v_add_f32_e32 v43, v43, v51
	v_fmac_f32_e32 v40, v52, v53
	ds_bpermute_b32 v52, v15, v42
	s_waitcnt vmcnt(13)
	v_cvt_f32_f16_e32 v53, v69
	s_waitcnt lgkmcnt(0)
	v_sub_f32_e32 v53, v53, v52
	s_waitcnt vmcnt(12)
	v_cvt_f32_f16_e32 v52, v68
	v_mul_f32_e32 v53, v53, v52
	v_add_f32_e32 v43, v43, v52
	v_fmac_f32_e32 v40, v53, v56
	ds_bpermute_b32 v53, v16, v42
	v_add_co_u32 v56, vcc_lo, v58, s30
	v_add_co_ci_u32_e64 v57, null, s31, v59, vcc_lo
	s_waitcnt vmcnt(11)
	v_cvt_f32_f16_e32 v58, v62
	ds_bpermute_b32 v59, v16, v41
	global_load_ushort v62, v[54:55], off
	s_waitcnt lgkmcnt(1)
	v_sub_f32_e32 v58, v58, v53
	s_waitcnt vmcnt(11)
	v_cvt_f32_f16_e32 v53, v63
	global_load_ushort v63, v[56:57], off
	v_mul_f32_e32 v58, v58, v53
	v_add_f32_e32 v43, v43, v53
	s_waitcnt lgkmcnt(0)
	v_fmac_f32_e32 v40, v58, v59
	v_add_co_u32 v58, vcc_lo, v54, s30
	v_add_co_ci_u32_e64 v59, null, s31, v55, vcc_lo
	ds_bpermute_b32 v54, v17, v42
	s_waitcnt vmcnt(11)
	v_cvt_f32_f16_e32 v55, v70
	global_load_ushort v68, v[58:59], off
	s_waitcnt lgkmcnt(0)
	v_sub_f32_e32 v55, v55, v54
	s_waitcnt vmcnt(11)
	v_cvt_f32_f16_e32 v54, v71
	v_mul_f32_e32 v55, v55, v54
	v_add_f32_e32 v43, v43, v54
	v_fmac_f32_e32 v40, v55, v60
	ds_bpermute_b32 v55, v18, v42
	v_add_co_u32 v60, vcc_lo, v56, s30
	s_waitcnt vmcnt(10)
	v_cvt_f32_f16_e32 v56, v72
	v_add_co_ci_u32_e64 v61, null, s31, v57, vcc_lo
	ds_bpermute_b32 v57, v19, v42
	s_waitcnt lgkmcnt(1)
	v_sub_f32_e32 v55, v56, v55
	ds_bpermute_b32 v56, v18, v41
	s_waitcnt vmcnt(9)
	v_cvt_f32_f16_e32 v67, v73
	v_mul_f32_e32 v55, v55, v67
	v_add_f32_e32 v43, v43, v67
	s_waitcnt vmcnt(7)
	v_cvt_f32_f16_e32 v69, v75
	v_add_f32_e32 v43, v43, v69
	s_waitcnt lgkmcnt(0)
	v_fmac_f32_e32 v40, v55, v56
	v_add_co_u32 v55, vcc_lo, v58, s30
	v_cvt_f32_f16_e32 v58, v74
	v_add_co_ci_u32_e64 v56, null, s31, v59, vcc_lo
	ds_bpermute_b32 v59, v20, v42
	v_sub_f32_e32 v57, v58, v57
	ds_bpermute_b32 v58, v19, v41
	global_load_ushort v70, v[55:56], off
	v_mul_f32_e32 v57, v57, v69
	s_waitcnt lgkmcnt(0)
	v_fmac_f32_e32 v40, v57, v58
	v_add_co_u32 v57, vcc_lo, v60, s30
	v_add_co_ci_u32_e64 v58, null, s31, v61, vcc_lo
	global_load_ushort v61, v[60:61], off
	s_waitcnt vmcnt(8)
	v_cvt_f32_f16_e32 v60, v76
	v_sub_f32_e32 v59, v60, v59
	ds_bpermute_b32 v60, v20, v41
	s_waitcnt vmcnt(6)
	v_cvt_f32_f16_e32 v64, v64
	v_mul_f32_e32 v59, v59, v64
	v_add_f32_e32 v43, v43, v64
	s_waitcnt lgkmcnt(0)
	v_fmac_f32_e32 v40, v59, v60
	v_add_co_u32 v59, vcc_lo, v55, s30
	ds_bpermute_b32 v55, v21, v42
	v_add_co_ci_u32_e64 v60, null, s31, v56, vcc_lo
	v_cvt_f32_f16_e32 v56, v65
	s_waitcnt vmcnt(5)
	v_cvt_f32_f16_e32 v65, v66
	global_load_ushort v66, v[57:58], off
	v_add_f32_e32 v43, v43, v65
	s_waitcnt lgkmcnt(0)
	v_sub_f32_e32 v55, v56, v55
	ds_bpermute_b32 v56, v21, v41
	v_mul_f32_e32 v55, v55, v65
	s_waitcnt lgkmcnt(0)
	v_fmac_f32_e32 v40, v55, v56
	v_add_co_u32 v55, vcc_lo, v57, s30
	ds_bpermute_b32 v57, v22, v42
	v_add_co_ci_u32_e64 v56, null, s31, v58, vcc_lo
	s_waitcnt vmcnt(5)
	v_cvt_f32_f16_e32 v58, v62
	s_waitcnt lgkmcnt(0)
	v_sub_f32_e32 v57, v58, v57
	ds_bpermute_b32 v58, v22, v41
	s_waitcnt vmcnt(4)
	v_cvt_f32_f16_e32 v62, v63
	global_load_ushort v63, v[59:60], off
	v_mul_f32_e32 v57, v57, v62
	v_add_f32_e32 v43, v43, v62
	s_waitcnt lgkmcnt(0)
	v_fmac_f32_e32 v40, v57, v58
	v_add_co_u32 v57, vcc_lo, v59, s30
	v_add_co_ci_u32_e64 v58, null, s31, v60, vcc_lo
	ds_bpermute_b32 v59, v23, v42
	s_waitcnt vmcnt(4)
	v_cvt_f32_f16_e32 v60, v68
	global_load_ushort v68, v[55:56], off
	s_waitcnt lgkmcnt(0)
	v_sub_f32_e32 v59, v60, v59
	ds_bpermute_b32 v60, v23, v41
	s_waitcnt vmcnt(3)
	v_cvt_f32_f16_e32 v61, v61
	v_mul_f32_e32 v59, v59, v61
	v_add_f32_e32 v43, v43, v61
	s_waitcnt lgkmcnt(0)
	v_fmac_f32_e32 v40, v59, v60
	v_add_co_u32 v59, vcc_lo, v55, s30
	ds_bpermute_b32 v55, v24, v42
	v_add_co_ci_u32_e64 v60, null, s31, v56, vcc_lo
	v_cvt_f32_f16_e32 v56, v70
	global_load_ushort v70, v[57:58], off
	s_waitcnt lgkmcnt(0)
	v_sub_f32_e32 v55, v56, v55
	ds_bpermute_b32 v56, v24, v41
	s_waitcnt vmcnt(3)
	v_cvt_f32_f16_e32 v66, v66
	v_mul_f32_e32 v55, v55, v66
	v_add_f32_e32 v43, v43, v66
	s_waitcnt lgkmcnt(0)
	v_fmac_f32_e32 v40, v55, v56
	v_add_co_u32 v55, vcc_lo, v57, s30
	ds_bpermute_b32 v57, v25, v42
	v_add_co_ci_u32_e64 v56, null, s31, v58, vcc_lo
	s_waitcnt vmcnt(2)
	v_cvt_f32_f16_e32 v58, v63
	s_waitcnt lgkmcnt(0)
	v_sub_f32_e32 v57, v58, v57
	ds_bpermute_b32 v58, v25, v41
	s_waitcnt vmcnt(1)
	v_cvt_f32_f16_e32 v63, v68
	v_mul_f32_e32 v57, v57, v63
	v_add_f32_e32 v43, v43, v63
	s_waitcnt lgkmcnt(0)
	v_fmac_f32_e32 v40, v57, v58
	v_add_co_u32 v57, vcc_lo, v59, s30
	global_load_ushort v59, v[59:60], off
	v_add_co_ci_u32_e64 v58, null, s31, v60, vcc_lo
	ds_bpermute_b32 v60, v26, v42
	s_waitcnt vmcnt(1)
	v_cvt_f32_f16_e32 v68, v70
	s_waitcnt lgkmcnt(0)
	v_sub_f32_e32 v60, v68, v60
	ds_bpermute_b32 v68, v26, v41
	s_waitcnt vmcnt(0)
	v_cvt_f32_f16_e32 v70, v59
	v_mul_f32_e32 v59, v60, v70
	v_add_f32_e32 v43, v43, v70
	s_waitcnt lgkmcnt(0)
	v_fmac_f32_e32 v40, v59, v68
	global_load_ushort v68, v[55:56], off
	v_add_co_u32 v59, vcc_lo, v55, s30
	v_add_co_ci_u32_e64 v60, null, s31, v56, vcc_lo
	v_add_co_u32 v55, vcc_lo, v57, s30
	global_load_ushort v57, v[57:58], off
	v_add_co_ci_u32_e64 v56, null, s31, v58, vcc_lo
	global_load_ushort v71, v[59:60], off
	s_waitcnt vmcnt(2)
	v_cvt_f32_f16_e32 v58, v68
	ds_bpermute_b32 v68, v27, v42
	s_waitcnt lgkmcnt(0)
	v_sub_f32_e32 v58, v58, v68
	s_waitcnt vmcnt(1)
	v_cvt_f32_f16_e32 v68, v57
	v_mul_f32_e32 v57, v58, v68
	ds_bpermute_b32 v58, v27, v41
	v_add_f32_e32 v43, v43, v68
	s_waitcnt lgkmcnt(0)
	v_fmac_f32_e32 v40, v57, v58
	v_add_co_u32 v57, vcc_lo, v59, s30
	v_add_co_ci_u32_e64 v58, null, s31, v60, vcc_lo
	v_add_co_u32 v59, vcc_lo, v55, s30
	global_load_ushort v55, v[55:56], off
	v_add_co_ci_u32_e64 v60, null, s31, v56, vcc_lo
	s_waitcnt vmcnt(1)
	v_cvt_f32_f16_e32 v56, v71
	ds_bpermute_b32 v71, v28, v42
	global_load_ushort v72, v[57:58], off
	s_waitcnt lgkmcnt(0)
	v_sub_f32_e32 v56, v56, v71
	s_waitcnt vmcnt(1)
	v_cvt_f32_f16_e32 v71, v55
	v_mul_f32_e32 v55, v56, v71
	ds_bpermute_b32 v56, v28, v41
	v_add_f32_e32 v43, v43, v71
	s_waitcnt lgkmcnt(0)
	v_fmac_f32_e32 v40, v55, v56
	v_add_co_u32 v55, vcc_lo, v57, s30
	v_add_co_ci_u32_e64 v56, null, s31, v58, vcc_lo
	v_add_co_u32 v57, vcc_lo, v59, s30
	global_load_ushort v59, v[59:60], off
	v_add_co_ci_u32_e64 v58, null, s31, v60, vcc_lo
	s_waitcnt vmcnt(1)
	v_cvt_f32_f16_e32 v60, v72
	ds_bpermute_b32 v72, v29, v42
	global_load_ushort v73, v[55:56], off
	;; [unrolled: 18-line block ×3, first 2 shown]
	global_load_ushort v75, v[55:56], off
	s_waitcnt lgkmcnt(0)
	v_sub_f32_e32 v58, v58, v73
	s_waitcnt vmcnt(2)
	v_cvt_f32_f16_e32 v73, v57
	v_mul_f32_e32 v57, v58, v73
	ds_bpermute_b32 v58, v30, v41
	s_waitcnt vmcnt(1)
	v_cvt_f32_f16_e32 v46, v74
	v_add_f32_e32 v43, v43, v73
	v_sub_f32_e32 v44, v46, v44
	s_waitcnt vmcnt(0)
	v_cvt_f32_f16_e32 v46, v75
	v_mul_f32_e32 v44, v44, v46
	v_add_f32_e32 v43, v43, v46
	ds_bpermute_b32 v46, v35, v41
	s_waitcnt lgkmcnt(1)
	v_fmac_f32_e32 v40, v57, v58
	v_add_co_u32 v57, vcc_lo, v59, s30
	v_add_co_ci_u32_e64 v58, null, s31, v60, vcc_lo
	v_add_co_u32 v59, vcc_lo, v55, s30
	v_add_co_ci_u32_e64 v60, null, s31, v56, vcc_lo
	global_load_ushort v76, v[57:58], off
	v_add_co_u32 v55, vcc_lo, v57, s30
	v_add_co_ci_u32_e64 v56, null, s31, v58, vcc_lo
	global_load_ushort v77, v[59:60], off
	v_add_co_u32 v57, vcc_lo, v59, s30
	v_add_co_ci_u32_e64 v58, null, s31, v60, vcc_lo
	global_load_ushort v78, v[55:56], off
	v_add_co_u32 v59, vcc_lo, v55, s30
	global_load_ushort v79, v[57:58], off
	v_add_co_ci_u32_e64 v60, null, s31, v56, vcc_lo
	v_add_co_u32 v55, vcc_lo, v57, s30
	v_add_co_ci_u32_e64 v56, null, s31, v58, vcc_lo
	global_load_ushort v81, v[59:60], off
	v_add_co_u32 v57, vcc_lo, v55, s30
	v_add_co_ci_u32_e64 v58, null, s31, v56, vcc_lo
	global_load_ushort v80, v[55:56], off
	v_add_co_u32 v55, vcc_lo, v59, s30
	v_add_co_ci_u32_e64 v56, null, s31, v60, vcc_lo
	v_add_co_u32 v59, vcc_lo, v57, s30
	v_add_co_ci_u32_e64 v60, null, s31, v58, vcc_lo
	global_load_ushort v82, v[57:58], off
	v_add_co_u32 v57, vcc_lo, v55, s30
	v_add_co_ci_u32_e64 v58, null, s31, v56, vcc_lo
	global_load_ushort v83, v[55:56], off
	;; [unrolled: 3-line block ×6, first 2 shown]
	global_load_ushort v55, v[55:56], off
	global_load_ushort v56, v[57:58], off
	v_fmac_f32_e32 v40, v44, v47
	ds_bpermute_b32 v60, v37, v41
	v_add_co_u32 v2, vcc_lo, v2, s4
	v_add_co_ci_u32_e64 v39, null, s5, v39, vcc_lo
	v_add_co_u32 v6, vcc_lo, v6, s28
	v_add_co_ci_u32_e64 v7, null, s29, v7, vcc_lo
	;; [unrolled: 2-line block ×3, first 2 shown]
	s_and_b32 vcc_lo, exec_lo, s0
	s_waitcnt vmcnt(13)
	v_cvt_f32_f16_e32 v50, v76
	v_sub_f32_e32 v45, v50, v45
	ds_bpermute_b32 v50, v33, v41
	s_waitcnt vmcnt(12)
	v_cvt_f32_f16_e32 v51, v77
	s_waitcnt vmcnt(11)
	v_cvt_f32_f16_e32 v52, v78
	v_mul_f32_e32 v44, v45, v51
	ds_bpermute_b32 v45, v34, v42
	v_add_f32_e32 v43, v43, v51
	v_sub_f32_e32 v47, v52, v48
	s_waitcnt vmcnt(10)
	v_cvt_f32_f16_e32 v48, v79
	v_fmac_f32_e32 v40, v44, v49
	ds_bpermute_b32 v51, v36, v41
	s_waitcnt vmcnt(9)
	v_cvt_f32_f16_e32 v49, v81
	v_mul_f32_e32 v44, v47, v48
	ds_bpermute_b32 v47, v35, v42
	v_add_f32_e32 v43, v43, v48
	s_waitcnt vmcnt(8)
	v_cvt_f32_f16_e32 v52, v80
	s_waitcnt lgkmcnt(3)
	v_fmac_f32_e32 v40, v44, v50
	ds_bpermute_b32 v44, v34, v41
	ds_bpermute_b32 v50, v36, v42
	;; [unrolled: 1-line block ×3, first 2 shown]
	v_add_f32_e32 v43, v43, v52
	s_waitcnt lgkmcnt(5)
	v_sub_f32_e32 v45, v49, v45
	ds_bpermute_b32 v49, v37, v42
	ds_bpermute_b32 v42, v38, v42
	s_waitcnt vmcnt(7)
	v_cvt_f32_f16_e32 v53, v82
	v_mul_f32_e32 v45, v45, v52
	s_waitcnt vmcnt(6)
	v_cvt_f32_f16_e32 v54, v83
	v_add_f32_e32 v43, v43, v53
	s_waitcnt lgkmcnt(5)
	v_sub_f32_e32 v47, v54, v47
	s_waitcnt vmcnt(5)
	v_cvt_f32_f16_e32 v57, v84
	s_waitcnt lgkmcnt(4)
	v_fmac_f32_e32 v40, v45, v44
	s_waitcnt vmcnt(4)
	v_cvt_f32_f16_e32 v58, v85
	v_mul_f32_e32 v44, v47, v53
	v_add_f32_e32 v43, v43, v57
	s_waitcnt lgkmcnt(3)
	v_sub_f32_e32 v45, v58, v50
	s_waitcnt vmcnt(3)
	v_cvt_f32_f16_e32 v54, v86
	v_fmac_f32_e32 v40, v44, v46
	s_waitcnt vmcnt(2)
	v_cvt_f32_f16_e32 v47, v59
	v_mul_f32_e32 v44, v45, v57
	s_waitcnt vmcnt(1)
	v_cvt_f32_f16_e32 v46, v55
	v_add_f32_e32 v43, v43, v54
	s_waitcnt lgkmcnt(1)
	v_sub_f32_e32 v45, v47, v49
	s_waitcnt vmcnt(0)
	v_cvt_f32_f16_e32 v47, v56
	v_fmac_f32_e32 v40, v44, v51
	s_waitcnt lgkmcnt(0)
	v_sub_f32_e32 v42, v46, v42
	v_mul_f32_e32 v44, v45, v54
	v_add_f32_e32 v43, v43, v47
	v_mul_f32_e32 v42, v42, v47
	v_fmac_f32_e32 v40, v44, v60
	v_fmac_f32_e32 v40, v42, v41
	s_cbranch_vccz .LBB73_8
.LBB73_6:                               ; =>This Inner Loop Header: Depth=1
	v_mov_b32_e32 v41, 0
	v_mov_b32_e32 v42, 0
	s_mov_b32 s0, exec_lo
	v_cmpx_gt_i64_e64 s[16:17], v[4:5]
	s_cbranch_execz .LBB73_5
; %bb.7:                                ;   in Loop: Header=BB73_6 Depth=1
	v_add_co_u32 v41, vcc_lo, s12, v6
	v_add_co_ci_u32_e64 v42, null, s13, v7, vcc_lo
	v_add_co_u32 v44, vcc_lo, s14, v6
	v_add_co_ci_u32_e64 v45, null, s15, v7, vcc_lo
	global_load_dword v42, v[41:42], off
	global_load_dword v41, v[44:45], off
	s_branch .LBB73_5
.LBB73_8:
	v_cvt_f16_f32_e32 v5, v40
	v_cvt_f16_f32_e32 v4, v43
.LBB73_9:
	s_load_dword s0, s[24:25], 0xc
	v_mov_b32_e32 v2, 0
	s_waitcnt lgkmcnt(0)
	s_lshr_b32 s0, s0, 16
	v_mad_u64_u32 v[1:2], null, s0, s7, v[1:2]
	s_mov_b32 s7, 0
	s_lshl_b64 s[0:1], s[6:7], 6
	s_cmp_eq_u64 s[20:21], 0
	v_or_b32_e32 v7, s0, v0
	v_mov_b32_e32 v8, s1
	v_mul_lo_u32 v0, v2, s18
	v_mul_lo_u32 v6, v1, s19
	v_lshlrev_b64 v[2:3], 1, v[7:8]
	s_cbranch_scc1 .LBB73_11
; %bb.10:
	v_mad_u64_u32 v[7:8], null, v1, s18, 0
	v_add3_u32 v8, v8, v6, v0
	v_lshlrev_b64 v[7:8], 1, v[7:8]
	v_add_co_u32 v7, vcc_lo, s20, v7
	v_add_co_ci_u32_e64 v8, null, s21, v8, vcc_lo
	v_add_co_u32 v7, vcc_lo, v7, v2
	v_add_co_ci_u32_e64 v8, null, v8, v3, vcc_lo
	global_store_short v[7:8], v5, off
.LBB73_11:
	s_cmp_eq_u64 s[22:23], 0
	s_cbranch_scc1 .LBB73_13
; %bb.12:
	v_mad_u64_u32 v[7:8], null, v1, s18, 0
	v_add3_u32 v8, v8, v6, v0
	v_lshlrev_b64 v[0:1], 1, v[7:8]
	v_add_co_u32 v0, vcc_lo, s22, v0
	v_add_co_ci_u32_e64 v1, null, s23, v1, vcc_lo
	v_add_co_u32 v0, vcc_lo, v0, v2
	v_add_co_ci_u32_e64 v1, null, v1, v3, vcc_lo
	global_store_short v[0:1], v4, off
.LBB73_13:
	s_endpgm
	.section	.rodata,"a",@progbits
	.p2align	6, 0x0
	.amdhsa_kernel _ZN2at6native12_GLOBAL__N_135GammaBetaBackwardCUDAKernelTemplateIN3c104HalfEfLj64ELj1ELj32ELb1ELb1ELb0EEEvllPKT_S7_PKT0_SA_PS5_SB_
		.amdhsa_group_segment_fixed_size 0
		.amdhsa_private_segment_fixed_size 0
		.amdhsa_kernarg_size 320
		.amdhsa_user_sgpr_count 6
		.amdhsa_user_sgpr_private_segment_buffer 1
		.amdhsa_user_sgpr_dispatch_ptr 0
		.amdhsa_user_sgpr_queue_ptr 0
		.amdhsa_user_sgpr_kernarg_segment_ptr 1
		.amdhsa_user_sgpr_dispatch_id 0
		.amdhsa_user_sgpr_flat_scratch_init 0
		.amdhsa_user_sgpr_private_segment_size 0
		.amdhsa_wavefront_size32 1
		.amdhsa_uses_dynamic_stack 0
		.amdhsa_system_sgpr_private_segment_wavefront_offset 0
		.amdhsa_system_sgpr_workgroup_id_x 1
		.amdhsa_system_sgpr_workgroup_id_y 1
		.amdhsa_system_sgpr_workgroup_id_z 0
		.amdhsa_system_sgpr_workgroup_info 0
		.amdhsa_system_vgpr_workitem_id 1
		.amdhsa_next_free_vgpr 87
		.amdhsa_next_free_sgpr 32
		.amdhsa_reserve_vcc 1
		.amdhsa_reserve_flat_scratch 0
		.amdhsa_float_round_mode_32 0
		.amdhsa_float_round_mode_16_64 0
		.amdhsa_float_denorm_mode_32 3
		.amdhsa_float_denorm_mode_16_64 3
		.amdhsa_dx10_clamp 1
		.amdhsa_ieee_mode 1
		.amdhsa_fp16_overflow 0
		.amdhsa_workgroup_processor_mode 1
		.amdhsa_memory_ordered 1
		.amdhsa_forward_progress 1
		.amdhsa_shared_vgpr_count 0
		.amdhsa_exception_fp_ieee_invalid_op 0
		.amdhsa_exception_fp_denorm_src 0
		.amdhsa_exception_fp_ieee_div_zero 0
		.amdhsa_exception_fp_ieee_overflow 0
		.amdhsa_exception_fp_ieee_underflow 0
		.amdhsa_exception_fp_ieee_inexact 0
		.amdhsa_exception_int_div_zero 0
	.end_amdhsa_kernel
	.section	.text._ZN2at6native12_GLOBAL__N_135GammaBetaBackwardCUDAKernelTemplateIN3c104HalfEfLj64ELj1ELj32ELb1ELb1ELb0EEEvllPKT_S7_PKT0_SA_PS5_SB_,"axG",@progbits,_ZN2at6native12_GLOBAL__N_135GammaBetaBackwardCUDAKernelTemplateIN3c104HalfEfLj64ELj1ELj32ELb1ELb1ELb0EEEvllPKT_S7_PKT0_SA_PS5_SB_,comdat
.Lfunc_end73:
	.size	_ZN2at6native12_GLOBAL__N_135GammaBetaBackwardCUDAKernelTemplateIN3c104HalfEfLj64ELj1ELj32ELb1ELb1ELb0EEEvllPKT_S7_PKT0_SA_PS5_SB_, .Lfunc_end73-_ZN2at6native12_GLOBAL__N_135GammaBetaBackwardCUDAKernelTemplateIN3c104HalfEfLj64ELj1ELj32ELb1ELb1ELb0EEEvllPKT_S7_PKT0_SA_PS5_SB_
                                        ; -- End function
	.set _ZN2at6native12_GLOBAL__N_135GammaBetaBackwardCUDAKernelTemplateIN3c104HalfEfLj64ELj1ELj32ELb1ELb1ELb0EEEvllPKT_S7_PKT0_SA_PS5_SB_.num_vgpr, 87
	.set _ZN2at6native12_GLOBAL__N_135GammaBetaBackwardCUDAKernelTemplateIN3c104HalfEfLj64ELj1ELj32ELb1ELb1ELb0EEEvllPKT_S7_PKT0_SA_PS5_SB_.num_agpr, 0
	.set _ZN2at6native12_GLOBAL__N_135GammaBetaBackwardCUDAKernelTemplateIN3c104HalfEfLj64ELj1ELj32ELb1ELb1ELb0EEEvllPKT_S7_PKT0_SA_PS5_SB_.numbered_sgpr, 32
	.set _ZN2at6native12_GLOBAL__N_135GammaBetaBackwardCUDAKernelTemplateIN3c104HalfEfLj64ELj1ELj32ELb1ELb1ELb0EEEvllPKT_S7_PKT0_SA_PS5_SB_.num_named_barrier, 0
	.set _ZN2at6native12_GLOBAL__N_135GammaBetaBackwardCUDAKernelTemplateIN3c104HalfEfLj64ELj1ELj32ELb1ELb1ELb0EEEvllPKT_S7_PKT0_SA_PS5_SB_.private_seg_size, 0
	.set _ZN2at6native12_GLOBAL__N_135GammaBetaBackwardCUDAKernelTemplateIN3c104HalfEfLj64ELj1ELj32ELb1ELb1ELb0EEEvllPKT_S7_PKT0_SA_PS5_SB_.uses_vcc, 1
	.set _ZN2at6native12_GLOBAL__N_135GammaBetaBackwardCUDAKernelTemplateIN3c104HalfEfLj64ELj1ELj32ELb1ELb1ELb0EEEvllPKT_S7_PKT0_SA_PS5_SB_.uses_flat_scratch, 0
	.set _ZN2at6native12_GLOBAL__N_135GammaBetaBackwardCUDAKernelTemplateIN3c104HalfEfLj64ELj1ELj32ELb1ELb1ELb0EEEvllPKT_S7_PKT0_SA_PS5_SB_.has_dyn_sized_stack, 0
	.set _ZN2at6native12_GLOBAL__N_135GammaBetaBackwardCUDAKernelTemplateIN3c104HalfEfLj64ELj1ELj32ELb1ELb1ELb0EEEvllPKT_S7_PKT0_SA_PS5_SB_.has_recursion, 0
	.set _ZN2at6native12_GLOBAL__N_135GammaBetaBackwardCUDAKernelTemplateIN3c104HalfEfLj64ELj1ELj32ELb1ELb1ELb0EEEvllPKT_S7_PKT0_SA_PS5_SB_.has_indirect_call, 0
	.section	.AMDGPU.csdata,"",@progbits
; Kernel info:
; codeLenInByte = 4116
; TotalNumSgprs: 34
; NumVgprs: 87
; ScratchSize: 0
; MemoryBound: 0
; FloatMode: 240
; IeeeMode: 1
; LDSByteSize: 0 bytes/workgroup (compile time only)
; SGPRBlocks: 0
; VGPRBlocks: 10
; NumSGPRsForWavesPerEU: 34
; NumVGPRsForWavesPerEU: 87
; Occupancy: 10
; WaveLimiterHint : 0
; COMPUTE_PGM_RSRC2:SCRATCH_EN: 0
; COMPUTE_PGM_RSRC2:USER_SGPR: 6
; COMPUTE_PGM_RSRC2:TRAP_HANDLER: 0
; COMPUTE_PGM_RSRC2:TGID_X_EN: 1
; COMPUTE_PGM_RSRC2:TGID_Y_EN: 1
; COMPUTE_PGM_RSRC2:TGID_Z_EN: 0
; COMPUTE_PGM_RSRC2:TIDIG_COMP_CNT: 1
	.section	.text._ZN2at6native12_GLOBAL__N_135GammaBetaBackwardCUDAKernelTemplateIN3c104HalfEfLj64ELj1ELj32ELb1ELb0ELb0EEEvllPKT_S7_PKT0_SA_PS5_SB_,"axG",@progbits,_ZN2at6native12_GLOBAL__N_135GammaBetaBackwardCUDAKernelTemplateIN3c104HalfEfLj64ELj1ELj32ELb1ELb0ELb0EEEvllPKT_S7_PKT0_SA_PS5_SB_,comdat
	.globl	_ZN2at6native12_GLOBAL__N_135GammaBetaBackwardCUDAKernelTemplateIN3c104HalfEfLj64ELj1ELj32ELb1ELb0ELb0EEEvllPKT_S7_PKT0_SA_PS5_SB_ ; -- Begin function _ZN2at6native12_GLOBAL__N_135GammaBetaBackwardCUDAKernelTemplateIN3c104HalfEfLj64ELj1ELj32ELb1ELb0ELb0EEEvllPKT_S7_PKT0_SA_PS5_SB_
	.p2align	8
	.type	_ZN2at6native12_GLOBAL__N_135GammaBetaBackwardCUDAKernelTemplateIN3c104HalfEfLj64ELj1ELj32ELb1ELb0ELb0EEEvllPKT_S7_PKT0_SA_PS5_SB_,@function
_ZN2at6native12_GLOBAL__N_135GammaBetaBackwardCUDAKernelTemplateIN3c104HalfEfLj64ELj1ELj32ELb1ELb0ELb0EEEvllPKT_S7_PKT0_SA_PS5_SB_: ; @_ZN2at6native12_GLOBAL__N_135GammaBetaBackwardCUDAKernelTemplateIN3c104HalfEfLj64ELj1ELj32ELb1ELb0ELb0EEEvllPKT_S7_PKT0_SA_PS5_SB_
; %bb.0:
	s_mov_b64 s[38:39], s[2:3]
	s_mov_b64 s[36:37], s[0:1]
	s_mov_b32 s0, s7
	s_add_u32 s36, s36, s8
	s_clause 0x1
	s_load_dwordx8 s[8:15], s[4:5], 0x0
	s_load_dwordx4 s[16:19], s[4:5], 0x20
	s_addc_u32 s37, s37, 0
	s_lshl_b32 s7, s6, 6
	s_mov_b32 s21, 0
	s_or_b32 s20, s7, 63
	v_mov_b32_e32 v227, v0
	s_waitcnt lgkmcnt(0)
	v_cmp_le_i64_e64 s1, s[10:11], s[20:21]
	s_lshl_b32 s20, s0, 5
	v_cmp_gt_i64_e64 s28, s[8:9], s[20:21]
	s_and_b32 vcc_lo, exec_lo, s1
	v_cndmask_b32_e64 v0, 0, 1, s28
	v_cmp_ne_u32_e64 s1, 1, v0
	s_cbranch_vccz .LBB74_141
; %bb.1:
	v_mov_b32_e32 v203, 0
	v_mov_b32_e32 v201, 0
	s_and_b32 vcc_lo, exec_lo, s1
	s_cbranch_vccnz .LBB74_142
; %bb.2:
	v_lshlrev_b32_e32 v39, 5, v1
	v_mov_b32_e32 v2, 0
	v_add_nc_u32_e32 v9, s7, v227
	s_load_dword s2, s[4:5], 0x44
	s_add_u32 s22, s4, 64
	v_add_co_u32 v5, s1, v39, s20
	v_add_co_ci_u32_e64 v6, null, 0, 0, s1
	v_mov_b32_e32 v10, v2
	v_mul_lo_u32 v7, s11, v5
	v_mad_u64_u32 v[3:4], null, s10, v5, 0
	v_mul_lo_u32 v8, s10, v6
	v_cmp_gt_i64_e64 s1, s[10:11], v[9:10]
	v_lshlrev_b64 v[35:36], 1, v[9:10]
	s_addc_u32 s23, s5, 0
	v_mov_b32_e32 v40, v2
	v_mov_b32_e32 v201, 0
	;; [unrolled: 1-line block ×3, first 2 shown]
	s_mov_b64 s[26:27], s[20:21]
	v_add3_u32 v4, v4, v8, v7
	v_add_co_u32 v7, vcc_lo, v5, 31
	v_add_co_ci_u32_e64 v8, null, 0, v6, vcc_lo
	v_add_co_u32 v9, vcc_lo, v5, 30
	v_add_co_ci_u32_e64 v10, null, 0, v6, vcc_lo
	v_lshlrev_b64 v[15:16], 1, v[3:4]
	v_mul_lo_u32 v11, s11, v7
	v_mul_lo_u32 v12, s10, v8
	v_mad_u64_u32 v[7:8], null, s10, v7, 0
	v_mul_lo_u32 v13, s11, v9
	v_mul_lo_u32 v14, s10, v10
	v_mad_u64_u32 v[9:10], null, s10, v9, 0
	v_add_co_u32 v41, vcc_lo, s12, v15
	v_add_co_ci_u32_e64 v42, null, s13, v16, vcc_lo
	v_add_co_u32 v43, vcc_lo, s14, v15
	v_add3_u32 v8, v8, v12, v11
	v_add_co_ci_u32_e64 v44, null, s15, v16, vcc_lo
	v_add_co_u32 v11, vcc_lo, v5, 29
	v_add3_u32 v10, v10, v14, v13
	v_add_co_ci_u32_e64 v12, null, 0, v6, vcc_lo
	v_lshlrev_b64 v[15:16], 1, v[7:8]
	v_mul_lo_u32 v13, s11, v11
	v_lshlrev_b64 v[7:8], 1, v[9:10]
	v_mul_lo_u32 v12, s10, v12
	v_mad_u64_u32 v[9:10], null, s10, v11, 0
	v_add_co_u32 v45, vcc_lo, s12, v15
	v_add_co_ci_u32_e64 v46, null, s13, v16, vcc_lo
	v_add_co_u32 v47, vcc_lo, s14, v15
	v_add3_u32 v10, v10, v12, v13
	s_waitcnt lgkmcnt(0)
	s_lshl_b32 s29, s2, 5
	v_add_co_ci_u32_e64 v48, null, s15, v16, vcc_lo
	v_add_co_u32 v49, vcc_lo, s12, v7
	s_mul_i32 s2, s11, s29
	s_mul_hi_u32 s3, s10, s29
	v_add_co_ci_u32_e64 v50, null, s13, v8, vcc_lo
	v_add_co_u32 v11, vcc_lo, v5, 28
	s_add_i32 s25, s3, s2
	v_add_co_u32 v51, s2, s14, v7
	v_lshlrev_b64 v[15:16], 1, v[9:10]
	v_add_co_ci_u32_e64 v7, null, 0, v6, vcc_lo
	v_add_co_u32 v9, vcc_lo, v5, 27
	v_add_co_ci_u32_e64 v10, null, 0, v6, vcc_lo
	v_add_co_ci_u32_e64 v52, null, s15, v8, s2
	v_mul_lo_u32 v12, s11, v11
	v_mul_lo_u32 v13, s10, v7
	v_mad_u64_u32 v[7:8], null, s10, v11, 0
	v_mul_lo_u32 v11, s11, v9
	v_mul_lo_u32 v14, s10, v10
	v_mad_u64_u32 v[9:10], null, s10, v9, 0
	v_add_co_u32 v53, vcc_lo, s12, v15
	v_add_co_ci_u32_e64 v54, null, s13, v16, vcc_lo
	v_add_co_u32 v55, vcc_lo, s14, v15
	v_add_co_ci_u32_e64 v56, null, s15, v16, vcc_lo
	v_add3_u32 v10, v10, v14, v11
	v_add_co_u32 v11, vcc_lo, v5, 26
	v_add3_u32 v8, v8, v13, v12
	v_add_co_ci_u32_e64 v12, null, 0, v6, vcc_lo
	v_mul_lo_u32 v13, s11, v11
	s_mul_i32 s24, s10, s29
	v_lshlrev_b64 v[15:16], 1, v[7:8]
	v_lshlrev_b64 v[7:8], 1, v[9:10]
	v_mul_lo_u32 v12, s10, v12
	v_mad_u64_u32 v[9:10], null, s10, v11, 0
	v_add_co_u32 v57, vcc_lo, s12, v15
	v_add_co_ci_u32_e64 v58, null, s13, v16, vcc_lo
	v_add_co_u32 v59, vcc_lo, s14, v15
	v_add3_u32 v10, v10, v12, v13
	v_add_co_ci_u32_e64 v60, null, s15, v16, vcc_lo
	v_add_co_u32 v61, vcc_lo, s12, v7
	v_add_co_ci_u32_e64 v62, null, s13, v8, vcc_lo
	v_add_co_u32 v11, vcc_lo, v5, 25
	v_add_co_u32 v63, s2, s14, v7
	v_lshlrev_b64 v[15:16], 1, v[9:10]
	v_add_co_ci_u32_e64 v7, null, 0, v6, vcc_lo
	v_add_co_u32 v9, vcc_lo, v5, 24
	v_add_co_ci_u32_e64 v10, null, 0, v6, vcc_lo
	v_add_co_ci_u32_e64 v64, null, s15, v8, s2
	v_mul_lo_u32 v12, s11, v11
	v_mul_lo_u32 v13, s10, v7
	v_mad_u64_u32 v[7:8], null, s10, v11, 0
	v_mul_lo_u32 v11, s11, v9
	v_mul_lo_u32 v14, s10, v10
	v_mad_u64_u32 v[9:10], null, s10, v9, 0
	v_add_co_u32 v65, vcc_lo, s12, v15
	v_add_co_ci_u32_e64 v66, null, s13, v16, vcc_lo
	v_add_co_u32 v67, vcc_lo, s14, v15
	v_add_co_ci_u32_e64 v68, null, s15, v16, vcc_lo
	v_add3_u32 v10, v10, v14, v11
	v_add_co_u32 v11, vcc_lo, v5, 23
	v_add3_u32 v8, v8, v13, v12
	v_add_co_ci_u32_e64 v12, null, 0, v6, vcc_lo
	v_mul_lo_u32 v13, s11, v11
	v_lshlrev_b64 v[15:16], 1, v[7:8]
	v_lshlrev_b64 v[7:8], 1, v[9:10]
	v_mul_lo_u32 v12, s10, v12
	v_mad_u64_u32 v[9:10], null, s10, v11, 0
	v_add_co_u32 v69, vcc_lo, s12, v15
	v_add_co_ci_u32_e64 v70, null, s13, v16, vcc_lo
	v_add_co_u32 v71, vcc_lo, s14, v15
	v_add3_u32 v10, v10, v12, v13
	v_add_co_ci_u32_e64 v72, null, s15, v16, vcc_lo
	v_add_co_u32 v73, vcc_lo, s12, v7
	v_add_co_ci_u32_e64 v74, null, s13, v8, vcc_lo
	v_add_co_u32 v11, vcc_lo, v5, 22
	v_add_co_u32 v0, s2, s14, v7
	v_add_co_ci_u32_e64 v226, null, s15, v8, s2
	v_lshlrev_b64 v[7:8], 1, v[9:10]
	v_add_co_ci_u32_e64 v9, null, 0, v6, vcc_lo
	v_add_co_u32 v12, vcc_lo, v5, 21
	v_add_co_ci_u32_e64 v14, null, 0, v6, vcc_lo
	v_mul_lo_u32 v13, s11, v11
	v_mul_lo_u32 v15, s10, v9
	v_mad_u64_u32 v[9:10], null, s10, v11, 0
	v_mul_lo_u32 v16, s11, v12
	v_mul_lo_u32 v14, s10, v14
	v_mad_u64_u32 v[11:12], null, s10, v12, 0
	v_add_co_u32 v75, vcc_lo, s12, v7
	v_add_co_ci_u32_e64 v76, null, s13, v8, vcc_lo
	v_add_co_u32 v77, vcc_lo, s14, v7
	v_add3_u32 v10, v10, v15, v13
	v_add_co_ci_u32_e64 v78, null, s15, v8, vcc_lo
	v_add_co_u32 v13, vcc_lo, v5, 20
	v_add3_u32 v12, v12, v14, v16
	v_add_co_ci_u32_e64 v14, null, 0, v6, vcc_lo
	v_lshlrev_b64 v[7:8], 1, v[9:10]
	v_mul_lo_u32 v15, s11, v13
	v_lshlrev_b64 v[9:10], 1, v[11:12]
	v_mul_lo_u32 v14, s10, v14
	v_mad_u64_u32 v[11:12], null, s10, v13, 0
	v_add_co_u32 v79, vcc_lo, s12, v7
	v_add_co_ci_u32_e64 v80, null, s13, v8, vcc_lo
	v_add_co_u32 v81, vcc_lo, s14, v7
	v_add3_u32 v12, v12, v14, v15
	v_add_co_ci_u32_e64 v82, null, s15, v8, vcc_lo
	v_add_co_u32 v83, vcc_lo, s12, v9
	v_add_co_ci_u32_e64 v84, null, s13, v10, vcc_lo
	v_add_co_u32 v13, vcc_lo, v5, 19
	v_add_co_u32 v85, s2, s14, v9
	v_lshlrev_b64 v[7:8], 1, v[11:12]
	v_add_co_ci_u32_e64 v9, null, 0, v6, vcc_lo
	v_add_co_u32 v11, vcc_lo, v5, 18
	v_add_co_ci_u32_e64 v12, null, 0, v6, vcc_lo
	v_add_co_ci_u32_e64 v86, null, s15, v10, s2
	v_mul_lo_u32 v14, s11, v13
	v_mul_lo_u32 v15, s10, v9
	v_mad_u64_u32 v[9:10], null, s10, v13, 0
	v_mul_lo_u32 v13, s11, v11
	v_mul_lo_u32 v16, s10, v12
	v_mad_u64_u32 v[11:12], null, s10, v11, 0
	v_add_co_u32 v87, vcc_lo, s12, v7
	v_add_co_ci_u32_e64 v88, null, s13, v8, vcc_lo
	v_add_co_u32 v89, vcc_lo, s14, v7
	v_add_co_ci_u32_e64 v90, null, s15, v8, vcc_lo
	v_add3_u32 v12, v12, v16, v13
	v_add_co_u32 v13, vcc_lo, v5, 17
	v_add3_u32 v10, v10, v15, v14
	v_add_co_ci_u32_e64 v14, null, 0, v6, vcc_lo
	v_mul_lo_u32 v15, s11, v13
	v_lshlrev_b64 v[7:8], 1, v[9:10]
	v_lshlrev_b64 v[9:10], 1, v[11:12]
	v_mul_lo_u32 v14, s10, v14
	v_mad_u64_u32 v[11:12], null, s10, v13, 0
	v_add_co_u32 v91, vcc_lo, s12, v7
	v_add_co_ci_u32_e64 v92, null, s13, v8, vcc_lo
	v_add_co_u32 v93, vcc_lo, s14, v7
	v_add3_u32 v12, v12, v14, v15
	v_add_co_ci_u32_e64 v94, null, s15, v8, vcc_lo
	v_add_co_u32 v95, vcc_lo, s12, v9
	v_add_co_ci_u32_e64 v96, null, s13, v10, vcc_lo
	v_add_co_u32 v13, vcc_lo, v5, 16
	v_add_co_u32 v97, s2, s14, v9
	v_lshlrev_b64 v[7:8], 1, v[11:12]
	v_add_co_ci_u32_e64 v9, null, 0, v6, vcc_lo
	v_add_co_u32 v11, vcc_lo, v5, 15
	v_add_co_ci_u32_e64 v12, null, 0, v6, vcc_lo
	v_add_co_ci_u32_e64 v98, null, s15, v10, s2
	v_mul_lo_u32 v14, s11, v13
	v_mul_lo_u32 v15, s10, v9
	v_mad_u64_u32 v[9:10], null, s10, v13, 0
	v_mul_lo_u32 v13, s11, v11
	v_mul_lo_u32 v16, s10, v12
	v_mad_u64_u32 v[11:12], null, s10, v11, 0
	v_add_co_u32 v99, vcc_lo, s12, v7
	v_add_co_ci_u32_e64 v100, null, s13, v8, vcc_lo
	v_add_co_u32 v101, vcc_lo, s14, v7
	v_add_co_ci_u32_e64 v102, null, s15, v8, vcc_lo
	v_add3_u32 v12, v12, v16, v13
	v_add_co_u32 v13, vcc_lo, v5, 14
	v_add3_u32 v10, v10, v15, v14
	v_add_co_ci_u32_e64 v14, null, 0, v6, vcc_lo
	v_mul_lo_u32 v15, s11, v13
	v_lshlrev_b64 v[7:8], 1, v[9:10]
	;; [unrolled: 33-line block ×3, first 2 shown]
	v_lshlrev_b64 v[9:10], 1, v[11:12]
	v_mul_lo_u32 v14, s10, v14
	v_mad_u64_u32 v[11:12], null, s10, v13, 0
	v_add_co_u32 v115, vcc_lo, s12, v7
	v_add_co_ci_u32_e64 v116, null, s13, v8, vcc_lo
	v_add_co_u32 v117, vcc_lo, s14, v7
	v_add3_u32 v12, v12, v14, v15
	v_add_co_ci_u32_e64 v118, null, s15, v8, vcc_lo
	v_add_co_u32 v119, vcc_lo, s12, v9
	v_add_co_ci_u32_e64 v120, null, s13, v10, vcc_lo
	v_add_co_u32 v13, vcc_lo, v5, 10
	v_add_co_u32 v121, s2, s14, v9
	v_lshlrev_b64 v[7:8], 1, v[11:12]
	v_add_co_ci_u32_e64 v9, null, 0, v6, vcc_lo
	v_add_co_u32 v11, vcc_lo, v5, 9
	v_add_co_ci_u32_e64 v12, null, 0, v6, vcc_lo
	v_add_co_ci_u32_e64 v122, null, s15, v10, s2
	v_mul_lo_u32 v14, s11, v13
	v_mul_lo_u32 v15, s10, v9
	v_mad_u64_u32 v[9:10], null, s10, v13, 0
	v_mul_lo_u32 v13, s11, v11
	v_mul_lo_u32 v16, s10, v12
	v_mad_u64_u32 v[11:12], null, s10, v11, 0
	v_add_co_u32 v123, vcc_lo, s12, v7
	v_add_co_ci_u32_e64 v124, null, s13, v8, vcc_lo
	v_add_co_u32 v125, vcc_lo, s14, v7
	v_add3_u32 v10, v10, v15, v14
	v_add_co_ci_u32_e64 v126, null, s15, v8, vcc_lo
	v_add3_u32 v12, v12, v16, v13
	v_add_co_u32 v13, vcc_lo, v5, 8
	v_add_co_ci_u32_e64 v14, null, 0, v6, vcc_lo
	v_lshlrev_b64 v[7:8], 1, v[9:10]
	v_lshlrev_b64 v[9:10], 1, v[11:12]
	v_mul_lo_u32 v15, s11, v13
	v_mul_lo_u32 v14, s10, v14
	v_mad_u64_u32 v[11:12], null, s10, v13, 0
	v_add_co_u32 v127, vcc_lo, s12, v7
	v_add_co_ci_u32_e64 v128, null, s13, v8, vcc_lo
	v_add_co_u32 v129, vcc_lo, s14, v7
	v_add_co_ci_u32_e64 v130, null, s15, v8, vcc_lo
	v_add_co_u32 v131, vcc_lo, s12, v9
	v_add3_u32 v12, v12, v14, v15
	v_add_co_ci_u32_e64 v132, null, s13, v10, vcc_lo
	v_add_co_u32 v13, vcc_lo, v5, 7
	v_add_co_u32 v133, s2, s14, v9
	v_add_co_ci_u32_e64 v9, null, 0, v6, vcc_lo
	v_lshlrev_b64 v[7:8], 1, v[11:12]
	v_add_co_u32 v11, vcc_lo, v5, 6
	v_add_co_ci_u32_e64 v12, null, 0, v6, vcc_lo
	v_add_co_ci_u32_e64 v134, null, s15, v10, s2
	v_mul_lo_u32 v14, s11, v13
	v_mul_lo_u32 v15, s10, v9
	v_mad_u64_u32 v[9:10], null, s10, v13, 0
	v_mul_lo_u32 v13, s11, v11
	v_mul_lo_u32 v16, s10, v12
	v_mad_u64_u32 v[11:12], null, s10, v11, 0
	v_add_co_u32 v135, vcc_lo, s12, v7
	v_add3_u32 v10, v10, v15, v14
	v_add_co_ci_u32_e64 v136, null, s13, v8, vcc_lo
	v_add_co_u32 v137, vcc_lo, s14, v7
	v_add_co_ci_u32_e64 v138, null, s15, v8, vcc_lo
	v_add3_u32 v12, v12, v16, v13
	v_add_co_u32 v13, vcc_lo, v5, 5
	v_lshlrev_b64 v[7:8], 1, v[9:10]
	v_add_co_ci_u32_e64 v14, null, 0, v6, vcc_lo
	v_lshlrev_b64 v[9:10], 1, v[11:12]
	v_mul_lo_u32 v15, s11, v13
	v_mad_u64_u32 v[11:12], null, s10, v13, 0
	v_add_co_u32 v139, vcc_lo, s12, v7
	v_mul_lo_u32 v14, s10, v14
	v_add_co_ci_u32_e64 v140, null, s13, v8, vcc_lo
	v_add_co_u32 v141, vcc_lo, s14, v7
	v_add_co_ci_u32_e64 v142, null, s15, v8, vcc_lo
	v_add_co_u32 v143, vcc_lo, s12, v9
	;; [unrolled: 2-line block ×3, first 2 shown]
	v_add3_u32 v12, v12, v14, v15
	v_add_co_u32 v145, s2, s14, v9
	v_add_co_ci_u32_e64 v9, null, 0, v6, vcc_lo
	v_add_co_ci_u32_e64 v146, null, s15, v10, s2
	v_lshlrev_b64 v[7:8], 1, v[11:12]
	v_mul_lo_u32 v14, s11, v13
	v_add_co_u32 v11, vcc_lo, v5, 3
	v_mul_lo_u32 v15, s10, v9
	v_mad_u64_u32 v[9:10], null, s10, v13, 0
	v_add_co_ci_u32_e64 v12, null, 0, v6, vcc_lo
	v_mul_lo_u32 v13, s11, v11
	v_add_co_u32 v147, vcc_lo, s12, v7
	v_mul_lo_u32 v16, s10, v12
	v_mad_u64_u32 v[11:12], null, s10, v11, 0
	v_add3_u32 v10, v10, v15, v14
	v_add_co_ci_u32_e64 v148, null, s13, v8, vcc_lo
	v_add_co_u32 v149, vcc_lo, s14, v7
	v_add_co_ci_u32_e64 v150, null, s15, v8, vcc_lo
	v_lshlrev_b64 v[7:8], 1, v[9:10]
	v_add_co_u32 v9, vcc_lo, v5, 2
	v_add3_u32 v12, v12, v16, v13
	v_add_co_ci_u32_e64 v10, null, 0, v6, vcc_lo
	v_add_co_u32 v151, vcc_lo, s12, v7
	v_lshlrev_b64 v[5:6], 1, v[11:12]
	v_mul_lo_u32 v11, s11, v9
	v_mul_lo_u32 v12, s10, v10
	v_mad_u64_u32 v[9:10], null, s10, v9, 0
	v_add_co_ci_u32_e64 v152, null, s13, v8, vcc_lo
	v_add_co_u32 v153, vcc_lo, s14, v7
	v_add_co_ci_u32_e64 v154, null, s15, v8, vcc_lo
	v_add_co_u32 v155, vcc_lo, s12, v5
	v_add_co_ci_u32_e64 v156, null, s13, v6, vcc_lo
	v_add3_u32 v10, v10, v12, v11
	v_add_co_u32 v157, vcc_lo, s14, v5
	v_add_co_ci_u32_e64 v158, null, s15, v6, vcc_lo
	v_add_co_u32 v3, vcc_lo, v3, s10
	v_add_co_ci_u32_e64 v4, null, s11, v4, vcc_lo
	v_lshlrev_b64 v[5:6], 1, v[9:10]
	s_lshl_b64 s[2:3], s[24:25], 1
	s_mov_b64 s[24:25], 31
	v_lshlrev_b64 v[3:4], 1, v[3:4]
	v_add_co_u32 v159, vcc_lo, s12, v5
	v_add_co_ci_u32_e64 v160, null, s13, v6, vcc_lo
	v_add_co_u32 v161, vcc_lo, s14, v5
	v_add_co_ci_u32_e64 v162, null, s15, v6, vcc_lo
	;; [unrolled: 2-line block ×4, first 2 shown]
.LBB74_3:                               ; =>This Inner Loop Header: Depth=1
	s_add_u32 s30, s20, s24
	s_addc_u32 s31, 0, s25
	v_add_co_u32 v37, vcc_lo, s20, v39
	v_cmp_ge_i64_e64 s30, s[30:31], s[8:9]
	v_add_co_ci_u32_e64 v38, null, 0, v40, vcc_lo
                                        ; implicit-def: $vgpr3_vgpr4_vgpr5_vgpr6_vgpr7_vgpr8_vgpr9_vgpr10_vgpr11_vgpr12_vgpr13_vgpr14_vgpr15_vgpr16_vgpr17_vgpr18_vgpr19_vgpr20_vgpr21_vgpr22_vgpr23_vgpr24_vgpr25_vgpr26_vgpr27_vgpr28_vgpr29_vgpr30_vgpr31_vgpr32_vgpr33_vgpr34
                                        ; implicit-def: $vgpr169
                                        ; implicit-def: $vgpr186
                                        ; implicit-def: $vgpr3
                                        ; implicit-def: $vgpr203
                                        ; implicit-def: $vgpr4
	s_and_b32 vcc_lo, exec_lo, s30
	s_mov_b32 s30, -1
	s_cbranch_vccz .LBB74_71
; %bb.4:                                ;   in Loop: Header=BB74_3 Depth=1
	s_load_dword s30, s[22:23], 0xc
	v_mov_b32_e32 v170, 0
	v_mov_b32_e32 v169, 0
	;; [unrolled: 1-line block ×3, first 2 shown]
	s_waitcnt lgkmcnt(0)
	s_and_b32 s30, s30, 0xffff
	v_mad_u32_u24 v3, v1, s30, v227
	s_mov_b32 s30, exec_lo
	v_and_b32_e32 v3, 31, v3
	v_add_co_u32 v3, vcc_lo, v37, v3
	v_add_co_ci_u32_e64 v4, null, 0, v38, vcc_lo
	v_cmpx_gt_i64_e64 s[8:9], v[3:4]
	s_cbranch_execz .LBB74_6
; %bb.5:                                ;   in Loop: Header=BB74_3 Depth=1
	v_lshlrev_b64 v[3:4], 2, v[3:4]
	v_add_co_u32 v5, vcc_lo, s16, v3
	v_add_co_ci_u32_e64 v6, null, s17, v4, vcc_lo
	v_add_co_u32 v3, vcc_lo, s18, v3
	v_add_co_ci_u32_e64 v4, null, s19, v4, vcc_lo
	global_load_dword v168, v[5:6], off
	global_load_dword v169, v[3:4], off
.LBB74_6:                               ;   in Loop: Header=BB74_3 Depth=1
	s_or_b32 exec_lo, exec_lo, s30
	v_mov_b32_e32 v33, v2
	v_cmp_gt_i64_e32 vcc_lo, s[8:9], v[37:38]
	v_mov_b32_e32 v3, v2
	v_mov_b32_e32 v4, v2
	;; [unrolled: 1-line block ×62, first 2 shown]
	s_and_b32 s31, s1, vcc_lo
	s_and_saveexec_b32 s30, s31
	s_cbranch_execz .LBB74_8
; %bb.7:                                ;   in Loop: Header=BB74_3 Depth=1
	v_add_co_u32 v3, vcc_lo, v41, v35
	v_add_co_ci_u32_e64 v4, null, v42, v36, vcc_lo
	v_add_co_u32 v5, vcc_lo, v43, v35
	v_add_co_ci_u32_e64 v6, null, v44, v36, vcc_lo
	global_load_ushort v3, v[3:4], off
	global_load_ushort v170, v[5:6], off
	v_mov_b32_e32 v4, v2
	v_mov_b32_e32 v5, v2
	;; [unrolled: 1-line block ×31, first 2 shown]
	s_waitcnt vmcnt(1)
	v_cvt_f32_f16_e32 v3, v3
	s_waitcnt vmcnt(0)
	v_cvt_f32_f16_e32 v170, v170
.LBB74_8:                               ;   in Loop: Header=BB74_3 Depth=1
	s_or_b32 exec_lo, exec_lo, s30
	v_add_co_u32 v171, vcc_lo, v37, 1
	v_add_co_ci_u32_e64 v172, null, 0, v38, vcc_lo
	v_cmp_gt_i64_e32 vcc_lo, s[8:9], v[171:172]
	v_mov_b32_e32 v171, 0
	v_mov_b32_e32 v172, 0
	s_and_b32 s31, s1, vcc_lo
	s_and_saveexec_b32 s30, s31
	s_cbranch_execz .LBB74_10
; %bb.9:                                ;   in Loop: Header=BB74_3 Depth=1
	v_add_co_u32 v172, vcc_lo, v163, v35
	v_add_co_ci_u32_e64 v173, null, v164, v36, vcc_lo
	v_add_co_u32 v174, vcc_lo, v165, v35
	v_add_co_ci_u32_e64 v175, null, v166, v36, vcc_lo
	global_load_ushort v4, v[172:173], off
	global_load_ushort v172, v[174:175], off
	s_waitcnt vmcnt(1)
	v_cvt_f32_f16_e32 v4, v4
	s_waitcnt vmcnt(0)
	v_cvt_f32_f16_e32 v172, v172
.LBB74_10:                              ;   in Loop: Header=BB74_3 Depth=1
	s_or_b32 exec_lo, exec_lo, s30
	v_add_co_u32 v173, vcc_lo, v37, 2
	v_add_co_ci_u32_e64 v174, null, 0, v38, vcc_lo
	v_cmp_gt_i64_e32 vcc_lo, s[8:9], v[173:174]
	s_and_b32 s31, s1, vcc_lo
	s_and_saveexec_b32 s30, s31
	s_cbranch_execz .LBB74_12
; %bb.11:                               ;   in Loop: Header=BB74_3 Depth=1
	v_add_co_u32 v173, vcc_lo, v159, v35
	v_add_co_ci_u32_e64 v174, null, v160, v36, vcc_lo
	v_add_co_u32 v175, vcc_lo, v161, v35
	v_add_co_ci_u32_e64 v176, null, v162, v36, vcc_lo
	global_load_ushort v5, v[173:174], off
	global_load_ushort v171, v[175:176], off
	s_waitcnt vmcnt(1)
	v_cvt_f32_f16_e32 v5, v5
	s_waitcnt vmcnt(0)
	v_cvt_f32_f16_e32 v171, v171
.LBB74_12:                              ;   in Loop: Header=BB74_3 Depth=1
	s_or_b32 exec_lo, exec_lo, s30
	v_add_co_u32 v173, vcc_lo, v37, 3
	v_add_co_ci_u32_e64 v174, null, 0, v38, vcc_lo
	v_cmp_gt_i64_e32 vcc_lo, s[8:9], v[173:174]
	v_mov_b32_e32 v173, 0
	v_mov_b32_e32 v174, 0
	s_and_b32 s31, s1, vcc_lo
	s_and_saveexec_b32 s30, s31
	s_cbranch_execz .LBB74_14
; %bb.13:                               ;   in Loop: Header=BB74_3 Depth=1
	v_add_co_u32 v174, vcc_lo, v155, v35
	v_add_co_ci_u32_e64 v175, null, v156, v36, vcc_lo
	v_add_co_u32 v176, vcc_lo, v157, v35
	v_add_co_ci_u32_e64 v177, null, v158, v36, vcc_lo
	global_load_ushort v6, v[174:175], off
	global_load_ushort v174, v[176:177], off
	s_waitcnt vmcnt(1)
	v_cvt_f32_f16_e32 v6, v6
	s_waitcnt vmcnt(0)
	v_cvt_f32_f16_e32 v174, v174
.LBB74_14:                              ;   in Loop: Header=BB74_3 Depth=1
	s_or_b32 exec_lo, exec_lo, s30
	v_add_co_u32 v175, vcc_lo, v37, 4
	v_add_co_ci_u32_e64 v176, null, 0, v38, vcc_lo
	v_cmp_gt_i64_e32 vcc_lo, s[8:9], v[175:176]
	s_and_b32 s31, s1, vcc_lo
	s_and_saveexec_b32 s30, s31
	s_cbranch_execz .LBB74_16
; %bb.15:                               ;   in Loop: Header=BB74_3 Depth=1
	v_add_co_u32 v175, vcc_lo, v151, v35
	v_add_co_ci_u32_e64 v176, null, v152, v36, vcc_lo
	v_add_co_u32 v177, vcc_lo, v153, v35
	v_add_co_ci_u32_e64 v178, null, v154, v36, vcc_lo
	global_load_ushort v7, v[175:176], off
	global_load_ushort v173, v[177:178], off
	s_waitcnt vmcnt(1)
	v_cvt_f32_f16_e32 v7, v7
	s_waitcnt vmcnt(0)
	v_cvt_f32_f16_e32 v173, v173
.LBB74_16:                              ;   in Loop: Header=BB74_3 Depth=1
	s_or_b32 exec_lo, exec_lo, s30
	v_add_co_u32 v175, vcc_lo, v37, 5
	v_add_co_ci_u32_e64 v176, null, 0, v38, vcc_lo
	v_cmp_gt_i64_e32 vcc_lo, s[8:9], v[175:176]
	v_mov_b32_e32 v175, 0
	v_mov_b32_e32 v176, 0
	s_and_b32 s31, s1, vcc_lo
	s_and_saveexec_b32 s30, s31
	s_cbranch_execz .LBB74_18
; %bb.17:                               ;   in Loop: Header=BB74_3 Depth=1
	v_add_co_u32 v176, vcc_lo, v147, v35
	v_add_co_ci_u32_e64 v177, null, v148, v36, vcc_lo
	v_add_co_u32 v178, vcc_lo, v149, v35
	v_add_co_ci_u32_e64 v179, null, v150, v36, vcc_lo
	global_load_ushort v8, v[176:177], off
	global_load_ushort v176, v[178:179], off
	s_waitcnt vmcnt(1)
	v_cvt_f32_f16_e32 v8, v8
	s_waitcnt vmcnt(0)
	v_cvt_f32_f16_e32 v176, v176
.LBB74_18:                              ;   in Loop: Header=BB74_3 Depth=1
	;; [unrolled: 40-line block ×6, first 2 shown]
	s_or_b32 exec_lo, exec_lo, s30
	v_add_co_u32 v185, vcc_lo, v37, 14
	v_add_co_ci_u32_e64 v186, null, 0, v38, vcc_lo
	v_cmp_gt_i64_e32 vcc_lo, s[8:9], v[185:186]
	s_and_b32 s31, s1, vcc_lo
	s_and_saveexec_b32 s30, s31
	s_cbranch_execz .LBB74_36
; %bb.35:                               ;   in Loop: Header=BB74_3 Depth=1
	v_add_co_u32 v185, vcc_lo, v111, v35
	v_add_co_ci_u32_e64 v186, null, v112, v36, vcc_lo
	v_add_co_u32 v187, vcc_lo, v113, v35
	v_add_co_ci_u32_e64 v188, null, v114, v36, vcc_lo
	global_load_ushort v17, v[185:186], off
	global_load_ushort v183, v[187:188], off
	s_waitcnt vmcnt(1)
	v_cvt_f32_f16_e32 v17, v17
	s_waitcnt vmcnt(0)
	v_cvt_f32_f16_e32 v183, v183
.LBB74_36:                              ;   in Loop: Header=BB74_3 Depth=1
	s_or_b32 exec_lo, exec_lo, s30
	v_add_co_u32 v185, vcc_lo, v37, 15
	v_add_co_ci_u32_e64 v186, null, 0, v38, vcc_lo
	v_mov_b32_e32 v187, 0
	v_cmp_gt_i64_e32 vcc_lo, s[8:9], v[185:186]
	v_mov_b32_e32 v185, 0
	s_and_b32 s31, s1, vcc_lo
	s_and_saveexec_b32 s30, s31
	s_cbranch_execz .LBB74_38
; %bb.37:                               ;   in Loop: Header=BB74_3 Depth=1
	v_add_co_u32 v186, vcc_lo, v107, v35
	v_add_co_ci_u32_e64 v187, null, v108, v36, vcc_lo
	v_add_co_u32 v188, vcc_lo, v109, v35
	v_add_co_ci_u32_e64 v189, null, v110, v36, vcc_lo
	global_load_ushort v18, v[186:187], off
	global_load_ushort v186, v[188:189], off
	s_waitcnt vmcnt(1)
	v_cvt_f32_f16_e32 v18, v18
	s_waitcnt vmcnt(0)
	v_cvt_f32_f16_e32 v187, v186
.LBB74_38:                              ;   in Loop: Header=BB74_3 Depth=1
	s_or_b32 exec_lo, exec_lo, s30
	v_add_co_u32 v188, vcc_lo, v37, 16
	v_add_co_ci_u32_e64 v189, null, 0, v38, vcc_lo
	v_cmp_gt_i64_e32 vcc_lo, s[8:9], v[188:189]
	s_and_b32 s31, s1, vcc_lo
	s_and_saveexec_b32 s30, s31
	s_cbranch_execz .LBB74_40
; %bb.39:                               ;   in Loop: Header=BB74_3 Depth=1
	v_add_co_u32 v185, vcc_lo, v103, v35
	v_add_co_ci_u32_e64 v186, null, v104, v36, vcc_lo
	v_add_co_u32 v188, vcc_lo, v105, v35
	v_add_co_ci_u32_e64 v189, null, v106, v36, vcc_lo
	global_load_ushort v19, v[185:186], off
	global_load_ushort v185, v[188:189], off
	s_waitcnt vmcnt(1)
	v_cvt_f32_f16_e32 v19, v19
	s_waitcnt vmcnt(0)
	v_cvt_f32_f16_e32 v185, v185
.LBB74_40:                              ;   in Loop: Header=BB74_3 Depth=1
	s_or_b32 exec_lo, exec_lo, s30
	v_add_co_u32 v188, vcc_lo, v37, 17
	v_add_co_ci_u32_e64 v189, null, 0, v38, vcc_lo
	v_cmp_gt_i64_e32 vcc_lo, s[8:9], v[188:189]
	v_mov_b32_e32 v188, 0
	v_mov_b32_e32 v189, 0
	s_and_b32 s31, s1, vcc_lo
	s_and_saveexec_b32 s30, s31
	s_cbranch_execz .LBB74_42
; %bb.41:                               ;   in Loop: Header=BB74_3 Depth=1
	v_add_co_u32 v189, vcc_lo, v99, v35
	v_add_co_ci_u32_e64 v190, null, v100, v36, vcc_lo
	v_add_co_u32 v191, vcc_lo, v101, v35
	v_add_co_ci_u32_e64 v192, null, v102, v36, vcc_lo
	global_load_ushort v20, v[189:190], off
	global_load_ushort v186, v[191:192], off
	s_waitcnt vmcnt(1)
	v_cvt_f32_f16_e32 v20, v20
	s_waitcnt vmcnt(0)
	v_cvt_f32_f16_e32 v189, v186
.LBB74_42:                              ;   in Loop: Header=BB74_3 Depth=1
	s_or_b32 exec_lo, exec_lo, s30
	v_add_co_u32 v190, vcc_lo, v37, 18
	v_add_co_ci_u32_e64 v191, null, 0, v38, vcc_lo
	v_cmp_gt_i64_e32 vcc_lo, s[8:9], v[190:191]
	s_and_b32 s31, s1, vcc_lo
	s_and_saveexec_b32 s30, s31
	s_cbranch_execz .LBB74_44
; %bb.43:                               ;   in Loop: Header=BB74_3 Depth=1
	v_add_co_u32 v190, vcc_lo, v95, v35
	v_add_co_ci_u32_e64 v191, null, v96, v36, vcc_lo
	v_add_co_u32 v192, vcc_lo, v97, v35
	v_add_co_ci_u32_e64 v193, null, v98, v36, vcc_lo
	global_load_ushort v21, v[190:191], off
	global_load_ushort v186, v[192:193], off
	s_waitcnt vmcnt(1)
	v_cvt_f32_f16_e32 v21, v21
	s_waitcnt vmcnt(0)
	v_cvt_f32_f16_e32 v188, v186
.LBB74_44:                              ;   in Loop: Header=BB74_3 Depth=1
	s_or_b32 exec_lo, exec_lo, s30
	v_add_co_u32 v190, vcc_lo, v37, 19
	v_add_co_ci_u32_e64 v191, null, 0, v38, vcc_lo
	v_cmp_gt_i64_e32 vcc_lo, s[8:9], v[190:191]
	v_mov_b32_e32 v190, 0
	;; [unrolled: 40-line block ×6, first 2 shown]
	v_mov_b32_e32 v199, 0
	s_and_b32 s31, s1, vcc_lo
	s_and_saveexec_b32 s30, s31
	s_cbranch_execz .LBB74_62
; %bb.61:                               ;   in Loop: Header=BB74_3 Depth=1
	v_add_co_u32 v199, vcc_lo, v61, v35
	v_add_co_ci_u32_e64 v200, null, v62, v36, vcc_lo
	v_add_co_u32 v202, vcc_lo, v63, v35
	v_add_co_ci_u32_e64 v203, null, v64, v36, vcc_lo
	global_load_ushort v30, v[199:200], off
	global_load_ushort v186, v[202:203], off
	s_waitcnt vmcnt(1)
	v_cvt_f32_f16_e32 v30, v30
	s_waitcnt vmcnt(0)
	v_cvt_f32_f16_e32 v199, v186
.LBB74_62:                              ;   in Loop: Header=BB74_3 Depth=1
	s_or_b32 exec_lo, exec_lo, s30
	v_add_co_u32 v202, vcc_lo, v37, 28
	v_add_co_ci_u32_e64 v203, null, 0, v38, vcc_lo
	v_cmp_gt_i64_e32 vcc_lo, s[8:9], v[202:203]
	s_and_b32 s31, s1, vcc_lo
	s_and_saveexec_b32 s30, s31
	s_cbranch_execz .LBB74_64
; %bb.63:                               ;   in Loop: Header=BB74_3 Depth=1
	v_add_co_u32 v202, vcc_lo, v57, v35
	v_add_co_ci_u32_e64 v203, null, v58, v36, vcc_lo
	v_add_co_u32 v204, vcc_lo, v59, v35
	v_add_co_ci_u32_e64 v205, null, v60, v36, vcc_lo
	global_load_ushort v31, v[202:203], off
	global_load_ushort v186, v[204:205], off
	s_waitcnt vmcnt(1)
	v_cvt_f32_f16_e32 v31, v31
	s_waitcnt vmcnt(0)
	v_cvt_f32_f16_e32 v198, v186
.LBB74_64:                              ;   in Loop: Header=BB74_3 Depth=1
	s_or_b32 exec_lo, exec_lo, s30
	v_add_co_u32 v202, vcc_lo, v37, 29
	v_add_co_ci_u32_e64 v203, null, 0, v38, vcc_lo
	v_mov_b32_e32 v200, 0
	v_cmp_gt_i64_e32 vcc_lo, s[8:9], v[202:203]
	v_mov_b32_e32 v202, 0
	s_and_b32 s31, s1, vcc_lo
	s_and_saveexec_b32 s30, s31
	s_cbranch_execz .LBB74_66
; %bb.65:                               ;   in Loop: Header=BB74_3 Depth=1
	v_add_co_u32 v202, vcc_lo, v53, v35
	v_add_co_ci_u32_e64 v203, null, v54, v36, vcc_lo
	v_add_co_u32 v204, vcc_lo, v55, v35
	v_add_co_ci_u32_e64 v205, null, v56, v36, vcc_lo
	global_load_ushort v32, v[202:203], off
	global_load_ushort v186, v[204:205], off
	s_waitcnt vmcnt(1)
	v_cvt_f32_f16_e32 v32, v32
	s_waitcnt vmcnt(0)
	v_cvt_f32_f16_e32 v202, v186
.LBB74_66:                              ;   in Loop: Header=BB74_3 Depth=1
	s_or_b32 exec_lo, exec_lo, s30
	v_add_co_u32 v203, vcc_lo, v37, 30
	v_add_co_ci_u32_e64 v204, null, 0, v38, vcc_lo
	v_cmp_gt_i64_e32 vcc_lo, s[8:9], v[203:204]
	s_and_b32 s31, s1, vcc_lo
	s_and_saveexec_b32 s30, s31
	s_cbranch_execz .LBB74_68
; %bb.67:                               ;   in Loop: Header=BB74_3 Depth=1
	v_add_co_u32 v203, vcc_lo, v49, v35
	v_add_co_ci_u32_e64 v204, null, v50, v36, vcc_lo
	v_add_co_u32 v205, vcc_lo, v51, v35
	v_add_co_ci_u32_e64 v206, null, v52, v36, vcc_lo
	global_load_ushort v33, v[203:204], off
	global_load_ushort v186, v[205:206], off
	s_waitcnt vmcnt(1)
	v_cvt_f32_f16_e32 v33, v33
	s_waitcnt vmcnt(0)
	v_cvt_f32_f16_e32 v200, v186
.LBB74_68:                              ;   in Loop: Header=BB74_3 Depth=1
	s_or_b32 exec_lo, exec_lo, s30
	v_add_co_u32 v203, vcc_lo, v37, 31
	v_add_co_ci_u32_e64 v204, null, 0, v38, vcc_lo
	v_mov_b32_e32 v186, 0
	v_cmp_gt_i64_e32 vcc_lo, s[8:9], v[203:204]
	s_and_b32 s31, s1, vcc_lo
	s_and_saveexec_b32 s30, s31
	s_cbranch_execz .LBB74_70
; %bb.69:                               ;   in Loop: Header=BB74_3 Depth=1
	v_add_co_u32 v203, vcc_lo, v45, v35
	v_add_co_ci_u32_e64 v204, null, v46, v36, vcc_lo
	v_add_co_u32 v205, vcc_lo, v47, v35
	v_add_co_ci_u32_e64 v206, null, v48, v36, vcc_lo
	global_load_ushort v34, v[203:204], off
	global_load_ushort v186, v[205:206], off
	s_waitcnt vmcnt(1)
	v_cvt_f32_f16_e32 v34, v34
	s_waitcnt vmcnt(0)
	v_cvt_f32_f16_e32 v186, v186
.LBB74_70:                              ;   in Loop: Header=BB74_3 Depth=1
	s_or_b32 exec_lo, exec_lo, s30
	s_waitcnt vmcnt(1)
	ds_bpermute_b32 v203, v2, v168
	ds_bpermute_b32 v207, v2, v168 offset:4
	s_waitcnt vmcnt(0)
	ds_bpermute_b32 v204, v2, v169
	ds_bpermute_b32 v209, v2, v168 offset:8
	ds_bpermute_b32 v206, v2, v169 offset:4
	;; [unrolled: 1-line block ×5, first 2 shown]
	v_add_f32_e32 v205, v201, v3
	ds_bpermute_b32 v210, v2, v169 offset:12
	ds_bpermute_b32 v215, v2, v168 offset:20
	;; [unrolled: 1-line block ×11, first 2 shown]
	s_waitcnt lgkmcnt(18)
	v_sub_f32_e32 v170, v170, v203
	s_waitcnt lgkmcnt(17)
	v_sub_f32_e32 v172, v172, v207
	ds_bpermute_b32 v225, v2, v168 offset:40
	s_waitcnt lgkmcnt(16)
	v_sub_f32_e32 v171, v171, v209
	ds_bpermute_b32 v222, v2, v169 offset:36
	v_mul_f32_e32 v3, v3, v170
	v_mul_f32_e32 v172, v4, v172
	v_add_f32_e32 v4, v4, v205
	s_waitcnt lgkmcnt(15)
	v_sub_f32_e32 v174, v174, v211
	v_mul_f32_e32 v171, v5, v171
	v_fma_f32 v203, v3, v204, v167
	ds_bpermute_b32 v207, v2, v168 offset:44
	v_add_f32_e32 v4, v5, v4
	s_waitcnt lgkmcnt(14)
	v_sub_f32_e32 v5, v173, v213
	v_mul_f32_e32 v173, v6, v174
	v_fmac_f32_e32 v203, v172, v206
	s_waitcnt lgkmcnt(8)
	v_sub_f32_e32 v174, v178, v219
	v_add_f32_e32 v4, v6, v4
	v_sub_f32_e32 v6, v176, v215
	v_mul_f32_e32 v5, v7, v5
	v_fmac_f32_e32 v203, v171, v208
	ds_bpermute_b32 v224, v2, v169 offset:40
	v_add_f32_e32 v4, v7, v4
	v_sub_f32_e32 v7, v175, v217
	v_mul_f32_e32 v6, v8, v6
	v_fmac_f32_e32 v203, v173, v210
	ds_bpermute_b32 v172, v2, v168 offset:48
	v_add_f32_e32 v4, v8, v4
	v_mul_f32_e32 v7, v9, v7
	s_waitcnt lgkmcnt(8)
	v_sub_f32_e32 v8, v177, v221
	v_fmac_f32_e32 v203, v5, v212
	v_mul_f32_e32 v174, v10, v174
	ds_bpermute_b32 v170, v2, v169 offset:44
	ds_bpermute_b32 v173, v2, v168 offset:52
	v_add_f32_e32 v4, v9, v4
	v_fmac_f32_e32 v203, v6, v214
	s_waitcnt lgkmcnt(8)
	v_sub_f32_e32 v9, v180, v223
	v_mul_f32_e32 v8, v11, v8
	ds_bpermute_b32 v3, v2, v169 offset:48
	ds_bpermute_b32 v6, v2, v168 offset:56
	v_fmac_f32_e32 v203, v7, v216
	v_add_f32_e32 v4, v10, v4
	v_mul_f32_e32 v9, v12, v9
	ds_bpermute_b32 v171, v2, v169 offset:52
	ds_bpermute_b32 v10, v2, v168 offset:60
	v_fmac_f32_e32 v203, v174, v218
	s_waitcnt lgkmcnt(10)
	v_sub_f32_e32 v174, v179, v225
	v_add_f32_e32 v4, v11, v4
	s_waitcnt lgkmcnt(8)
	v_sub_f32_e32 v11, v182, v207
	ds_bpermute_b32 v5, v2, v169 offset:56
	v_fmac_f32_e32 v203, v8, v220
	v_mul_f32_e32 v174, v13, v174
	v_add_f32_e32 v4, v12, v4
	s_waitcnt lgkmcnt(7)
	v_sub_f32_e32 v12, v181, v172
	v_mul_f32_e32 v11, v14, v11
	v_fmac_f32_e32 v203, v9, v222
	ds_bpermute_b32 v9, v2, v168 offset:64
	ds_bpermute_b32 v7, v2, v169 offset:60
	v_add_f32_e32 v4, v13, v4
	ds_bpermute_b32 v13, v2, v168 offset:68
	v_fmac_f32_e32 v203, v174, v224
	s_waitcnt lgkmcnt(8)
	v_sub_f32_e32 v172, v184, v173
	v_mul_f32_e32 v12, v15, v12
	ds_bpermute_b32 v8, v2, v169 offset:64
	v_add_f32_e32 v4, v14, v4
	v_fmac_f32_e32 v203, v11, v170
	ds_bpermute_b32 v11, v2, v168 offset:72
	s_waitcnt lgkmcnt(8)
	v_sub_f32_e32 v6, v183, v6
	v_mul_f32_e32 v14, v16, v172
	s_waitcnt lgkmcnt(6)
	v_sub_f32_e32 v10, v187, v10
	v_fmac_f32_e32 v203, v12, v3
	ds_bpermute_b32 v3, v2, v169 offset:68
	v_mul_f32_e32 v6, v17, v6
	ds_bpermute_b32 v12, v2, v169 offset:72
	v_mul_f32_e32 v10, v18, v10
	v_fmac_f32_e32 v203, v14, v171
	ds_bpermute_b32 v14, v2, v168 offset:76
	v_add_f32_e32 v4, v15, v4
	s_mov_b32 s30, 0
	s_waitcnt lgkmcnt(8)
	v_fmac_f32_e32 v203, v6, v5
	s_waitcnt lgkmcnt(7)
	v_sub_f32_e32 v5, v185, v9
	ds_bpermute_b32 v6, v2, v168 offset:80
	s_waitcnt lgkmcnt(6)
	v_sub_f32_e32 v9, v189, v13
	v_add_f32_e32 v4, v16, v4
	v_fmac_f32_e32 v203, v10, v7
	v_mul_f32_e32 v5, v19, v5
	ds_bpermute_b32 v7, v2, v169 offset:76
	v_mul_f32_e32 v9, v20, v9
	s_waitcnt lgkmcnt(5)
	v_sub_f32_e32 v10, v188, v11
	ds_bpermute_b32 v11, v2, v168 offset:84
	v_fmac_f32_e32 v203, v5, v8
	v_add_f32_e32 v4, v17, v4
	ds_bpermute_b32 v5, v2, v169 offset:80
	v_mul_f32_e32 v8, v21, v10
	ds_bpermute_b32 v10, v2, v169 offset:84
	s_waitcnt lgkmcnt(7)
	v_fmac_f32_e32 v203, v9, v3
	s_waitcnt lgkmcnt(5)
	v_sub_f32_e32 v3, v191, v14
	ds_bpermute_b32 v9, v2, v168 offset:88
	v_add_f32_e32 v4, v18, v4
	v_fmac_f32_e32 v203, v8, v12
	v_mul_f32_e32 v3, v22, v3
	ds_bpermute_b32 v8, v2, v168 offset:92
	v_add_f32_e32 v4, v19, v4
	s_waitcnt lgkmcnt(6)
	v_sub_f32_e32 v6, v190, v6
	ds_bpermute_b32 v12, v2, v169 offset:116
	s_waitcnt lgkmcnt(6)
	v_fmac_f32_e32 v203, v3, v7
	ds_bpermute_b32 v3, v2, v169 offset:88
	v_add_f32_e32 v4, v20, v4
	v_mul_f32_e32 v6, v23, v6
	s_waitcnt lgkmcnt(6)
	v_sub_f32_e32 v7, v193, v11
	ds_bpermute_b32 v11, v2, v168 offset:96
	v_add_f32_e32 v4, v21, v4
	s_waitcnt lgkmcnt(6)
	v_fmac_f32_e32 v203, v6, v5
	ds_bpermute_b32 v5, v2, v169 offset:92
	v_mul_f32_e32 v6, v24, v7
	s_waitcnt lgkmcnt(5)
	v_sub_f32_e32 v7, v192, v9
	ds_bpermute_b32 v9, v2, v168 offset:100
	v_add_f32_e32 v4, v22, v4
	v_fmac_f32_e32 v203, v6, v10
	ds_bpermute_b32 v6, v2, v169 offset:96
	v_mul_f32_e32 v7, v25, v7
	ds_bpermute_b32 v10, v2, v168 offset:104
	v_add_f32_e32 v4, v23, v4
	s_waitcnt lgkmcnt(7)
	v_sub_f32_e32 v8, v195, v8
	s_waitcnt lgkmcnt(5)
	v_fmac_f32_e32 v203, v7, v3
	ds_bpermute_b32 v3, v2, v169 offset:100
	v_add_f32_e32 v4, v24, v4
	v_mul_f32_e32 v7, v26, v8
	s_waitcnt lgkmcnt(5)
	v_sub_f32_e32 v8, v194, v11
	ds_bpermute_b32 v11, v2, v168 offset:108
	v_add_f32_e32 v4, v25, v4
	s_waitcnt lgkmcnt(5)
	v_fmac_f32_e32 v203, v7, v5
	v_mul_f32_e32 v5, v27, v8
	ds_bpermute_b32 v7, v2, v169 offset:104
	s_waitcnt lgkmcnt(5)
	v_sub_f32_e32 v8, v197, v9
	ds_bpermute_b32 v9, v2, v168 offset:112
	v_add_f32_e32 v4, v26, v4
	s_waitcnt lgkmcnt(5)
	v_fmac_f32_e32 v203, v5, v6
	ds_bpermute_b32 v5, v2, v169 offset:108
	v_mul_f32_e32 v6, v28, v8
	s_waitcnt lgkmcnt(5)
	v_sub_f32_e32 v8, v196, v10
	ds_bpermute_b32 v10, v2, v168 offset:116
	v_add_f32_e32 v4, v27, v4
	s_waitcnt lgkmcnt(5)
	v_fmac_f32_e32 v203, v6, v3
	ds_bpermute_b32 v6, v2, v169 offset:112
	v_mul_f32_e32 v3, v29, v8
	ds_bpermute_b32 v8, v2, v168 offset:120
	s_waitcnt lgkmcnt(6)
	v_sub_f32_e32 v11, v199, v11
	v_add_f32_e32 v4, v28, v4
	s_waitcnt lgkmcnt(5)
	v_fmac_f32_e32 v203, v3, v7
	v_mul_f32_e32 v3, v30, v11
	v_add_f32_e32 v4, v29, v4
	s_waitcnt lgkmcnt(4)
	v_sub_f32_e32 v7, v198, v9
	ds_bpermute_b32 v9, v2, v169 offset:120
	ds_bpermute_b32 v169, v2, v169 offset:124
	s_waitcnt lgkmcnt(5)
	v_fmac_f32_e32 v203, v3, v5
	v_add_f32_e32 v4, v30, v4
	v_mul_f32_e32 v5, v31, v7
	s_waitcnt lgkmcnt(4)
	v_sub_f32_e32 v7, v202, v10
	ds_bpermute_b32 v3, v2, v168 offset:124
	v_add_f32_e32 v4, v31, v4
	s_waitcnt lgkmcnt(4)
	v_fmac_f32_e32 v203, v5, v6
	v_mul_f32_e32 v5, v32, v7
	s_waitcnt lgkmcnt(3)
	v_sub_f32_e32 v6, v200, v8
	v_add_f32_e32 v4, v32, v4
	v_fmac_f32_e32 v203, v5, v12
	v_mul_f32_e32 v5, v33, v6
	v_add_f32_e32 v4, v33, v4
	s_waitcnt lgkmcnt(2)
	v_fmac_f32_e32 v203, v5, v9
.LBB74_71:                              ;   in Loop: Header=BB74_3 Depth=1
	s_and_b32 vcc_lo, exec_lo, s30
	s_cbranch_vccz .LBB74_137
; %bb.72:                               ;   in Loop: Header=BB74_3 Depth=1
	s_load_dword s30, s[22:23], 0x0
	v_mov_b32_e32 v168, 0
	s_waitcnt lgkmcnt(0)
	s_cmp_lt_u32 s6, s30
	s_cselect_b32 s30, 12, 18
	s_add_u32 s30, s22, s30
	s_addc_u32 s31, s23, 0
	global_load_ushort v3, v2, s[30:31]
	s_mov_b32 s30, exec_lo
	s_waitcnt vmcnt(0)
	v_mad_u32_u24 v3, v1, v3, v227
	v_and_b32_e32 v3, 31, v3
	v_add_co_u32 v3, vcc_lo, v37, v3
	v_add_co_ci_u32_e64 v4, null, 0, v38, vcc_lo
	v_mov_b32_e32 v38, 0
	v_mov_b32_e32 v37, 0
	v_cmpx_gt_i64_e64 s[8:9], v[3:4]
	s_cbranch_execz .LBB74_74
; %bb.73:                               ;   in Loop: Header=BB74_3 Depth=1
	v_lshlrev_b64 v[3:4], 2, v[3:4]
	v_add_co_u32 v5, vcc_lo, s16, v3
	v_add_co_ci_u32_e64 v6, null, s17, v4, vcc_lo
	v_add_co_u32 v3, vcc_lo, s18, v3
	v_add_co_ci_u32_e64 v4, null, s19, v4, vcc_lo
	global_load_dword v37, v[5:6], off
	global_load_dword v38, v[3:4], off
.LBB74_74:                              ;   in Loop: Header=BB74_3 Depth=1
	s_or_b32 exec_lo, exec_lo, s30
	v_mov_b32_e32 v33, v2
	v_mov_b32_e32 v3, v2
	;; [unrolled: 1-line block ×63, first 2 shown]
	s_and_saveexec_b32 s30, s1
	s_cbranch_execz .LBB74_76
; %bb.75:                               ;   in Loop: Header=BB74_3 Depth=1
	v_add_co_u32 v3, vcc_lo, v41, v35
	v_add_co_ci_u32_e64 v4, null, v42, v36, vcc_lo
	v_add_co_u32 v5, vcc_lo, v43, v35
	v_add_co_ci_u32_e64 v6, null, v44, v36, vcc_lo
	global_load_ushort v3, v[3:4], off
	global_load_ushort v168, v[5:6], off
	v_mov_b32_e32 v4, v2
	v_mov_b32_e32 v5, v2
	;; [unrolled: 1-line block ×31, first 2 shown]
	s_waitcnt vmcnt(1)
	v_cvt_f32_f16_e32 v3, v3
	s_waitcnt vmcnt(0)
	v_cvt_f32_f16_e32 v168, v168
.LBB74_76:                              ;   in Loop: Header=BB74_3 Depth=1
	s_or_b32 exec_lo, exec_lo, s30
	v_mov_b32_e32 v169, 0
	v_mov_b32_e32 v170, 0
	s_and_saveexec_b32 s30, s1
	s_cbranch_execz .LBB74_78
; %bb.77:                               ;   in Loop: Header=BB74_3 Depth=1
	v_add_co_u32 v170, vcc_lo, v163, v35
	v_add_co_ci_u32_e64 v171, null, v164, v36, vcc_lo
	v_add_co_u32 v172, vcc_lo, v165, v35
	v_add_co_ci_u32_e64 v173, null, v166, v36, vcc_lo
	global_load_ushort v4, v[170:171], off
	global_load_ushort v170, v[172:173], off
	s_waitcnt vmcnt(1)
	v_cvt_f32_f16_e32 v4, v4
	s_waitcnt vmcnt(0)
	v_cvt_f32_f16_e32 v170, v170
.LBB74_78:                              ;   in Loop: Header=BB74_3 Depth=1
	s_or_b32 exec_lo, exec_lo, s30
	s_and_saveexec_b32 s30, s1
	s_cbranch_execz .LBB74_80
; %bb.79:                               ;   in Loop: Header=BB74_3 Depth=1
	v_add_co_u32 v171, vcc_lo, v159, v35
	v_add_co_ci_u32_e64 v172, null, v160, v36, vcc_lo
	v_add_co_u32 v173, vcc_lo, v161, v35
	v_add_co_ci_u32_e64 v174, null, v162, v36, vcc_lo
	global_load_ushort v5, v[171:172], off
	global_load_ushort v169, v[173:174], off
	s_waitcnt vmcnt(1)
	v_cvt_f32_f16_e32 v5, v5
	s_waitcnt vmcnt(0)
	v_cvt_f32_f16_e32 v169, v169
.LBB74_80:                              ;   in Loop: Header=BB74_3 Depth=1
	s_or_b32 exec_lo, exec_lo, s30
	v_mov_b32_e32 v171, 0
	v_mov_b32_e32 v172, 0
	s_and_saveexec_b32 s30, s1
	s_cbranch_execz .LBB74_82
; %bb.81:                               ;   in Loop: Header=BB74_3 Depth=1
	v_add_co_u32 v172, vcc_lo, v155, v35
	v_add_co_ci_u32_e64 v173, null, v156, v36, vcc_lo
	v_add_co_u32 v174, vcc_lo, v157, v35
	v_add_co_ci_u32_e64 v175, null, v158, v36, vcc_lo
	global_load_ushort v6, v[172:173], off
	global_load_ushort v172, v[174:175], off
	s_waitcnt vmcnt(1)
	v_cvt_f32_f16_e32 v6, v6
	s_waitcnt vmcnt(0)
	v_cvt_f32_f16_e32 v172, v172
.LBB74_82:                              ;   in Loop: Header=BB74_3 Depth=1
	s_or_b32 exec_lo, exec_lo, s30
	s_and_saveexec_b32 s30, s1
	s_cbranch_execz .LBB74_84
; %bb.83:                               ;   in Loop: Header=BB74_3 Depth=1
	v_add_co_u32 v173, vcc_lo, v151, v35
	v_add_co_ci_u32_e64 v174, null, v152, v36, vcc_lo
	v_add_co_u32 v175, vcc_lo, v153, v35
	v_add_co_ci_u32_e64 v176, null, v154, v36, vcc_lo
	global_load_ushort v7, v[173:174], off
	global_load_ushort v171, v[175:176], off
	s_waitcnt vmcnt(1)
	v_cvt_f32_f16_e32 v7, v7
	s_waitcnt vmcnt(0)
	v_cvt_f32_f16_e32 v171, v171
.LBB74_84:                              ;   in Loop: Header=BB74_3 Depth=1
	;; [unrolled: 32-line block ×5, first 2 shown]
	s_or_b32 exec_lo, exec_lo, s30
	v_mov_b32_e32 v179, 0
	v_mov_b32_e32 v180, 0
	s_and_saveexec_b32 s30, s1
	s_cbranch_execz .LBB74_98
; %bb.97:                               ;   in Loop: Header=BB74_3 Depth=1
	v_add_co_u32 v180, vcc_lo, v123, v35
	v_add_co_ci_u32_e64 v181, null, v124, v36, vcc_lo
	v_add_co_u32 v182, vcc_lo, v125, v35
	v_add_co_ci_u32_e64 v183, null, v126, v36, vcc_lo
	global_load_ushort v14, v[180:181], off
	global_load_ushort v180, v[182:183], off
	s_waitcnt vmcnt(1)
	v_cvt_f32_f16_e32 v14, v14
	s_waitcnt vmcnt(0)
	v_cvt_f32_f16_e32 v180, v180
.LBB74_98:                              ;   in Loop: Header=BB74_3 Depth=1
	s_or_b32 exec_lo, exec_lo, s30
	s_and_saveexec_b32 s30, s1
	s_cbranch_execz .LBB74_100
; %bb.99:                               ;   in Loop: Header=BB74_3 Depth=1
	v_add_co_u32 v181, vcc_lo, v119, v35
	v_add_co_ci_u32_e64 v182, null, v120, v36, vcc_lo
	v_add_co_u32 v183, vcc_lo, v121, v35
	v_add_co_ci_u32_e64 v184, null, v122, v36, vcc_lo
	global_load_ushort v15, v[181:182], off
	global_load_ushort v179, v[183:184], off
	s_waitcnt vmcnt(1)
	v_cvt_f32_f16_e32 v15, v15
	s_waitcnt vmcnt(0)
	v_cvt_f32_f16_e32 v179, v179
.LBB74_100:                             ;   in Loop: Header=BB74_3 Depth=1
	s_or_b32 exec_lo, exec_lo, s30
	v_mov_b32_e32 v181, 0
	v_mov_b32_e32 v182, 0
	s_and_saveexec_b32 s30, s1
	s_cbranch_execz .LBB74_102
; %bb.101:                              ;   in Loop: Header=BB74_3 Depth=1
	v_add_co_u32 v182, vcc_lo, v115, v35
	v_add_co_ci_u32_e64 v183, null, v116, v36, vcc_lo
	v_add_co_u32 v184, vcc_lo, v117, v35
	v_add_co_ci_u32_e64 v185, null, v118, v36, vcc_lo
	global_load_ushort v16, v[182:183], off
	global_load_ushort v182, v[184:185], off
	s_waitcnt vmcnt(1)
	v_cvt_f32_f16_e32 v16, v16
	s_waitcnt vmcnt(0)
	v_cvt_f32_f16_e32 v182, v182
.LBB74_102:                             ;   in Loop: Header=BB74_3 Depth=1
	s_or_b32 exec_lo, exec_lo, s30
	s_and_saveexec_b32 s30, s1
	s_cbranch_execz .LBB74_104
; %bb.103:                              ;   in Loop: Header=BB74_3 Depth=1
	v_add_co_u32 v183, vcc_lo, v111, v35
	v_add_co_ci_u32_e64 v184, null, v112, v36, vcc_lo
	v_add_co_u32 v185, vcc_lo, v113, v35
	v_add_co_ci_u32_e64 v186, null, v114, v36, vcc_lo
	global_load_ushort v17, v[183:184], off
	global_load_ushort v181, v[185:186], off
	s_waitcnt vmcnt(1)
	v_cvt_f32_f16_e32 v17, v17
	s_waitcnt vmcnt(0)
	v_cvt_f32_f16_e32 v181, v181
.LBB74_104:                             ;   in Loop: Header=BB74_3 Depth=1
	s_or_b32 exec_lo, exec_lo, s30
	v_mov_b32_e32 v183, 0
	v_mov_b32_e32 v184, 0
	s_and_saveexec_b32 s30, s1
	s_cbranch_execz .LBB74_106
; %bb.105:                              ;   in Loop: Header=BB74_3 Depth=1
	v_add_co_u32 v184, vcc_lo, v107, v35
	v_add_co_ci_u32_e64 v185, null, v108, v36, vcc_lo
	v_add_co_u32 v186, vcc_lo, v109, v35
	v_add_co_ci_u32_e64 v187, null, v110, v36, vcc_lo
	global_load_ushort v18, v[184:185], off
	global_load_ushort v184, v[186:187], off
	s_waitcnt vmcnt(1)
	v_cvt_f32_f16_e32 v18, v18
	s_waitcnt vmcnt(0)
	v_cvt_f32_f16_e32 v184, v184
.LBB74_106:                             ;   in Loop: Header=BB74_3 Depth=1
	s_or_b32 exec_lo, exec_lo, s30
	s_and_saveexec_b32 s30, s1
	s_cbranch_execz .LBB74_108
; %bb.107:                              ;   in Loop: Header=BB74_3 Depth=1
	v_add_co_u32 v185, vcc_lo, v103, v35
	v_add_co_ci_u32_e64 v186, null, v104, v36, vcc_lo
	v_add_co_u32 v187, vcc_lo, v105, v35
	v_add_co_ci_u32_e64 v188, null, v106, v36, vcc_lo
	global_load_ushort v19, v[185:186], off
	global_load_ushort v183, v[187:188], off
	s_waitcnt vmcnt(1)
	v_cvt_f32_f16_e32 v19, v19
	s_waitcnt vmcnt(0)
	v_cvt_f32_f16_e32 v183, v183
.LBB74_108:                             ;   in Loop: Header=BB74_3 Depth=1
	;; [unrolled: 32-line block ×8, first 2 shown]
	s_or_b32 exec_lo, exec_lo, s30
	v_mov_b32_e32 v198, 0
	v_mov_b32_e32 v199, 0
	s_and_saveexec_b32 s30, s1
	s_cbranch_execnz .LBB74_139
; %bb.133:                              ;   in Loop: Header=BB74_3 Depth=1
	s_or_b32 exec_lo, exec_lo, s30
	s_and_saveexec_b32 s30, s1
	s_cbranch_execnz .LBB74_140
.LBB74_134:                             ;   in Loop: Header=BB74_3 Depth=1
	s_or_b32 exec_lo, exec_lo, s30
	v_mov_b32_e32 v186, 0
	s_and_saveexec_b32 s30, s1
	s_cbranch_execz .LBB74_136
.LBB74_135:                             ;   in Loop: Header=BB74_3 Depth=1
	v_add_co_u32 v202, vcc_lo, v45, v35
	v_add_co_ci_u32_e64 v203, null, v46, v36, vcc_lo
	v_add_co_u32 v204, vcc_lo, v47, v35
	v_add_co_ci_u32_e64 v205, null, v48, v36, vcc_lo
	global_load_ushort v34, v[202:203], off
	global_load_ushort v186, v[204:205], off
	s_waitcnt vmcnt(1)
	v_cvt_f32_f16_e32 v34, v34
	s_waitcnt vmcnt(0)
	v_cvt_f32_f16_e32 v186, v186
.LBB74_136:                             ;   in Loop: Header=BB74_3 Depth=1
	s_or_b32 exec_lo, exec_lo, s30
	s_waitcnt vmcnt(1)
	ds_bpermute_b32 v200, v2, v37
	ds_bpermute_b32 v204, v2, v37 offset:4
	s_waitcnt vmcnt(0)
	ds_bpermute_b32 v202, v2, v38
	ds_bpermute_b32 v206, v2, v37 offset:8
	ds_bpermute_b32 v203, v2, v38 offset:4
	;; [unrolled: 1-line block ×5, first 2 shown]
	v_add_f32_e32 v201, v201, v3
	ds_bpermute_b32 v207, v2, v38 offset:12
	ds_bpermute_b32 v212, v2, v37 offset:20
	;; [unrolled: 1-line block ×11, first 2 shown]
	s_waitcnt lgkmcnt(18)
	v_sub_f32_e32 v168, v168, v200
	s_waitcnt lgkmcnt(17)
	v_sub_f32_e32 v170, v170, v204
	ds_bpermute_b32 v200, v2, v37 offset:36
	s_waitcnt lgkmcnt(16)
	v_sub_f32_e32 v169, v169, v206
	ds_bpermute_b32 v219, v2, v38 offset:36
	v_mul_f32_e32 v3, v3, v168
	v_mul_f32_e32 v170, v4, v170
	v_add_f32_e32 v4, v4, v201
	s_waitcnt lgkmcnt(15)
	v_sub_f32_e32 v172, v172, v208
	v_mul_f32_e32 v169, v5, v169
	v_fmac_f32_e32 v167, v3, v202
	ds_bpermute_b32 v204, v2, v37 offset:44
	v_add_f32_e32 v4, v5, v4
	s_waitcnt lgkmcnt(14)
	v_sub_f32_e32 v5, v171, v210
	v_mul_f32_e32 v171, v6, v172
	v_fmac_f32_e32 v167, v170, v203
	s_waitcnt lgkmcnt(8)
	v_sub_f32_e32 v172, v176, v216
	v_add_f32_e32 v4, v6, v4
	v_sub_f32_e32 v6, v174, v212
	v_mul_f32_e32 v5, v7, v5
	v_fmac_f32_e32 v167, v169, v205
	ds_bpermute_b32 v220, v2, v38 offset:40
	v_add_f32_e32 v4, v7, v4
	v_sub_f32_e32 v7, v173, v214
	v_mul_f32_e32 v6, v8, v6
	v_fmac_f32_e32 v167, v171, v207
	ds_bpermute_b32 v170, v2, v37 offset:48
	v_add_f32_e32 v4, v8, v4
	v_mul_f32_e32 v7, v9, v7
	s_waitcnt lgkmcnt(8)
	v_sub_f32_e32 v8, v175, v218
	v_fmac_f32_e32 v167, v5, v209
	v_mul_f32_e32 v172, v10, v172
	ds_bpermute_b32 v168, v2, v38 offset:44
	ds_bpermute_b32 v171, v2, v37 offset:52
	v_add_f32_e32 v4, v9, v4
	v_fmac_f32_e32 v167, v6, v211
	s_waitcnt lgkmcnt(6)
	v_sub_f32_e32 v9, v178, v200
	v_mul_f32_e32 v8, v11, v8
	ds_bpermute_b32 v3, v2, v38 offset:48
	ds_bpermute_b32 v6, v2, v37 offset:56
	v_fmac_f32_e32 v167, v7, v213
	v_add_f32_e32 v4, v10, v4
	v_mul_f32_e32 v9, v12, v9
	ds_bpermute_b32 v169, v2, v38 offset:52
	ds_bpermute_b32 v10, v2, v37 offset:60
	v_fmac_f32_e32 v167, v172, v215
	v_sub_f32_e32 v172, v177, v221
	v_add_f32_e32 v4, v11, v4
	s_waitcnt lgkmcnt(8)
	v_sub_f32_e32 v11, v180, v204
	ds_bpermute_b32 v5, v2, v38 offset:56
	v_fmac_f32_e32 v167, v8, v217
	v_mul_f32_e32 v172, v13, v172
	v_add_f32_e32 v4, v12, v4
	s_waitcnt lgkmcnt(7)
	v_sub_f32_e32 v12, v179, v170
	v_mul_f32_e32 v11, v14, v11
	v_fmac_f32_e32 v167, v9, v219
	ds_bpermute_b32 v9, v2, v37 offset:64
	ds_bpermute_b32 v7, v2, v38 offset:60
	v_add_f32_e32 v4, v13, v4
	ds_bpermute_b32 v13, v2, v37 offset:68
	v_fmac_f32_e32 v167, v172, v220
	s_waitcnt lgkmcnt(8)
	v_sub_f32_e32 v170, v182, v171
	v_mul_f32_e32 v12, v15, v12
	ds_bpermute_b32 v8, v2, v38 offset:64
	v_add_f32_e32 v4, v14, v4
	v_fmac_f32_e32 v167, v11, v168
	ds_bpermute_b32 v11, v2, v37 offset:72
	s_waitcnt lgkmcnt(8)
	v_sub_f32_e32 v6, v181, v6
	v_mul_f32_e32 v14, v16, v170
	s_waitcnt lgkmcnt(6)
	v_sub_f32_e32 v10, v184, v10
	v_fmac_f32_e32 v167, v12, v3
	ds_bpermute_b32 v3, v2, v38 offset:68
	v_mul_f32_e32 v6, v17, v6
	ds_bpermute_b32 v12, v2, v38 offset:72
	v_mul_f32_e32 v10, v18, v10
	v_fmac_f32_e32 v167, v14, v169
	ds_bpermute_b32 v14, v2, v37 offset:76
	v_add_f32_e32 v4, v15, v4
	ds_bpermute_b32 v169, v2, v38 offset:124
	s_waitcnt lgkmcnt(9)
	v_fmac_f32_e32 v167, v6, v5
	s_waitcnt lgkmcnt(8)
	v_sub_f32_e32 v5, v183, v9
	ds_bpermute_b32 v9, v2, v37 offset:80
	s_waitcnt lgkmcnt(7)
	v_sub_f32_e32 v6, v187, v13
	v_add_f32_e32 v4, v16, v4
	v_fmac_f32_e32 v167, v10, v7
	v_mul_f32_e32 v5, v19, v5
	ds_bpermute_b32 v7, v2, v38 offset:76
	s_waitcnt lgkmcnt(6)
	v_sub_f32_e32 v10, v185, v11
	ds_bpermute_b32 v11, v2, v37 offset:84
	v_mul_f32_e32 v6, v20, v6
	v_fmac_f32_e32 v167, v5, v8
	ds_bpermute_b32 v5, v2, v38 offset:80
	v_mul_f32_e32 v8, v21, v10
	ds_bpermute_b32 v10, v2, v38 offset:84
	v_add_f32_e32 v4, v17, v4
	s_waitcnt lgkmcnt(8)
	v_fmac_f32_e32 v167, v6, v3
	ds_bpermute_b32 v3, v2, v37 offset:88
	s_waitcnt lgkmcnt(7)
	v_sub_f32_e32 v6, v189, v14
	v_add_f32_e32 v4, v18, v4
	v_fmac_f32_e32 v167, v8, v12
	ds_bpermute_b32 v8, v2, v37 offset:92
	v_mul_f32_e32 v6, v22, v6
	s_waitcnt lgkmcnt(6)
	v_sub_f32_e32 v9, v188, v9
	v_add_f32_e32 v4, v19, v4
	s_waitcnt lgkmcnt(5)
	v_fmac_f32_e32 v167, v6, v7
	ds_bpermute_b32 v6, v2, v38 offset:88
	v_mul_f32_e32 v7, v23, v9
	s_waitcnt lgkmcnt(5)
	v_sub_f32_e32 v9, v191, v11
	ds_bpermute_b32 v11, v2, v37 offset:96
	v_add_f32_e32 v4, v20, v4
	s_waitcnt lgkmcnt(5)
	v_fmac_f32_e32 v167, v7, v5
	ds_bpermute_b32 v5, v2, v38 offset:92
	v_mul_f32_e32 v7, v24, v9
	s_waitcnt lgkmcnt(4)
	v_sub_f32_e32 v3, v190, v3
	ds_bpermute_b32 v9, v2, v37 offset:100
	v_add_f32_e32 v4, v21, v4
	v_fmac_f32_e32 v167, v7, v10
	ds_bpermute_b32 v7, v2, v38 offset:96
	v_mul_f32_e32 v3, v25, v3
	s_waitcnt lgkmcnt(5)
	v_sub_f32_e32 v8, v193, v8
	ds_bpermute_b32 v10, v2, v37 offset:104
	v_add_f32_e32 v4, v22, v4
	s_waitcnt lgkmcnt(5)
	v_fmac_f32_e32 v167, v3, v6
	ds_bpermute_b32 v3, v2, v38 offset:100
	v_mul_f32_e32 v6, v26, v8
	s_waitcnt lgkmcnt(5)
	v_sub_f32_e32 v8, v192, v11
	ds_bpermute_b32 v11, v2, v37 offset:108
	v_add_f32_e32 v4, v23, v4
	s_waitcnt lgkmcnt(5)
	v_fmac_f32_e32 v167, v6, v5
	v_mul_f32_e32 v5, v27, v8
	ds_bpermute_b32 v6, v2, v38 offset:104
	v_add_f32_e32 v4, v24, v4
	s_waitcnt lgkmcnt(5)
	v_sub_f32_e32 v8, v195, v9
	ds_bpermute_b32 v9, v2, v37 offset:112
	s_waitcnt lgkmcnt(5)
	v_fmac_f32_e32 v167, v5, v7
	ds_bpermute_b32 v7, v2, v38 offset:108
	v_add_f32_e32 v4, v25, v4
	v_mul_f32_e32 v5, v28, v8
	s_waitcnt lgkmcnt(5)
	v_sub_f32_e32 v8, v194, v10
	ds_bpermute_b32 v10, v2, v37 offset:116
	v_add_f32_e32 v4, v26, v4
	s_waitcnt lgkmcnt(5)
	v_fmac_f32_e32 v167, v5, v3
	v_mul_f32_e32 v3, v29, v8
	ds_bpermute_b32 v5, v2, v38 offset:112
	s_waitcnt lgkmcnt(5)
	v_sub_f32_e32 v8, v197, v11
	ds_bpermute_b32 v11, v2, v37 offset:120
	v_add_f32_e32 v4, v27, v4
	s_waitcnt lgkmcnt(5)
	v_fmac_f32_e32 v167, v3, v6
	v_mul_f32_e32 v3, v30, v8
	ds_bpermute_b32 v6, v2, v38 offset:116
	v_add_f32_e32 v4, v28, v4
	s_waitcnt lgkmcnt(5)
	v_sub_f32_e32 v8, v196, v9
	s_waitcnt lgkmcnt(4)
	v_fmac_f32_e32 v167, v3, v7
	ds_bpermute_b32 v7, v2, v38 offset:120
	v_add_f32_e32 v4, v29, v4
	v_mul_f32_e32 v3, v31, v8
	s_waitcnt lgkmcnt(4)
	v_sub_f32_e32 v8, v199, v10
	v_add_f32_e32 v4, v30, v4
	s_waitcnt lgkmcnt(3)
	v_fmac_f32_e32 v167, v3, v5
	v_mul_f32_e32 v5, v32, v8
	s_waitcnt lgkmcnt(2)
	v_sub_f32_e32 v8, v198, v11
	ds_bpermute_b32 v3, v2, v37 offset:124
	v_add_f32_e32 v4, v31, v4
	s_waitcnt lgkmcnt(2)
	v_fmac_f32_e32 v167, v5, v6
	v_mul_f32_e32 v5, v33, v8
	v_add_f32_e32 v4, v32, v4
	s_waitcnt lgkmcnt(1)
	v_fmac_f32_e32 v167, v5, v7
	v_add_f32_e32 v4, v33, v4
	v_mov_b32_e32 v203, v167
.LBB74_137:                             ;   in Loop: Header=BB74_3 Depth=1
	v_add_co_u32 v41, vcc_lo, v41, s2
	v_add_co_ci_u32_e64 v42, null, s3, v42, vcc_lo
	v_add_co_u32 v43, vcc_lo, v43, s2
	v_add_co_ci_u32_e64 v44, null, s3, v44, vcc_lo
	;; [unrolled: 2-line block ×59, first 2 shown]
	v_add_co_u32 v157, vcc_lo, v157, s2
	s_waitcnt lgkmcnt(0)
	v_sub_f32_e32 v3, v186, v3
	v_add_co_ci_u32_e64 v158, null, s3, v158, vcc_lo
	v_add_co_u32 v159, vcc_lo, v159, s2
	v_add_co_ci_u32_e64 v160, null, s3, v160, vcc_lo
	v_add_co_u32 v161, vcc_lo, v161, s2
	s_add_u32 s26, s26, s29
	v_add_co_ci_u32_e64 v162, null, s3, v162, vcc_lo
	v_add_co_u32 v163, vcc_lo, v163, s2
	v_mul_f32_e32 v3, v34, v3
	s_addc_u32 s27, s27, 0
	v_add_co_ci_u32_e64 v164, null, s3, v164, vcc_lo
	v_add_co_u32 v165, vcc_lo, v165, s2
	v_cmp_lt_i64_e64 s30, s[26:27], s[8:9]
	v_add_co_ci_u32_e64 v166, null, s3, v166, vcc_lo
	v_add_co_u32 v39, vcc_lo, v39, s29
	v_add_f32_e32 v201, v4, v34
	v_fmac_f32_e32 v203, v3, v169
	v_add_co_ci_u32_e64 v40, null, 0, v40, vcc_lo
	s_add_u32 s24, s24, s29
	s_addc_u32 s25, 0, s25
	s_and_b32 vcc_lo, exec_lo, s30
	s_cbranch_vccz .LBB74_142
; %bb.138:                              ;   in Loop: Header=BB74_3 Depth=1
	v_mov_b32_e32 v167, v203
	s_branch .LBB74_3
.LBB74_139:                             ;   in Loop: Header=BB74_3 Depth=1
	v_add_co_u32 v199, vcc_lo, v53, v35
	v_add_co_ci_u32_e64 v200, null, v54, v36, vcc_lo
	v_add_co_u32 v202, vcc_lo, v55, v35
	v_add_co_ci_u32_e64 v203, null, v56, v36, vcc_lo
	global_load_ushort v32, v[199:200], off
	global_load_ushort v186, v[202:203], off
	s_waitcnt vmcnt(1)
	v_cvt_f32_f16_e32 v32, v32
	s_waitcnt vmcnt(0)
	v_cvt_f32_f16_e32 v199, v186
	s_or_b32 exec_lo, exec_lo, s30
	s_and_saveexec_b32 s30, s1
	s_cbranch_execz .LBB74_134
.LBB74_140:                             ;   in Loop: Header=BB74_3 Depth=1
	v_add_co_u32 v202, vcc_lo, v49, v35
	v_add_co_ci_u32_e64 v203, null, v50, v36, vcc_lo
	v_add_co_u32 v204, vcc_lo, v51, v35
	v_add_co_ci_u32_e64 v205, null, v52, v36, vcc_lo
	global_load_ushort v33, v[202:203], off
	global_load_ushort v186, v[204:205], off
	s_waitcnt vmcnt(1)
	v_cvt_f32_f16_e32 v33, v33
	s_waitcnt vmcnt(0)
	v_cvt_f32_f16_e32 v198, v186
	s_or_b32 exec_lo, exec_lo, s30
	v_mov_b32_e32 v186, 0
	s_and_saveexec_b32 s30, s1
	s_cbranch_execnz .LBB74_135
	s_branch .LBB74_136
.LBB74_141:
                                        ; implicit-def: $vgpr203
                                        ; implicit-def: $vgpr201
	s_branch .LBB74_143
.LBB74_142:
	s_cbranch_execnz .LBB74_220
.LBB74_143:
	v_mov_b32_e32 v203, 0
	v_mov_b32_e32 v201, 0
	s_andn2_b32 vcc_lo, exec_lo, s28
	s_cbranch_vccnz .LBB74_220
; %bb.144:
	v_mov_b32_e32 v0, v1
	v_lshlrev_b32_e32 v225, 5, v1
	s_add_u32 s2, s4, 64
	s_addc_u32 s3, s5, 0
	s_lshl_b64 s[22:23], s[20:21], 1
	buffer_store_dword v0, off, s[36:39], 0 offset:292 ; 4-byte Folded Spill
	buffer_store_dword v1, off, s[36:39], 0 offset:296 ; 4-byte Folded Spill
	v_add_co_u32 v0, s1, v225, s20
	v_mov_b32_e32 v223, 0
	v_mov_b32_e32 v204, 0
	v_mul_lo_u32 v6, s11, v0
	v_lshlrev_b32_e32 v2, 6, v1
	v_add_co_ci_u32_e64 v1, null, 0, 0, s1
	v_add_co_u32 v4, s1, v2, s22
	v_add_co_ci_u32_e64 v5, null, 0, s23, s1
	v_mul_lo_u32 v7, s10, v1
	v_add_co_u32 v8, vcc_lo, v4, 2
	v_add_co_ci_u32_e64 v9, null, 0, v5, vcc_lo
	v_mad_u64_u32 v[2:3], null, s10, v0, 0
	v_add_co_u32 v10, vcc_lo, v4, 4
	v_add_co_ci_u32_e64 v12, null, 0, v5, vcc_lo
	v_add_co_u32 v13, vcc_lo, v4, 6
	v_add_co_ci_u32_e64 v14, null, 0, v5, vcc_lo
	;; [unrolled: 2-line block ×4, first 2 shown]
	v_add3_u32 v3, v3, v7, v6
	v_add_co_u32 v6, vcc_lo, v4, 12
	v_mad_u64_u32 v[35:36], null, s10, v8, s[12:13]
	v_mul_lo_u32 v9, s10, v9
	v_mul_lo_u32 v11, s11, v8
	v_mad_u64_u32 v[49:50], null, s10, v8, s[14:15]
	v_add_co_ci_u32_e64 v7, null, 0, v5, vcc_lo
	v_add_co_u32 v23, vcc_lo, v4, 14
	v_mad_u64_u32 v[37:38], null, s10, v10, s[12:13]
	v_mul_lo_u32 v12, s10, v12
	v_mul_lo_u32 v15, s11, v10
	v_mad_u64_u32 v[53:54], null, s10, v10, s[14:15]
	v_add_co_ci_u32_e64 v24, null, 0, v5, vcc_lo
	v_add_co_u32 v26, vcc_lo, v4, 16
	v_add_co_ci_u32_e64 v27, null, 0, v5, vcc_lo
	v_mad_u64_u32 v[45:46], null, s10, v6, s[12:13]
	v_mul_lo_u32 v7, s10, v7
	v_mul_lo_u32 v25, s11, v6
	v_mad_u64_u32 v[63:64], null, s10, v6, s[14:15]
	v_add3_u32 v36, v11, v36, v9
	v_mad_u64_u32 v[47:48], null, s10, v23, s[12:13]
	v_mul_lo_u32 v24, s10, v24
	v_mul_lo_u32 v8, s11, v23
	v_add3_u32 v50, v11, v50, v9
	v_add_co_u32 v9, vcc_lo, v4, 18
	v_mad_u64_u32 v[65:66], null, s10, v23, s[14:15]
	v_add3_u32 v38, v15, v38, v12
	v_mad_u64_u32 v[51:52], null, s10, v26, s[12:13]
	v_add_co_ci_u32_e64 v10, null, 0, v5, vcc_lo
	v_mul_lo_u32 v11, s10, v27
	v_add3_u32 v54, v15, v54, v12
	v_mul_lo_u32 v12, s11, v26
	v_mad_u64_u32 v[67:68], null, s10, v26, s[14:15]
	v_add3_u32 v46, v25, v46, v7
	v_add3_u32 v64, v25, v64, v7
	v_add_co_u32 v7, vcc_lo, v4, 20
	v_mad_u64_u32 v[59:60], null, s10, v9, s[12:13]
	v_mul_lo_u32 v10, s10, v10
	v_mul_lo_u32 v6, s11, v9
	v_mad_u64_u32 v[69:70], null, s10, v9, s[14:15]
	v_add3_u32 v48, v8, v48, v24
	v_add3_u32 v66, v8, v66, v24
	v_add_co_ci_u32_e64 v8, null, 0, v5, vcc_lo
	v_add_co_u32 v9, vcc_lo, v4, 22
	v_add3_u32 v52, v12, v52, v11
	v_add3_u32 v68, v12, v68, v11
	v_add_co_ci_u32_e64 v11, null, 0, v5, vcc_lo
	v_mad_u64_u32 v[71:72], null, s10, v7, s[12:13]
	v_mul_lo_u32 v8, s10, v8
	v_mul_lo_u32 v12, s11, v7
	v_mad_u64_u32 v[73:74], null, s10, v7, s[14:15]
	v_add3_u32 v60, v6, v60, v10
	v_add3_u32 v70, v6, v70, v10
	v_mul_lo_u32 v6, s10, v11
	v_mul_lo_u32 v7, s11, v9
	v_mad_u64_u32 v[75:76], null, s10, v9, s[12:13]
	v_mad_u64_u32 v[77:78], null, s10, v9, s[14:15]
	v_add_co_u32 v9, vcc_lo, v4, 24
	v_add_co_ci_u32_e64 v10, null, 0, v5, vcc_lo
	v_add3_u32 v72, v12, v72, v8
	v_add3_u32 v74, v12, v74, v8
	v_add_co_u32 v8, vcc_lo, v4, 26
	v_add3_u32 v76, v7, v76, v6
	v_add3_u32 v78, v7, v78, v6
	v_mul_lo_u32 v6, s10, v10
	v_add_co_ci_u32_e64 v10, null, 0, v5, vcc_lo
	v_mul_lo_u32 v7, s11, v9
	v_mad_u64_u32 v[79:80], null, s10, v9, s[12:13]
	v_mad_u64_u32 v[81:82], null, s10, v9, s[14:15]
	v_mul_lo_u32 v9, s10, v10
	v_mul_lo_u32 v10, s11, v8
	v_mad_u64_u32 v[83:84], null, s10, v8, s[12:13]
	v_mad_u64_u32 v[85:86], null, s10, v8, s[14:15]
	v_add_co_u32 v8, vcc_lo, v4, 28
	v_add_co_ci_u32_e64 v11, null, 0, v5, vcc_lo
	v_add3_u32 v84, v10, v84, v9
	v_add3_u32 v80, v7, v80, v6
	;; [unrolled: 1-line block ×3, first 2 shown]
	v_add_co_u32 v9, vcc_lo, v4, 30
	v_add_co_ci_u32_e64 v10, null, 0, v5, vcc_lo
	v_add3_u32 v82, v7, v82, v6
	v_mul_lo_u32 v6, s10, v11
	v_mul_lo_u32 v7, s11, v8
	v_mad_u64_u32 v[87:88], null, s10, v8, s[12:13]
	v_mad_u64_u32 v[89:90], null, s10, v8, s[14:15]
	v_mul_lo_u32 v8, s10, v10
	v_mul_lo_u32 v10, s11, v9
	v_mad_u64_u32 v[91:92], null, s10, v9, s[12:13]
	v_mad_u64_u32 v[93:94], null, s10, v9, s[14:15]
	v_add_co_u32 v9, vcc_lo, v4, 32
	v_add_co_ci_u32_e64 v11, null, 0, v5, vcc_lo
	v_add3_u32 v88, v7, v88, v6
	v_add3_u32 v90, v7, v90, v6
	v_mul_lo_u32 v7, s11, v9
	v_mul_lo_u32 v6, s10, v11
	v_mad_u64_u32 v[95:96], null, s10, v9, s[12:13]
	v_mad_u64_u32 v[97:98], null, s10, v9, s[14:15]
	v_add3_u32 v92, v10, v92, v8
	v_add3_u32 v94, v10, v94, v8
	v_mad_u64_u32 v[39:40], null, s10, v13, s[12:13]
	v_add3_u32 v96, v7, v96, v6
	v_mul_lo_u32 v17, s11, v13
	v_add3_u32 v98, v7, v98, v6
	v_add_co_u32 v6, vcc_lo, v4, 34
	v_add_co_ci_u32_e64 v7, null, 0, v5, vcc_lo
	v_mad_u64_u32 v[55:56], null, s10, v13, s[14:15]
	v_mul_lo_u32 v8, s11, v6
	v_mul_lo_u32 v7, s10, v7
	v_mad_u64_u32 v[99:100], null, s10, v6, s[12:13]
	v_mad_u64_u32 v[101:102], null, s10, v6, s[14:15]
	v_add_co_u32 v6, vcc_lo, v4, 36
	v_mul_lo_u32 v14, s10, v14
	v_mad_u64_u32 v[41:42], null, s10, v16, s[12:13]
	v_add3_u32 v100, v8, v100, v7
	v_add3_u32 v102, v8, v102, v7
	v_add_co_ci_u32_e64 v7, null, 0, v5, vcc_lo
	v_mul_lo_u32 v8, s11, v6
	v_mad_u64_u32 v[103:104], null, s10, v6, s[12:13]
	v_mul_lo_u32 v7, s10, v7
	v_mad_u64_u32 v[105:106], null, s10, v6, s[14:15]
	v_add_co_u32 v6, vcc_lo, v4, 38
	v_add3_u32 v40, v17, v40, v14
	v_add3_u32 v56, v17, v56, v14
	v_mul_lo_u32 v21, s11, v16
	v_add3_u32 v104, v8, v104, v7
	v_add3_u32 v106, v8, v106, v7
	v_add_co_ci_u32_e64 v7, null, 0, v5, vcc_lo
	v_mul_lo_u32 v8, s11, v6
	v_mad_u64_u32 v[107:108], null, s10, v6, s[12:13]
	v_mul_lo_u32 v7, s10, v7
	v_mad_u64_u32 v[109:110], null, s10, v6, s[14:15]
	v_add_co_u32 v6, vcc_lo, v4, 40
	v_mad_u64_u32 v[57:58], null, s10, v16, s[14:15]
	v_mul_lo_u32 v18, s10, v18
	v_add3_u32 v108, v8, v108, v7
	v_add3_u32 v110, v8, v110, v7
	v_add_co_ci_u32_e64 v7, null, 0, v5, vcc_lo
	v_mul_lo_u32 v8, s11, v6
	v_mad_u64_u32 v[111:112], null, s10, v6, s[12:13]
	v_mul_lo_u32 v7, s10, v7
	v_mad_u64_u32 v[113:114], null, s10, v6, s[14:15]
	v_add_co_u32 v6, vcc_lo, v4, 42
	v_mad_u64_u32 v[43:44], null, s10, v19, s[12:13]
	v_mul_lo_u32 v22, s11, v19
	v_add3_u32 v112, v8, v112, v7
	v_add3_u32 v114, v8, v114, v7
	v_add_co_ci_u32_e64 v7, null, 0, v5, vcc_lo
	v_mul_lo_u32 v8, s11, v6
	v_mad_u64_u32 v[115:116], null, s10, v6, s[12:13]
	v_mul_lo_u32 v7, s10, v7
	v_mad_u64_u32 v[117:118], null, s10, v6, s[14:15]
	v_add_co_u32 v6, vcc_lo, v4, 44
	v_add3_u32 v42, v21, v42, v18
	v_mad_u64_u32 v[61:62], null, s10, v19, s[14:15]
	v_add3_u32 v116, v8, v116, v7
	v_add3_u32 v118, v8, v118, v7
	v_add_co_ci_u32_e64 v7, null, 0, v5, vcc_lo
	v_mul_lo_u32 v8, s11, v6
	v_mad_u64_u32 v[119:120], null, s10, v6, s[12:13]
	v_mul_lo_u32 v7, s10, v7
	v_mad_u64_u32 v[121:122], null, s10, v6, s[14:15]
	v_add_co_u32 v6, vcc_lo, v4, 46
	v_add3_u32 v58, v21, v58, v18
	v_mul_lo_u32 v20, s10, v20
	s_load_dword s1, s[4:5], 0x44
	v_add3_u32 v120, v8, v120, v7
	v_add3_u32 v122, v8, v122, v7
	v_add_co_ci_u32_e64 v7, null, 0, v5, vcc_lo
	v_mul_lo_u32 v8, s11, v6
	v_mad_u64_u32 v[123:124], null, s10, v6, s[12:13]
	v_mul_lo_u32 v7, s10, v7
	v_mad_u64_u32 v[125:126], null, s10, v6, s[14:15]
	v_add_co_u32 v6, vcc_lo, v4, 48
	v_add3_u32 v44, v22, v44, v20
	v_add3_u32 v62, v22, v62, v20
	s_mov_b64 s[22:23], s[20:21]
	v_add3_u32 v124, v8, v124, v7
	v_add3_u32 v126, v8, v126, v7
	v_add_co_ci_u32_e64 v7, null, 0, v5, vcc_lo
	v_mul_lo_u32 v8, s11, v6
	v_mad_u64_u32 v[127:128], null, s10, v6, s[12:13]
	v_mul_lo_u32 v7, s10, v7
	v_mad_u64_u32 v[129:130], null, s10, v6, s[14:15]
	v_add_co_u32 v6, vcc_lo, v4, 50
	s_waitcnt lgkmcnt(0)
	s_lshl_b32 s1, s1, 5
	v_add3_u32 v128, v8, v128, v7
	v_add3_u32 v130, v8, v130, v7
	v_add_co_ci_u32_e64 v7, null, 0, v5, vcc_lo
	v_mul_lo_u32 v8, s11, v6
	v_mad_u64_u32 v[131:132], null, s10, v6, s[12:13]
	v_mul_lo_u32 v7, s10, v7
	v_mad_u64_u32 v[133:134], null, s10, v6, s[14:15]
	v_add_co_u32 v6, vcc_lo, v4, 52
	v_add3_u32 v132, v8, v132, v7
	v_add3_u32 v134, v8, v134, v7
	v_add_co_ci_u32_e64 v7, null, 0, v5, vcc_lo
	v_mul_lo_u32 v8, s11, v6
	v_mad_u64_u32 v[135:136], null, s10, v6, s[12:13]
	v_mul_lo_u32 v7, s10, v7
	v_mad_u64_u32 v[137:138], null, s10, v6, s[14:15]
	v_add_co_u32 v6, vcc_lo, v4, 54
	v_add3_u32 v136, v8, v136, v7
	v_add3_u32 v138, v8, v138, v7
	v_add_co_ci_u32_e64 v7, null, 0, v5, vcc_lo
	v_mul_lo_u32 v8, s11, v6
	v_mad_u64_u32 v[139:140], null, s10, v6, s[12:13]
	v_mul_lo_u32 v7, s10, v7
	v_mad_u64_u32 v[141:142], null, s10, v6, s[14:15]
	v_add_co_u32 v6, vcc_lo, v4, 56
	v_add3_u32 v140, v8, v140, v7
	v_add3_u32 v142, v8, v142, v7
	v_add_co_ci_u32_e64 v7, null, 0, v5, vcc_lo
	v_mul_lo_u32 v8, s11, v6
	v_mad_u64_u32 v[143:144], null, s10, v6, s[12:13]
	v_mul_lo_u32 v7, s10, v7
	v_mad_u64_u32 v[145:146], null, s10, v6, s[14:15]
	v_add_co_u32 v6, vcc_lo, v4, 58
	v_add3_u32 v144, v8, v144, v7
	v_add3_u32 v146, v8, v146, v7
	v_add_co_ci_u32_e64 v7, null, 0, v5, vcc_lo
	v_mul_lo_u32 v8, s11, v6
	v_mad_u64_u32 v[147:148], null, s10, v6, s[12:13]
	v_mul_lo_u32 v7, s10, v7
	v_mad_u64_u32 v[149:150], null, s10, v6, s[14:15]
	v_add_co_u32 v6, vcc_lo, v4, 60
	v_add3_u32 v148, v8, v148, v7
	v_add3_u32 v150, v8, v150, v7
	v_add_co_ci_u32_e64 v7, null, 0, v5, vcc_lo
	v_add_co_u32 v4, vcc_lo, v4, 62
	v_add_co_ci_u32_e64 v5, null, 0, v5, vcc_lo
	v_mul_lo_u32 v8, s11, v6
	v_mad_u64_u32 v[151:152], null, s10, v6, s[12:13]
	v_mad_u64_u32 v[153:154], null, s10, v6, s[14:15]
	v_mul_lo_u32 v5, s10, v5
	v_mul_lo_u32 v6, s11, v4
	v_mad_u64_u32 v[155:156], null, s10, v4, s[12:13]
	v_mad_u64_u32 v[157:158], null, s10, v4, s[14:15]
	v_mul_lo_u32 v7, s10, v7
	v_add_co_u32 v4, vcc_lo, v0, 31
	v_add3_u32 v156, v6, v156, v5
	v_add3_u32 v158, v6, v158, v5
	v_add_co_ci_u32_e64 v5, null, 0, v1, vcc_lo
	v_add3_u32 v152, v8, v152, v7
	v_add3_u32 v154, v8, v154, v7
	v_mul_lo_u32 v7, s11, v4
	v_mul_lo_u32 v6, s10, v5
	v_mad_u64_u32 v[4:5], null, s10, v4, 0
	v_add3_u32 v5, v5, v6, v7
	v_add_co_u32 v6, vcc_lo, v0, 30
	v_add_co_ci_u32_e64 v7, null, 0, v1, vcc_lo
	v_mul_lo_u32 v9, s11, v6
	v_mul_lo_u32 v8, s10, v7
	v_mad_u64_u32 v[6:7], null, s10, v6, 0
	v_add3_u32 v7, v7, v8, v9
	v_add_co_u32 v8, vcc_lo, v0, 29
	v_add_co_ci_u32_e64 v9, null, 0, v1, vcc_lo
	v_mul_lo_u32 v11, s11, v8
	v_mul_lo_u32 v10, s10, v9
	v_mad_u64_u32 v[8:9], null, s10, v8, 0
	v_add3_u32 v9, v9, v10, v11
	v_add_co_u32 v10, vcc_lo, v0, 28
	v_add_co_ci_u32_e64 v11, null, 0, v1, vcc_lo
	v_mul_lo_u32 v13, s11, v10
	v_mul_lo_u32 v12, s10, v11
	v_mad_u64_u32 v[10:11], null, s10, v10, 0
	v_add3_u32 v11, v11, v12, v13
	v_add_co_u32 v12, vcc_lo, v0, 27
	v_add_co_ci_u32_e64 v13, null, 0, v1, vcc_lo
	v_mul_lo_u32 v15, s11, v12
	v_mul_lo_u32 v14, s10, v13
	v_mad_u64_u32 v[12:13], null, s10, v12, 0
	v_add3_u32 v13, v13, v14, v15
	v_add_co_u32 v14, vcc_lo, v0, 26
	v_add_co_ci_u32_e64 v15, null, 0, v1, vcc_lo
	v_mul_lo_u32 v17, s11, v14
	v_mul_lo_u32 v16, s10, v15
	v_mad_u64_u32 v[14:15], null, s10, v14, 0
	v_add3_u32 v15, v15, v16, v17
	v_add_co_u32 v16, vcc_lo, v0, 25
	v_add_co_ci_u32_e64 v17, null, 0, v1, vcc_lo
	v_mul_lo_u32 v19, s11, v16
	v_mul_lo_u32 v18, s10, v17
	v_mad_u64_u32 v[16:17], null, s10, v16, 0
	v_add3_u32 v17, v17, v18, v19
	v_add_co_u32 v18, vcc_lo, v0, 24
	v_add_co_ci_u32_e64 v19, null, 0, v1, vcc_lo
	v_mul_lo_u32 v21, s11, v18
	v_mul_lo_u32 v20, s10, v19
	v_mad_u64_u32 v[18:19], null, s10, v18, 0
	v_add3_u32 v19, v19, v20, v21
	v_add_co_u32 v20, vcc_lo, v0, 23
	v_add_co_ci_u32_e64 v21, null, 0, v1, vcc_lo
	v_mul_lo_u32 v23, s11, v20
	v_mul_lo_u32 v22, s10, v21
	v_mad_u64_u32 v[20:21], null, s10, v20, 0
	v_add3_u32 v21, v21, v22, v23
	v_add_co_u32 v22, vcc_lo, v0, 22
	v_add_co_ci_u32_e64 v23, null, 0, v1, vcc_lo
	v_mul_lo_u32 v25, s11, v22
	v_mul_lo_u32 v24, s10, v23
	v_mad_u64_u32 v[22:23], null, s10, v22, 0
	v_add3_u32 v23, v23, v24, v25
	v_add_co_u32 v24, vcc_lo, v0, 21
	v_add_co_ci_u32_e64 v25, null, 0, v1, vcc_lo
	v_mul_lo_u32 v27, s11, v24
	v_mul_lo_u32 v26, s10, v25
	v_mad_u64_u32 v[24:25], null, s10, v24, 0
	v_add3_u32 v25, v25, v26, v27
	v_add_co_u32 v26, vcc_lo, v0, 20
	v_add_co_ci_u32_e64 v27, null, 0, v1, vcc_lo
	v_mul_lo_u32 v29, s11, v26
	v_mul_lo_u32 v28, s10, v27
	v_mad_u64_u32 v[26:27], null, s10, v26, 0
	v_add3_u32 v27, v27, v28, v29
	v_add_co_u32 v28, vcc_lo, v0, 19
	v_add_co_ci_u32_e64 v29, null, 0, v1, vcc_lo
	v_mul_lo_u32 v31, s11, v28
	v_mul_lo_u32 v30, s10, v29
	v_mad_u64_u32 v[28:29], null, s10, v28, 0
	v_add3_u32 v29, v29, v30, v31
	v_add_co_u32 v30, vcc_lo, v0, 18
	v_add_co_ci_u32_e64 v31, null, 0, v1, vcc_lo
	v_mul_lo_u32 v33, s11, v30
	v_mul_lo_u32 v32, s10, v31
	v_mad_u64_u32 v[30:31], null, s10, v30, 0
	v_add3_u32 v31, v31, v32, v33
	v_add_co_u32 v32, vcc_lo, v0, 17
	v_add_co_ci_u32_e64 v33, null, 0, v1, vcc_lo
	v_mul_lo_u32 v159, s11, v32
	v_mul_lo_u32 v34, s10, v33
	v_mad_u64_u32 v[32:33], null, s10, v32, 0
	v_add3_u32 v33, v33, v34, v159
	v_add_co_u32 v34, vcc_lo, v0, 16
	v_add_co_ci_u32_e64 v159, null, 0, v1, vcc_lo
	v_mul_lo_u32 v162, s11, v34
	v_mul_lo_u32 v161, s10, v159
	v_mad_u64_u32 v[159:160], null, s10, v34, 0
	v_add_co_u32 v34, vcc_lo, v0, 15
	v_mul_lo_u32 v164, s11, v34
	v_add3_u32 v160, v160, v161, v162
	v_add_co_ci_u32_e64 v161, null, 0, v1, vcc_lo
	v_mul_lo_u32 v163, s10, v161
	v_mad_u64_u32 v[161:162], null, s10, v34, 0
	v_add_co_u32 v34, vcc_lo, v0, 14
	v_mad_u64_u32 v[168:169], null, s10, v34, 0
	v_add3_u32 v162, v162, v163, v164
	v_add_co_ci_u32_e64 v163, null, 0, v1, vcc_lo
	v_mul_lo_u32 v164, s11, v34
	v_add_co_u32 v34, vcc_lo, v0, 13
	v_mul_lo_u32 v163, s10, v163
	v_mad_u64_u32 v[170:171], null, s10, v34, 0
	v_add3_u32 v169, v169, v163, v164
	v_add_co_ci_u32_e64 v163, null, 0, v1, vcc_lo
	v_mul_lo_u32 v164, s11, v34
	v_add_co_u32 v34, vcc_lo, v0, 12
	v_mul_lo_u32 v163, s10, v163
	;; [unrolled: 6-line block ×11, first 2 shown]
	v_mad_u64_u32 v[190:191], null, s10, v34, 0
	v_add3_u32 v189, v189, v163, v164
	v_add_co_ci_u32_e64 v163, null, 0, v1, vcc_lo
	v_add_co_u32 v0, vcc_lo, v0, 2
	v_add_co_ci_u32_e64 v1, null, 0, v1, vcc_lo
	v_mul_lo_u32 v164, s11, v34
	v_mul_lo_u32 v34, s11, v0
	v_mad_u64_u32 v[193:194], null, s10, v0, 0
	v_mul_lo_u32 v1, s10, v1
	v_mul_lo_u32 v163, s10, v163
	v_add_co_u32 v197, vcc_lo, v2, s10
	v_add_co_ci_u32_e64 v198, null, s11, v3, vcc_lo
	v_add3_u32 v194, v194, v1, v34
	v_lshlrev_b64 v[0:1], 1, v[2:3]
	v_add3_u32 v191, v191, v163, v164
	v_add_co_u32 v164, vcc_lo, s12, v0
	v_add_co_ci_u32_e64 v165, null, s13, v1, vcc_lo
	v_add_co_u32 v166, vcc_lo, s14, v0
	v_add_co_ci_u32_e64 v167, null, s15, v1, vcc_lo
	v_lshlrev_b64 v[0:1], 1, v[4:5]
	v_mov_b32_e32 v4, v227
	v_add_co_u32 v2, vcc_lo, s12, v0
	buffer_store_dword v4, off, s[36:39], 0 offset:300 ; 4-byte Folded Spill
	buffer_store_dword v2, off, s[36:39], 0 ; 4-byte Folded Spill
	v_add_co_ci_u32_e64 v2, null, s13, v1, vcc_lo
	v_add_co_u32 v0, vcc_lo, s14, v0
	buffer_store_dword v2, off, s[36:39], 0 offset:4 ; 4-byte Folded Spill
	buffer_store_dword v0, off, s[36:39], 0 offset:8 ; 4-byte Folded Spill
	v_add_co_ci_u32_e64 v0, null, s15, v1, vcc_lo
	buffer_store_dword v0, off, s[36:39], 0 offset:12 ; 4-byte Folded Spill
	v_lshlrev_b64 v[0:1], 1, v[6:7]
	v_add_co_u32 v2, vcc_lo, s12, v0
	buffer_store_dword v2, off, s[36:39], 0 offset:16 ; 4-byte Folded Spill
	v_add_co_ci_u32_e64 v2, null, s13, v1, vcc_lo
	v_add_co_u32 v0, vcc_lo, s14, v0
	buffer_store_dword v2, off, s[36:39], 0 offset:20 ; 4-byte Folded Spill
	buffer_store_dword v0, off, s[36:39], 0 offset:24 ; 4-byte Folded Spill
	v_add_co_ci_u32_e64 v0, null, s15, v1, vcc_lo
	buffer_store_dword v0, off, s[36:39], 0 offset:28 ; 4-byte Folded Spill
	v_lshlrev_b64 v[0:1], 1, v[8:9]
	v_add_co_u32 v2, vcc_lo, s12, v0
	buffer_store_dword v2, off, s[36:39], 0 offset:32 ; 4-byte Folded Spill
	;; [unrolled: 9-line block ×14, first 2 shown]
	v_add_co_ci_u32_e64 v2, null, s13, v1, vcc_lo
	v_add_co_u32 v226, vcc_lo, s14, v0
	v_add_co_ci_u32_e64 v227, null, s15, v1, vcc_lo
	v_lshlrev_b64 v[0:1], 1, v[159:160]
	buffer_store_dword v2, off, s[36:39], 0 offset:228 ; 4-byte Folded Spill
	v_add_co_u32 v228, vcc_lo, s12, v0
	v_add_co_ci_u32_e64 v229, null, s13, v1, vcc_lo
	v_add_co_u32 v230, vcc_lo, s14, v0
	v_add_co_ci_u32_e64 v231, null, s15, v1, vcc_lo
	v_lshlrev_b64 v[0:1], 1, v[161:162]
	v_add_co_u32 v232, vcc_lo, s12, v0
	v_add_co_ci_u32_e64 v233, null, s13, v1, vcc_lo
	v_add_co_u32 v234, vcc_lo, s14, v0
	v_add_co_ci_u32_e64 v235, null, s15, v1, vcc_lo
	v_lshlrev_b64 v[0:1], 1, v[168:169]
	;; [unrolled: 5-line block ×15, first 2 shown]
	v_add_co_u32 v197, vcc_lo, s12, v2
	v_add_co_ci_u32_e64 v198, null, s13, v3, vcc_lo
	v_add_co_u32 v199, vcc_lo, s14, v2
	v_mov_b32_e32 v2, 0
	v_add_co_ci_u32_e64 v200, null, s15, v3, vcc_lo
	v_add_nc_u32_e32 v3, s7, v4
	s_mul_i32 s7, s11, s1
	v_mov_b32_e32 v4, v2
	s_mul_hi_u32 s12, s10, s1
	v_mov_b32_e32 v202, v2
	s_add_i32 s13, s12, s7
	s_mul_i32 s12, s10, s1
	v_lshlrev_b64 v[159:160], 1, v[3:4]
	s_lshl_b64 s[12:13], s[12:13], 1
	s_mov_b64 s[14:15], 31
.LBB74_145:                             ; =>This Inner Loop Header: Depth=1
	s_add_u32 s24, s20, s14
	s_addc_u32 s25, 0, s15
	v_add_co_u32 v161, vcc_lo, s20, v225
	v_cmp_ge_i64_e64 s7, s[24:25], s[8:9]
	v_add_co_ci_u32_e64 v162, null, 0, v202, vcc_lo
                                        ; implicit-def: $vgpr201
                                        ; implicit-def: $vgpr203
	s_and_b32 vcc_lo, exec_lo, s7
	s_mov_b32 s7, -1
	s_cbranch_vccz .LBB74_213
; %bb.146:                              ;   in Loop: Header=BB74_145 Depth=1
	s_load_dword s7, s[2:3], 0xc
	s_clause 0x2
	buffer_load_dword v3, off, s[36:39], 0 offset:292
	buffer_load_dword v4, off, s[36:39], 0 offset:296
	;; [unrolled: 1-line block ×3, first 2 shown]
	v_mov_b32_e32 v5, 0
	v_mov_b32_e32 v201, 0
	;; [unrolled: 1-line block ×3, first 2 shown]
	buffer_store_dword v5, off, s[36:39], 0 offset:232 ; 4-byte Folded Spill
	s_waitcnt lgkmcnt(0)
	s_and_b32 s7, s7, 0xffff
	s_waitcnt vmcnt(0)
	v_mad_u32_u24 v3, v3, s7, v4
	s_mov_b32 s7, exec_lo
	v_and_b32_e32 v3, 31, v3
	v_add_co_u32 v3, vcc_lo, v161, v3
	v_add_co_ci_u32_e64 v4, null, 0, v162, vcc_lo
	v_cmpx_gt_i64_e64 s[8:9], v[3:4]
	s_cbranch_execz .LBB74_148
; %bb.147:                              ;   in Loop: Header=BB74_145 Depth=1
	v_lshlrev_b64 v[3:4], 2, v[3:4]
	v_add_co_u32 v5, vcc_lo, s16, v3
	v_add_co_ci_u32_e64 v6, null, s17, v4, vcc_lo
	v_add_co_u32 v3, vcc_lo, s18, v3
	v_add_co_ci_u32_e64 v4, null, s19, v4, vcc_lo
	global_load_dword v205, v[5:6], off
	global_load_dword v201, v[3:4], off
.LBB74_148:                             ;   in Loop: Header=BB74_145 Depth=1
	s_or_b32 exec_lo, exec_lo, s7
	v_mov_b32_e32 v33, v2
	v_mov_b32_e32 v3, v2
	;; [unrolled: 1-line block ×63, first 2 shown]
	s_mov_b32 s7, exec_lo
	v_cmpx_gt_i64_e64 s[8:9], v[161:162]
	s_cbranch_execz .LBB74_150
; %bb.149:                              ;   in Loop: Header=BB74_145 Depth=1
	v_add_co_u32 v3, vcc_lo, v164, v159
	v_add_co_ci_u32_e64 v4, null, v165, v160, vcc_lo
	v_add_co_u32 v5, vcc_lo, v166, v159
	v_add_co_ci_u32_e64 v6, null, v167, v160, vcc_lo
	global_load_ushort v3, v[3:4], off
	global_load_ushort v203, v[5:6], off
	v_mov_b32_e32 v4, v2
	v_mov_b32_e32 v5, v2
	;; [unrolled: 1-line block ×31, first 2 shown]
	s_waitcnt vmcnt(1)
	v_cvt_f32_f16_e32 v3, v3
	s_waitcnt vmcnt(0)
	v_cvt_f32_f16_e32 v203, v203
	buffer_store_dword v203, off, s[36:39], 0 offset:232 ; 4-byte Folded Spill
.LBB74_150:                             ;   in Loop: Header=BB74_145 Depth=1
	s_or_b32 exec_lo, exec_lo, s7
	v_mov_b32_e32 v203, 0
	v_add_co_u32 v206, vcc_lo, v161, 1
	v_add_co_ci_u32_e64 v207, null, 0, v162, vcc_lo
	buffer_store_dword v203, off, s[36:39], 0 offset:236 ; 4-byte Folded Spill
	v_mov_b32_e32 v203, 0
	s_mov_b32 s7, exec_lo
	buffer_store_dword v203, off, s[36:39], 0 offset:240 ; 4-byte Folded Spill
	v_cmpx_gt_i64_e64 s[8:9], v[206:207]
	s_cbranch_execz .LBB74_152
; %bb.151:                              ;   in Loop: Header=BB74_145 Depth=1
	v_add_co_u32 v206, vcc_lo, v197, v159
	v_add_co_ci_u32_e64 v207, null, v198, v160, vcc_lo
	v_add_co_u32 v208, vcc_lo, v199, v159
	v_add_co_ci_u32_e64 v209, null, v200, v160, vcc_lo
	global_load_ushort v4, v[206:207], off
	global_load_ushort v203, v[208:209], off
	s_waitcnt vmcnt(1)
	v_cvt_f32_f16_e32 v4, v4
	s_waitcnt vmcnt(0)
	v_cvt_f32_f16_e32 v203, v203
	buffer_store_dword v203, off, s[36:39], 0 offset:240 ; 4-byte Folded Spill
.LBB74_152:                             ;   in Loop: Header=BB74_145 Depth=1
	s_or_b32 exec_lo, exec_lo, s7
	v_add_co_u32 v206, vcc_lo, v161, 2
	v_add_co_ci_u32_e64 v207, null, 0, v162, vcc_lo
	s_mov_b32 s7, exec_lo
	v_cmpx_gt_i64_e64 s[8:9], v[206:207]
	s_cbranch_execz .LBB74_154
; %bb.153:                              ;   in Loop: Header=BB74_145 Depth=1
	v_add_co_u32 v206, vcc_lo, v193, v159
	v_add_co_ci_u32_e64 v207, null, v194, v160, vcc_lo
	v_add_co_u32 v208, vcc_lo, v195, v159
	v_add_co_ci_u32_e64 v209, null, v196, v160, vcc_lo
	global_load_ushort v5, v[206:207], off
	global_load_ushort v206, v[208:209], off
	s_waitcnt vmcnt(1)
	v_cvt_f32_f16_e32 v5, v5
	s_waitcnt vmcnt(0)
	v_cvt_f32_f16_e32 v203, v206
	buffer_store_dword v203, off, s[36:39], 0 offset:236 ; 4-byte Folded Spill
.LBB74_154:                             ;   in Loop: Header=BB74_145 Depth=1
	s_or_b32 exec_lo, exec_lo, s7
	v_mov_b32_e32 v203, 0
	v_add_co_u32 v206, vcc_lo, v161, 3
	v_add_co_ci_u32_e64 v207, null, 0, v162, vcc_lo
	buffer_store_dword v203, off, s[36:39], 0 offset:244 ; 4-byte Folded Spill
	v_mov_b32_e32 v203, 0
	s_mov_b32 s7, exec_lo
	buffer_store_dword v203, off, s[36:39], 0 offset:248 ; 4-byte Folded Spill
	v_cmpx_gt_i64_e64 s[8:9], v[206:207]
	s_cbranch_execz .LBB74_156
; %bb.155:                              ;   in Loop: Header=BB74_145 Depth=1
	v_add_co_u32 v206, vcc_lo, v189, v159
	v_add_co_ci_u32_e64 v207, null, v190, v160, vcc_lo
	v_add_co_u32 v208, vcc_lo, v191, v159
	v_add_co_ci_u32_e64 v209, null, v192, v160, vcc_lo
	global_load_ushort v6, v[206:207], off
	global_load_ushort v206, v[208:209], off
	s_waitcnt vmcnt(1)
	v_cvt_f32_f16_e32 v6, v6
	s_waitcnt vmcnt(0)
	v_cvt_f32_f16_e32 v203, v206
	buffer_store_dword v203, off, s[36:39], 0 offset:248 ; 4-byte Folded Spill
.LBB74_156:                             ;   in Loop: Header=BB74_145 Depth=1
	s_or_b32 exec_lo, exec_lo, s7
	v_add_co_u32 v206, vcc_lo, v161, 4
	v_add_co_ci_u32_e64 v207, null, 0, v162, vcc_lo
	s_mov_b32 s7, exec_lo
	v_cmpx_gt_i64_e64 s[8:9], v[206:207]
	s_cbranch_execz .LBB74_158
; %bb.157:                              ;   in Loop: Header=BB74_145 Depth=1
	v_add_co_u32 v206, vcc_lo, v185, v159
	v_add_co_ci_u32_e64 v207, null, v186, v160, vcc_lo
	v_add_co_u32 v208, vcc_lo, v187, v159
	v_add_co_ci_u32_e64 v209, null, v188, v160, vcc_lo
	global_load_ushort v7, v[206:207], off
	global_load_ushort v206, v[208:209], off
	s_waitcnt vmcnt(1)
	v_cvt_f32_f16_e32 v7, v7
	s_waitcnt vmcnt(0)
	v_cvt_f32_f16_e32 v203, v206
	buffer_store_dword v203, off, s[36:39], 0 offset:244 ; 4-byte Folded Spill
.LBB74_158:                             ;   in Loop: Header=BB74_145 Depth=1
	;; [unrolled: 42-line block ×7, first 2 shown]
	s_or_b32 exec_lo, exec_lo, s7
	v_add_co_u32 v206, vcc_lo, v161, 15
	v_add_co_ci_u32_e64 v207, null, 0, v162, vcc_lo
	v_mov_b32_e32 v208, 0
	v_cmp_gt_i64_e32 vcc_lo, s[8:9], v[206:207]
	v_mov_b32_e32 v207, 0
	s_and_saveexec_b32 s7, vcc_lo
	s_cbranch_execz .LBB74_180
; %bb.179:                              ;   in Loop: Header=BB74_145 Depth=1
	v_add_co_u32 v208, vcc_lo, v232, v159
	v_add_co_ci_u32_e64 v209, null, v233, v160, vcc_lo
	v_add_co_u32 v210, vcc_lo, v234, v159
	v_add_co_ci_u32_e64 v211, null, v235, v160, vcc_lo
	global_load_ushort v18, v[208:209], off
	global_load_ushort v206, v[210:211], off
	s_waitcnt vmcnt(1)
	v_cvt_f32_f16_e32 v18, v18
	s_waitcnt vmcnt(0)
	v_cvt_f32_f16_e32 v208, v206
.LBB74_180:                             ;   in Loop: Header=BB74_145 Depth=1
	s_or_b32 exec_lo, exec_lo, s7
	v_add_co_u32 v209, vcc_lo, v161, 16
	v_add_co_ci_u32_e64 v210, null, 0, v162, vcc_lo
	s_mov_b32 s7, exec_lo
	v_cmpx_gt_i64_e64 s[8:9], v[209:210]
	s_cbranch_execz .LBB74_182
; %bb.181:                              ;   in Loop: Header=BB74_145 Depth=1
	v_add_co_u32 v206, vcc_lo, v228, v159
	v_add_co_ci_u32_e64 v207, null, v229, v160, vcc_lo
	v_add_co_u32 v209, vcc_lo, v230, v159
	v_add_co_ci_u32_e64 v210, null, v231, v160, vcc_lo
	global_load_ushort v19, v[206:207], off
	global_load_ushort v206, v[209:210], off
	s_waitcnt vmcnt(1)
	v_cvt_f32_f16_e32 v19, v19
	s_waitcnt vmcnt(0)
	v_cvt_f32_f16_e32 v207, v206
.LBB74_182:                             ;   in Loop: Header=BB74_145 Depth=1
	s_or_b32 exec_lo, exec_lo, s7
	v_add_co_u32 v209, vcc_lo, v161, 17
	v_add_co_ci_u32_e64 v210, null, 0, v162, vcc_lo
	v_cmp_gt_i64_e32 vcc_lo, s[8:9], v[209:210]
	v_mov_b32_e32 v209, 0
	v_mov_b32_e32 v210, 0
	s_and_saveexec_b32 s7, vcc_lo
	s_cbranch_execz .LBB74_184
; %bb.183:                              ;   in Loop: Header=BB74_145 Depth=1
	buffer_load_dword v20, off, s[36:39], 0 offset:224 ; 4-byte Folded Reload
	s_waitcnt vmcnt(0)
	v_add_co_u32 v210, vcc_lo, v20, v159
	buffer_load_dword v20, off, s[36:39], 0 offset:228 ; 4-byte Folded Reload
	s_waitcnt vmcnt(0)
	v_add_co_ci_u32_e64 v211, null, v20, v160, vcc_lo
	v_add_co_u32 v212, vcc_lo, v226, v159
	v_add_co_ci_u32_e64 v213, null, v227, v160, vcc_lo
	global_load_ushort v20, v[210:211], off
	global_load_ushort v206, v[212:213], off
	s_waitcnt vmcnt(1)
	v_cvt_f32_f16_e32 v20, v20
	s_waitcnt vmcnt(0)
	v_cvt_f32_f16_e32 v210, v206
.LBB74_184:                             ;   in Loop: Header=BB74_145 Depth=1
	s_or_b32 exec_lo, exec_lo, s7
	v_add_co_u32 v211, vcc_lo, v161, 18
	v_add_co_ci_u32_e64 v212, null, 0, v162, vcc_lo
	s_mov_b32 s7, exec_lo
	v_cmpx_gt_i64_e64 s[8:9], v[211:212]
	s_cbranch_execz .LBB74_186
; %bb.185:                              ;   in Loop: Header=BB74_145 Depth=1
	buffer_load_dword v21, off, s[36:39], 0 offset:208 ; 4-byte Folded Reload
	s_waitcnt vmcnt(0)
	v_add_co_u32 v211, vcc_lo, v21, v159
	buffer_load_dword v21, off, s[36:39], 0 offset:212 ; 4-byte Folded Reload
	s_waitcnt vmcnt(0)
	v_add_co_ci_u32_e64 v212, null, v21, v160, vcc_lo
	buffer_load_dword v21, off, s[36:39], 0 offset:216 ; 4-byte Folded Reload
	s_waitcnt vmcnt(0)
	v_add_co_u32 v213, vcc_lo, v21, v159
	buffer_load_dword v21, off, s[36:39], 0 offset:220 ; 4-byte Folded Reload
	s_waitcnt vmcnt(0)
	v_add_co_ci_u32_e64 v214, null, v21, v160, vcc_lo
	global_load_ushort v21, v[211:212], off
	global_load_ushort v206, v[213:214], off
	s_waitcnt vmcnt(1)
	v_cvt_f32_f16_e32 v21, v21
	s_waitcnt vmcnt(0)
	v_cvt_f32_f16_e32 v209, v206
.LBB74_186:                             ;   in Loop: Header=BB74_145 Depth=1
	s_or_b32 exec_lo, exec_lo, s7
	v_add_co_u32 v211, vcc_lo, v161, 19
	v_add_co_ci_u32_e64 v212, null, 0, v162, vcc_lo
	v_mov_b32_e32 v206, 0
	v_cmp_gt_i64_e32 vcc_lo, s[8:9], v[211:212]
	v_mov_b32_e32 v211, 0
	s_and_saveexec_b32 s7, vcc_lo
	s_cbranch_execz .LBB74_188
; %bb.187:                              ;   in Loop: Header=BB74_145 Depth=1
	buffer_load_dword v22, off, s[36:39], 0 offset:192 ; 4-byte Folded Reload
	s_waitcnt vmcnt(0)
	v_add_co_u32 v211, vcc_lo, v22, v159
	buffer_load_dword v22, off, s[36:39], 0 offset:196 ; 4-byte Folded Reload
	s_waitcnt vmcnt(0)
	v_add_co_ci_u32_e64 v212, null, v22, v160, vcc_lo
	buffer_load_dword v22, off, s[36:39], 0 offset:200 ; 4-byte Folded Reload
	s_waitcnt vmcnt(0)
	v_add_co_u32 v213, vcc_lo, v22, v159
	buffer_load_dword v22, off, s[36:39], 0 offset:204 ; 4-byte Folded Reload
	s_waitcnt vmcnt(0)
	v_add_co_ci_u32_e64 v214, null, v22, v160, vcc_lo
	global_load_ushort v22, v[211:212], off
	global_load_ushort v211, v[213:214], off
	s_waitcnt vmcnt(1)
	v_cvt_f32_f16_e32 v22, v22
	s_waitcnt vmcnt(0)
	v_cvt_f32_f16_e32 v211, v211
.LBB74_188:                             ;   in Loop: Header=BB74_145 Depth=1
	s_or_b32 exec_lo, exec_lo, s7
	v_add_co_u32 v212, vcc_lo, v161, 20
	v_add_co_ci_u32_e64 v213, null, 0, v162, vcc_lo
	s_mov_b32 s7, exec_lo
	v_cmpx_gt_i64_e64 s[8:9], v[212:213]
	s_cbranch_execz .LBB74_190
; %bb.189:                              ;   in Loop: Header=BB74_145 Depth=1
	buffer_load_dword v23, off, s[36:39], 0 offset:176 ; 4-byte Folded Reload
	s_waitcnt vmcnt(0)
	v_add_co_u32 v212, vcc_lo, v23, v159
	buffer_load_dword v23, off, s[36:39], 0 offset:180 ; 4-byte Folded Reload
	s_waitcnt vmcnt(0)
	v_add_co_ci_u32_e64 v213, null, v23, v160, vcc_lo
	buffer_load_dword v23, off, s[36:39], 0 offset:184 ; 4-byte Folded Reload
	s_waitcnt vmcnt(0)
	v_add_co_u32 v214, vcc_lo, v23, v159
	buffer_load_dword v23, off, s[36:39], 0 offset:188 ; 4-byte Folded Reload
	s_waitcnt vmcnt(0)
	v_add_co_ci_u32_e64 v215, null, v23, v160, vcc_lo
	global_load_ushort v23, v[212:213], off
	global_load_ushort v206, v[214:215], off
	s_waitcnt vmcnt(1)
	v_cvt_f32_f16_e32 v23, v23
	s_waitcnt vmcnt(0)
	v_cvt_f32_f16_e32 v206, v206
.LBB74_190:                             ;   in Loop: Header=BB74_145 Depth=1
	s_or_b32 exec_lo, exec_lo, s7
	v_add_co_u32 v212, vcc_lo, v161, 21
	v_add_co_ci_u32_e64 v213, null, 0, v162, vcc_lo
	v_mov_b32_e32 v215, 0
	v_cmp_gt_i64_e32 vcc_lo, s[8:9], v[212:213]
	v_mov_b32_e32 v213, 0
	s_and_saveexec_b32 s7, vcc_lo
	s_cbranch_execz .LBB74_192
; %bb.191:                              ;   in Loop: Header=BB74_145 Depth=1
	buffer_load_dword v24, off, s[36:39], 0 offset:160 ; 4-byte Folded Reload
	s_waitcnt vmcnt(0)
	v_add_co_u32 v214, vcc_lo, v24, v159
	buffer_load_dword v24, off, s[36:39], 0 offset:164 ; 4-byte Folded Reload
	s_waitcnt vmcnt(0)
	v_add_co_ci_u32_e64 v215, null, v24, v160, vcc_lo
	buffer_load_dword v24, off, s[36:39], 0 offset:168 ; 4-byte Folded Reload
	s_waitcnt vmcnt(0)
	v_add_co_u32 v216, vcc_lo, v24, v159
	buffer_load_dword v24, off, s[36:39], 0 offset:172 ; 4-byte Folded Reload
	s_waitcnt vmcnt(0)
	v_add_co_ci_u32_e64 v217, null, v24, v160, vcc_lo
	global_load_ushort v24, v[214:215], off
	global_load_ushort v212, v[216:217], off
	s_waitcnt vmcnt(1)
	v_cvt_f32_f16_e32 v24, v24
	s_waitcnt vmcnt(0)
	v_cvt_f32_f16_e32 v215, v212
.LBB74_192:                             ;   in Loop: Header=BB74_145 Depth=1
	;; [unrolled: 54-line block ×3, first 2 shown]
	s_or_b32 exec_lo, exec_lo, s7
	v_add_co_u32 v219, vcc_lo, v161, 24
	v_add_co_ci_u32_e64 v220, null, 0, v162, vcc_lo
	s_mov_b32 s7, exec_lo
	v_cmpx_gt_i64_e64 s[8:9], v[219:220]
	s_cbranch_execz .LBB74_198
; %bb.197:                              ;   in Loop: Header=BB74_145 Depth=1
	buffer_load_dword v27, off, s[36:39], 0 offset:112 ; 4-byte Folded Reload
	s_waitcnt vmcnt(0)
	v_add_co_u32 v216, vcc_lo, v27, v159
	buffer_load_dword v27, off, s[36:39], 0 offset:116 ; 4-byte Folded Reload
	s_waitcnt vmcnt(0)
	v_add_co_ci_u32_e64 v217, null, v27, v160, vcc_lo
	buffer_load_dword v27, off, s[36:39], 0 offset:120 ; 4-byte Folded Reload
	s_waitcnt vmcnt(0)
	v_add_co_u32 v219, vcc_lo, v27, v159
	buffer_load_dword v27, off, s[36:39], 0 offset:124 ; 4-byte Folded Reload
	s_waitcnt vmcnt(0)
	v_add_co_ci_u32_e64 v220, null, v27, v160, vcc_lo
	global_load_ushort v27, v[216:217], off
	global_load_ushort v212, v[219:220], off
	s_waitcnt vmcnt(1)
	v_cvt_f32_f16_e32 v27, v27
	s_waitcnt vmcnt(0)
	v_cvt_f32_f16_e32 v216, v212
.LBB74_198:                             ;   in Loop: Header=BB74_145 Depth=1
	s_or_b32 exec_lo, exec_lo, s7
	v_add_co_u32 v219, vcc_lo, v161, 25
	v_add_co_ci_u32_e64 v220, null, 0, v162, vcc_lo
	v_mov_b32_e32 v221, 0
	v_cmp_gt_i64_e32 vcc_lo, s[8:9], v[219:220]
	v_mov_b32_e32 v220, 0
	s_mov_b32 s7, exec_lo
	s_and_b32 s21, s7, vcc_lo
	buffer_store_dword v223, off, s[36:39], 0 offset:304 ; 4-byte Folded Spill
	s_mov_b32 exec_lo, s21
	s_cbranch_execz .LBB74_200
; %bb.199:                              ;   in Loop: Header=BB74_145 Depth=1
	buffer_load_dword v28, off, s[36:39], 0 offset:96 ; 4-byte Folded Reload
	s_waitcnt vmcnt(0)
	v_add_co_u32 v221, vcc_lo, v28, v159
	buffer_load_dword v28, off, s[36:39], 0 offset:100 ; 4-byte Folded Reload
	s_waitcnt vmcnt(0)
	v_add_co_ci_u32_e64 v222, null, v28, v160, vcc_lo
	buffer_load_dword v28, off, s[36:39], 0 offset:104 ; 4-byte Folded Reload
	s_waitcnt vmcnt(0)
	v_add_co_u32 v223, vcc_lo, v28, v159
	buffer_load_dword v28, off, s[36:39], 0 offset:108 ; 4-byte Folded Reload
	s_waitcnt vmcnt(0)
	v_add_co_ci_u32_e64 v224, null, v28, v160, vcc_lo
	global_load_ushort v28, v[221:222], off
	global_load_ushort v212, v[223:224], off
	s_waitcnt vmcnt(1)
	v_cvt_f32_f16_e32 v28, v28
	s_waitcnt vmcnt(0)
	v_cvt_f32_f16_e32 v221, v212
.LBB74_200:                             ;   in Loop: Header=BB74_145 Depth=1
	s_or_b32 exec_lo, exec_lo, s7
	v_add_co_u32 v222, vcc_lo, v161, 26
	v_add_co_ci_u32_e64 v223, null, 0, v162, vcc_lo
	s_mov_b32 s7, exec_lo
	v_cmpx_gt_i64_e64 s[8:9], v[222:223]
	s_cbranch_execz .LBB74_202
; %bb.201:                              ;   in Loop: Header=BB74_145 Depth=1
	buffer_load_dword v29, off, s[36:39], 0 offset:80 ; 4-byte Folded Reload
	s_waitcnt vmcnt(0)
	v_add_co_u32 v219, vcc_lo, v29, v159
	buffer_load_dword v29, off, s[36:39], 0 offset:84 ; 4-byte Folded Reload
	s_waitcnt vmcnt(0)
	v_add_co_ci_u32_e64 v220, null, v29, v160, vcc_lo
	buffer_load_dword v29, off, s[36:39], 0 offset:88 ; 4-byte Folded Reload
	s_waitcnt vmcnt(0)
	v_add_co_u32 v222, vcc_lo, v29, v159
	buffer_load_dword v29, off, s[36:39], 0 offset:92 ; 4-byte Folded Reload
	s_waitcnt vmcnt(0)
	v_add_co_ci_u32_e64 v223, null, v29, v160, vcc_lo
	global_load_ushort v29, v[219:220], off
	global_load_ushort v212, v[222:223], off
	s_waitcnt vmcnt(1)
	v_cvt_f32_f16_e32 v29, v29
	s_waitcnt vmcnt(0)
	v_cvt_f32_f16_e32 v220, v212
.LBB74_202:                             ;   in Loop: Header=BB74_145 Depth=1
	s_or_b32 exec_lo, exec_lo, s7
	v_add_co_u32 v222, vcc_lo, v161, 27
	v_add_co_ci_u32_e64 v223, null, 0, v162, vcc_lo
	v_mov_b32_e32 v212, 0
	v_mov_b32_e32 v214, 0
	v_cmp_gt_i64_e32 vcc_lo, s[8:9], v[222:223]
	s_mov_b32 s7, exec_lo
	v_mov_b32_e32 v203, v225
	s_and_b32 s21, s7, vcc_lo
	s_mov_b32 exec_lo, s21
	s_cbranch_execz .LBB74_204
; %bb.203:                              ;   in Loop: Header=BB74_145 Depth=1
	buffer_load_dword v30, off, s[36:39], 0 offset:64 ; 4-byte Folded Reload
	s_waitcnt vmcnt(0)
	v_add_co_u32 v222, vcc_lo, v30, v159
	buffer_load_dword v30, off, s[36:39], 0 offset:68 ; 4-byte Folded Reload
	s_waitcnt vmcnt(0)
	v_add_co_ci_u32_e64 v223, null, v30, v160, vcc_lo
	buffer_load_dword v30, off, s[36:39], 0 offset:72 ; 4-byte Folded Reload
	s_waitcnt vmcnt(0)
	v_add_co_u32 v224, vcc_lo, v30, v159
	buffer_load_dword v30, off, s[36:39], 0 offset:76 ; 4-byte Folded Reload
	s_waitcnt vmcnt(0)
	v_add_co_ci_u32_e64 v225, null, v30, v160, vcc_lo
	global_load_ushort v30, v[222:223], off
	global_load_ushort v214, v[224:225], off
	v_mov_b32_e32 v225, v203
	s_waitcnt vmcnt(1)
	v_cvt_f32_f16_e32 v30, v30
	s_waitcnt vmcnt(0)
	v_cvt_f32_f16_e32 v214, v214
.LBB74_204:                             ;   in Loop: Header=BB74_145 Depth=1
	s_or_b32 exec_lo, exec_lo, s7
	v_add_co_u32 v222, vcc_lo, v161, 28
	v_add_co_ci_u32_e64 v223, null, 0, v162, vcc_lo
	s_mov_b32 s7, exec_lo
	v_cmpx_gt_i64_e64 s[8:9], v[222:223]
	s_cbranch_execz .LBB74_206
; %bb.205:                              ;   in Loop: Header=BB74_145 Depth=1
	buffer_load_dword v31, off, s[36:39], 0 offset:48 ; 4-byte Folded Reload
	s_waitcnt vmcnt(0)
	v_add_co_u32 v222, vcc_lo, v31, v159
	buffer_load_dword v31, off, s[36:39], 0 offset:52 ; 4-byte Folded Reload
	s_waitcnt vmcnt(0)
	v_add_co_ci_u32_e64 v223, null, v31, v160, vcc_lo
	buffer_load_dword v31, off, s[36:39], 0 offset:56 ; 4-byte Folded Reload
	s_waitcnt vmcnt(0)
	v_add_co_u32 v224, vcc_lo, v31, v159
	buffer_load_dword v31, off, s[36:39], 0 offset:60 ; 4-byte Folded Reload
	s_waitcnt vmcnt(0)
	v_add_co_ci_u32_e64 v225, null, v31, v160, vcc_lo
	global_load_ushort v31, v[222:223], off
	global_load_ushort v212, v[224:225], off
	v_mov_b32_e32 v225, v203
	s_waitcnt vmcnt(1)
	v_cvt_f32_f16_e32 v31, v31
	s_waitcnt vmcnt(0)
	v_cvt_f32_f16_e32 v212, v212
.LBB74_206:                             ;   in Loop: Header=BB74_145 Depth=1
	s_or_b32 exec_lo, exec_lo, s7
	v_add_co_u32 v222, vcc_lo, v161, 29
	v_add_co_ci_u32_e64 v223, null, 0, v162, vcc_lo
	v_mov_b32_e32 v217, 0
	v_mov_b32_e32 v219, 0
	s_mov_b32 s7, exec_lo
	v_cmpx_gt_i64_e64 s[8:9], v[222:223]
	s_cbranch_execz .LBB74_208
; %bb.207:                              ;   in Loop: Header=BB74_145 Depth=1
	buffer_load_dword v32, off, s[36:39], 0 offset:32 ; 4-byte Folded Reload
	s_waitcnt vmcnt(0)
	v_add_co_u32 v222, vcc_lo, v32, v159
	buffer_load_dword v32, off, s[36:39], 0 offset:36 ; 4-byte Folded Reload
	s_waitcnt vmcnt(0)
	v_add_co_ci_u32_e64 v223, null, v32, v160, vcc_lo
	buffer_load_dword v32, off, s[36:39], 0 offset:40 ; 4-byte Folded Reload
	s_waitcnt vmcnt(0)
	v_add_co_u32 v224, vcc_lo, v32, v159
	buffer_load_dword v32, off, s[36:39], 0 offset:44 ; 4-byte Folded Reload
	s_waitcnt vmcnt(0)
	v_add_co_ci_u32_e64 v225, null, v32, v160, vcc_lo
	global_load_ushort v32, v[222:223], off
	global_load_ushort v219, v[224:225], off
	v_mov_b32_e32 v225, v203
	s_waitcnt vmcnt(1)
	v_cvt_f32_f16_e32 v32, v32
	s_waitcnt vmcnt(0)
	v_cvt_f32_f16_e32 v219, v219
.LBB74_208:                             ;   in Loop: Header=BB74_145 Depth=1
	s_or_b32 exec_lo, exec_lo, s7
	v_add_co_u32 v222, vcc_lo, v161, 30
	v_add_co_ci_u32_e64 v223, null, 0, v162, vcc_lo
	s_mov_b32 s7, exec_lo
	v_cmpx_gt_i64_e64 s[8:9], v[222:223]
	s_cbranch_execz .LBB74_210
; %bb.209:                              ;   in Loop: Header=BB74_145 Depth=1
	buffer_load_dword v33, off, s[36:39], 0 offset:16 ; 4-byte Folded Reload
	s_waitcnt vmcnt(0)
	v_add_co_u32 v222, vcc_lo, v33, v159
	buffer_load_dword v33, off, s[36:39], 0 offset:20 ; 4-byte Folded Reload
	s_waitcnt vmcnt(0)
	v_add_co_ci_u32_e64 v223, null, v33, v160, vcc_lo
	buffer_load_dword v33, off, s[36:39], 0 offset:24 ; 4-byte Folded Reload
	s_waitcnt vmcnt(0)
	v_add_co_u32 v224, vcc_lo, v33, v159
	buffer_load_dword v33, off, s[36:39], 0 offset:28 ; 4-byte Folded Reload
	s_waitcnt vmcnt(0)
	v_add_co_ci_u32_e64 v225, null, v33, v160, vcc_lo
	global_load_ushort v33, v[222:223], off
	global_load_ushort v217, v[224:225], off
	v_mov_b32_e32 v225, v203
	s_waitcnt vmcnt(1)
	v_cvt_f32_f16_e32 v33, v33
	s_waitcnt vmcnt(0)
	v_cvt_f32_f16_e32 v217, v217
.LBB74_210:                             ;   in Loop: Header=BB74_145 Depth=1
	s_or_b32 exec_lo, exec_lo, s7
	v_add_co_u32 v222, vcc_lo, v161, 31
	v_add_co_ci_u32_e64 v223, null, 0, v162, vcc_lo
	v_cmp_gt_i64_e32 vcc_lo, s[8:9], v[222:223]
	v_mov_b32_e32 v222, 0
	s_and_saveexec_b32 s7, vcc_lo
	s_cbranch_execz .LBB74_212
; %bb.211:                              ;   in Loop: Header=BB74_145 Depth=1
	buffer_load_dword v34, off, s[36:39], 0 ; 4-byte Folded Reload
	s_waitcnt vmcnt(0)
	v_add_co_u32 v222, vcc_lo, v34, v159
	buffer_load_dword v34, off, s[36:39], 0 offset:4 ; 4-byte Folded Reload
	s_waitcnt vmcnt(0)
	v_add_co_ci_u32_e64 v223, null, v34, v160, vcc_lo
	buffer_load_dword v34, off, s[36:39], 0 offset:8 ; 4-byte Folded Reload
	s_waitcnt vmcnt(0)
	v_add_co_u32 v224, vcc_lo, v34, v159
	buffer_load_dword v34, off, s[36:39], 0 offset:12 ; 4-byte Folded Reload
	s_waitcnt vmcnt(0)
	v_add_co_ci_u32_e64 v225, null, v34, v160, vcc_lo
	global_load_ushort v34, v[222:223], off
	global_load_ushort v222, v[224:225], off
	v_mov_b32_e32 v225, v203
	s_waitcnt vmcnt(1)
	v_cvt_f32_f16_e32 v34, v34
	s_waitcnt vmcnt(0)
	v_cvt_f32_f16_e32 v222, v222
.LBB74_212:                             ;   in Loop: Header=BB74_145 Depth=1
	s_or_b32 exec_lo, exec_lo, s7
	buffer_load_dword v203, off, s[36:39], 0 offset:232 ; 4-byte Folded Reload
	s_waitcnt vmcnt(2)
	ds_bpermute_b32 v223, v2, v205
	ds_bpermute_b32 v224, v2, v205 offset:4
	s_mov_b32 s7, 0
	s_waitcnt vmcnt(0) lgkmcnt(1)
	v_sub_f32_e32 v223, v203, v223
	buffer_load_dword v203, off, s[36:39], 0 offset:240 ; 4-byte Folded Reload
	s_waitcnt vmcnt(0) lgkmcnt(0)
	v_sub_f32_e32 v224, v203, v224
	v_mul_f32_e32 v203, v3, v223
	ds_bpermute_b32 v223, v2, v201
	s_waitcnt lgkmcnt(0)
	v_fma_f32 v203, v203, v223, v204
	v_mul_f32_e32 v223, v4, v224
	ds_bpermute_b32 v224, v2, v201 offset:4
	s_waitcnt lgkmcnt(0)
	v_fmac_f32_e32 v203, v223, v224
	buffer_load_dword v224, off, s[36:39], 0 offset:236 ; 4-byte Folded Reload
	ds_bpermute_b32 v223, v2, v205 offset:8
	s_waitcnt vmcnt(0) lgkmcnt(0)
	v_sub_f32_e32 v223, v224, v223
	ds_bpermute_b32 v224, v2, v201 offset:8
	v_mul_f32_e32 v223, v5, v223
	s_waitcnt lgkmcnt(0)
	v_fmac_f32_e32 v203, v223, v224
	buffer_load_dword v224, off, s[36:39], 0 offset:248 ; 4-byte Folded Reload
	ds_bpermute_b32 v223, v2, v205 offset:12
	s_waitcnt vmcnt(0) lgkmcnt(0)
	v_sub_f32_e32 v223, v224, v223
	ds_bpermute_b32 v224, v2, v201 offset:12
	v_mul_f32_e32 v223, v6, v223
	;; [unrolled: 8-line block ×13, first 2 shown]
	s_waitcnt lgkmcnt(0)
	v_fmac_f32_e32 v203, v223, v224
	ds_bpermute_b32 v223, v2, v205 offset:60
	s_waitcnt lgkmcnt(0)
	v_sub_f32_e32 v208, v208, v223
	ds_bpermute_b32 v223, v2, v201 offset:60
	v_mul_f32_e32 v208, v18, v208
	s_waitcnt lgkmcnt(0)
	v_fmac_f32_e32 v203, v208, v223
	buffer_load_dword v223, off, s[36:39], 0 offset:304 ; 4-byte Folded Reload
	ds_bpermute_b32 v208, v2, v205 offset:64
	s_waitcnt lgkmcnt(0)
	v_sub_f32_e32 v207, v207, v208
	ds_bpermute_b32 v208, v2, v201 offset:64
	v_mul_f32_e32 v207, v19, v207
	s_waitcnt lgkmcnt(0)
	v_fmac_f32_e32 v203, v207, v208
	ds_bpermute_b32 v207, v2, v205 offset:68
	ds_bpermute_b32 v208, v2, v201 offset:68
	s_waitcnt lgkmcnt(1)
	v_sub_f32_e32 v207, v210, v207
	v_mul_f32_e32 v207, v20, v207
	s_waitcnt lgkmcnt(0)
	v_fmac_f32_e32 v203, v207, v208
	ds_bpermute_b32 v207, v2, v205 offset:72
	ds_bpermute_b32 v208, v2, v201 offset:72
	s_waitcnt lgkmcnt(1)
	v_sub_f32_e32 v207, v209, v207
	;; [unrolled: 7-line block ×3, first 2 shown]
	v_mul_f32_e32 v207, v22, v207
	s_waitcnt lgkmcnt(0)
	v_fmac_f32_e32 v203, v207, v208
	ds_bpermute_b32 v207, v2, v205 offset:80
	s_waitcnt lgkmcnt(0)
	v_sub_f32_e32 v206, v206, v207
	ds_bpermute_b32 v207, v2, v201 offset:80
	v_mul_f32_e32 v206, v23, v206
	s_waitcnt lgkmcnt(0)
	v_fmac_f32_e32 v203, v206, v207
	ds_bpermute_b32 v206, v2, v205 offset:84
	ds_bpermute_b32 v207, v2, v201 offset:84
	s_waitcnt lgkmcnt(1)
	v_sub_f32_e32 v206, v215, v206
	v_mul_f32_e32 v206, v24, v206
	s_waitcnt lgkmcnt(0)
	v_fmac_f32_e32 v203, v206, v207
	ds_bpermute_b32 v206, v2, v205 offset:88
	ds_bpermute_b32 v207, v2, v201 offset:88
	s_waitcnt lgkmcnt(1)
	v_sub_f32_e32 v206, v213, v206
	;; [unrolled: 7-line block ×4, first 2 shown]
	v_mul_f32_e32 v206, v27, v206
	s_waitcnt lgkmcnt(0)
	v_fmac_f32_e32 v203, v206, v207
	ds_bpermute_b32 v206, v2, v205 offset:100
	ds_bpermute_b32 v207, v2, v201 offset:100
	s_waitcnt vmcnt(0)
	v_add_f32_e32 v3, v223, v3
	s_waitcnt lgkmcnt(1)
	v_sub_f32_e32 v206, v221, v206
	v_add_f32_e32 v3, v4, v3
	ds_bpermute_b32 v4, v2, v205 offset:108
	v_mul_f32_e32 v206, v28, v206
	v_add_f32_e32 v3, v5, v3
	ds_bpermute_b32 v5, v2, v201 offset:108
	s_waitcnt lgkmcnt(2)
	v_fmac_f32_e32 v203, v206, v207
	ds_bpermute_b32 v206, v2, v205 offset:104
	ds_bpermute_b32 v207, v2, v201 offset:104
	v_add_f32_e32 v3, v6, v3
	ds_bpermute_b32 v6, v2, v205 offset:116
	v_add_f32_e32 v3, v7, v3
	;; [unrolled: 2-line block ×3, first 2 shown]
	s_waitcnt lgkmcnt(5)
	v_sub_f32_e32 v4, v214, v4
	ds_bpermute_b32 v8, v2, v201 offset:120
	v_add_f32_e32 v3, v9, v3
	v_mul_f32_e32 v4, v30, v4
	ds_bpermute_b32 v9, v2, v201 offset:124
	s_waitcnt lgkmcnt(5)
	v_sub_f32_e32 v206, v220, v206
	v_add_f32_e32 v3, v10, v3
	s_waitcnt lgkmcnt(3)
	v_sub_f32_e32 v6, v219, v6
	v_mul_f32_e32 v206, v29, v206
	v_add_f32_e32 v3, v11, v3
	v_mul_f32_e32 v6, v32, v6
	v_fmac_f32_e32 v203, v206, v207
	v_add_f32_e32 v3, v12, v3
	v_fmac_f32_e32 v203, v4, v5
	ds_bpermute_b32 v4, v2, v205 offset:112
	v_add_f32_e32 v3, v13, v3
	ds_bpermute_b32 v5, v2, v201 offset:112
	v_add_f32_e32 v3, v14, v3
	v_add_f32_e32 v3, v15, v3
	v_add_f32_e32 v3, v16, v3
	s_waitcnt lgkmcnt(1)
	v_sub_f32_e32 v4, v212, v4
	v_add_f32_e32 v3, v17, v3
	v_mul_f32_e32 v4, v31, v4
	v_add_f32_e32 v3, v18, v3
	s_waitcnt lgkmcnt(0)
	v_fmac_f32_e32 v203, v4, v5
	v_add_f32_e32 v3, v19, v3
	ds_bpermute_b32 v4, v2, v205 offset:120
	ds_bpermute_b32 v5, v2, v201 offset:116
	v_add_f32_e32 v3, v20, v3
	v_add_f32_e32 v3, v21, v3
	v_add_f32_e32 v3, v22, v3
	v_add_f32_e32 v3, v23, v3
	s_waitcnt lgkmcnt(1)
	v_sub_f32_e32 v4, v217, v4
	s_waitcnt lgkmcnt(0)
	v_fmac_f32_e32 v203, v6, v5
	v_sub_f32_e32 v5, v222, v7
	v_add_f32_e32 v3, v24, v3
	v_mul_f32_e32 v4, v33, v4
	v_add_f32_e32 v3, v25, v3
	v_fmac_f32_e32 v203, v4, v8
	v_mul_f32_e32 v4, v34, v5
	v_add_f32_e32 v3, v26, v3
	v_fmac_f32_e32 v203, v4, v9
	v_add_f32_e32 v3, v27, v3
	v_add_f32_e32 v3, v28, v3
	v_add_f32_e32 v3, v29, v3
	v_add_f32_e32 v3, v30, v3
	v_add_f32_e32 v3, v31, v3
	v_add_f32_e32 v3, v32, v3
	v_add_f32_e32 v3, v33, v3
	v_add_f32_e32 v201, v34, v3
.LBB74_213:                             ;   in Loop: Header=BB74_145 Depth=1
	s_and_b32 vcc_lo, exec_lo, s7
	s_cbranch_vccz .LBB74_217
; %bb.214:                              ;   in Loop: Header=BB74_145 Depth=1
	s_load_dword s7, s[2:3], 0x0
	v_mov_b32_e32 v6, 0
	s_waitcnt lgkmcnt(0)
	s_cmp_lt_u32 s6, s7
	s_cselect_b32 s7, 12, 18
	s_add_u32 s24, s2, s7
	s_addc_u32 s25, s3, 0
	s_mov_b32 s7, exec_lo
	global_load_ushort v3, v2, s[24:25]
	s_clause 0x2
	buffer_load_dword v4, off, s[36:39], 0 offset:292
	buffer_load_dword v5, off, s[36:39], 0 offset:296
	;; [unrolled: 1-line block ×3, first 2 shown]
	s_waitcnt vmcnt(0)
	v_mad_u32_u24 v3, v4, v3, v5
	v_mov_b32_e32 v5, 0
	v_and_b32_e32 v3, 31, v3
	v_add_co_u32 v3, vcc_lo, v161, v3
	v_add_co_ci_u32_e64 v4, null, 0, v162, vcc_lo
	v_cmpx_gt_i64_e64 s[8:9], v[3:4]
	s_cbranch_execz .LBB74_216
; %bb.215:                              ;   in Loop: Header=BB74_145 Depth=1
	v_lshlrev_b64 v[3:4], 2, v[3:4]
	v_add_co_u32 v5, vcc_lo, s16, v3
	v_add_co_ci_u32_e64 v6, null, s17, v4, vcc_lo
	v_add_co_u32 v3, vcc_lo, s18, v3
	v_add_co_ci_u32_e64 v4, null, s19, v4, vcc_lo
	global_load_dword v6, v[5:6], off
	global_load_dword v5, v[3:4], off
.LBB74_216:                             ;   in Loop: Header=BB74_145 Depth=1
	s_or_b32 exec_lo, exec_lo, s7
	v_add_co_u32 v3, vcc_lo, v166, v159
	v_add_co_ci_u32_e64 v4, null, v167, v160, vcc_lo
	global_load_ushort v7, v[3:4], off
	v_add_co_u32 v3, vcc_lo, v164, v159
	v_add_co_ci_u32_e64 v4, null, v165, v160, vcc_lo
	global_load_ushort v3, v[3:4], off
	s_waitcnt vmcnt(1)
	v_cvt_f32_f16_e32 v4, v7
	ds_bpermute_b32 v7, v2, v6
	s_waitcnt vmcnt(0)
	v_cvt_f32_f16_e32 v3, v3
	s_waitcnt lgkmcnt(0)
	v_sub_f32_e32 v4, v4, v7
	ds_bpermute_b32 v7, v2, v5
	v_mul_f32_e32 v4, v4, v3
	v_add_f32_e32 v3, v223, v3
	s_waitcnt lgkmcnt(0)
	v_fmac_f32_e32 v204, v4, v7
	v_add_co_u32 v7, vcc_lo, v49, v159
	v_add_co_ci_u32_e64 v8, null, v50, v160, vcc_lo
	global_load_ushort v4, v[7:8], off
	v_add_co_u32 v7, vcc_lo, v35, v159
	v_add_co_ci_u32_e64 v8, null, v36, v160, vcc_lo
	global_load_ushort v7, v[7:8], off
	ds_bpermute_b32 v8, v2, v6 offset:4
	s_waitcnt vmcnt(1)
	v_cvt_f32_f16_e32 v4, v4
	s_waitcnt lgkmcnt(0)
	v_sub_f32_e32 v8, v4, v8
	s_waitcnt vmcnt(0)
	v_cvt_f32_f16_e32 v4, v7
	v_mul_f32_e32 v7, v8, v4
	ds_bpermute_b32 v8, v2, v5 offset:4
	v_add_f32_e32 v3, v3, v4
	s_waitcnt lgkmcnt(0)
	v_fmac_f32_e32 v204, v7, v8
	v_add_co_u32 v7, vcc_lo, v53, v159
	v_add_co_ci_u32_e64 v8, null, v54, v160, vcc_lo
	global_load_ushort v9, v[7:8], off
	v_add_co_u32 v7, vcc_lo, v37, v159
	v_add_co_ci_u32_e64 v8, null, v38, v160, vcc_lo
	global_load_ushort v7, v[7:8], off
	s_waitcnt vmcnt(1)
	v_cvt_f32_f16_e32 v8, v9
	ds_bpermute_b32 v9, v2, v6 offset:8
	s_waitcnt vmcnt(0)
	v_cvt_f32_f16_e32 v7, v7
	v_add_f32_e32 v3, v3, v7
	s_waitcnt lgkmcnt(0)
	v_sub_f32_e32 v8, v8, v9
	ds_bpermute_b32 v9, v2, v5 offset:8
	v_mul_f32_e32 v8, v8, v7
	s_waitcnt lgkmcnt(0)
	v_fmac_f32_e32 v204, v8, v9
	v_add_co_u32 v8, vcc_lo, v55, v159
	v_add_co_ci_u32_e64 v9, null, v56, v160, vcc_lo
	global_load_ushort v10, v[8:9], off
	v_add_co_u32 v8, vcc_lo, v39, v159
	v_add_co_ci_u32_e64 v9, null, v40, v160, vcc_lo
	global_load_ushort v8, v[8:9], off
	s_waitcnt vmcnt(1)
	v_cvt_f32_f16_e32 v9, v10
	ds_bpermute_b32 v10, v2, v6 offset:12
	s_waitcnt vmcnt(0)
	v_cvt_f32_f16_e32 v8, v8
	v_add_f32_e32 v3, v3, v8
	s_waitcnt lgkmcnt(0)
	v_sub_f32_e32 v9, v9, v10
	ds_bpermute_b32 v10, v2, v5 offset:12
	v_mul_f32_e32 v9, v9, v8
	;; [unrolled: 18-line block ×8, first 2 shown]
	s_waitcnt lgkmcnt(0)
	v_fmac_f32_e32 v204, v15, v16
	v_add_co_u32 v15, vcc_lo, v73, v159
	v_add_co_ci_u32_e64 v16, null, v74, v160, vcc_lo
	global_load_ushort v17, v[15:16], off
	v_add_co_u32 v15, vcc_lo, v71, v159
	v_add_co_ci_u32_e64 v16, null, v72, v160, vcc_lo
	global_load_ushort v15, v[15:16], off
	s_waitcnt vmcnt(1)
	v_cvt_f32_f16_e32 v16, v17
	ds_bpermute_b32 v17, v2, v6 offset:40
	s_waitcnt lgkmcnt(0)
	v_sub_f32_e32 v16, v16, v17
	s_waitcnt vmcnt(0)
	v_cvt_f32_f16_e32 v17, v15
	v_mul_f32_e32 v15, v16, v17
	ds_bpermute_b32 v16, v2, v5 offset:40
	v_add_f32_e32 v3, v3, v17
	s_waitcnt lgkmcnt(0)
	v_fmac_f32_e32 v204, v15, v16
	v_add_co_u32 v15, vcc_lo, v77, v159
	v_add_co_ci_u32_e64 v16, null, v78, v160, vcc_lo
	global_load_ushort v18, v[15:16], off
	v_add_co_u32 v15, vcc_lo, v75, v159
	v_add_co_ci_u32_e64 v16, null, v76, v160, vcc_lo
	global_load_ushort v15, v[15:16], off
	s_waitcnt vmcnt(1)
	v_cvt_f32_f16_e32 v16, v18
	ds_bpermute_b32 v18, v2, v6 offset:44
	s_waitcnt lgkmcnt(0)
	v_sub_f32_e32 v16, v16, v18
	s_waitcnt vmcnt(0)
	v_cvt_f32_f16_e32 v18, v15
	v_mul_f32_e32 v15, v16, v18
	ds_bpermute_b32 v16, v2, v5 offset:44
	v_add_f32_e32 v3, v3, v18
	;; [unrolled: 18-line block ×20, first 2 shown]
	s_waitcnt lgkmcnt(0)
	v_fmac_f32_e32 v204, v15, v16
	v_add_co_u32 v15, vcc_lo, v153, v159
	v_add_co_ci_u32_e64 v16, null, v154, v160, vcc_lo
	global_load_ushort v201, v[15:16], off
	v_add_co_u32 v15, vcc_lo, v151, v159
	v_add_co_ci_u32_e64 v16, null, v152, v160, vcc_lo
	global_load_ushort v15, v[15:16], off
	s_waitcnt vmcnt(1)
	v_cvt_f32_f16_e32 v16, v201
	ds_bpermute_b32 v201, v2, v6 offset:120
	ds_bpermute_b32 v6, v2, v6 offset:124
	s_waitcnt lgkmcnt(1)
	v_sub_f32_e32 v16, v16, v201
	s_waitcnt vmcnt(0)
	v_cvt_f32_f16_e32 v201, v15
	v_mul_f32_e32 v15, v16, v201
	ds_bpermute_b32 v16, v2, v5 offset:120
	ds_bpermute_b32 v5, v2, v5 offset:124
	v_add_f32_e32 v3, v3, v201
	s_waitcnt lgkmcnt(1)
	v_fmac_f32_e32 v204, v15, v16
	v_add_co_u32 v15, vcc_lo, v157, v159
	v_add_co_ci_u32_e64 v16, null, v158, v160, vcc_lo
	global_load_ushort v203, v[15:16], off
	v_add_co_u32 v15, vcc_lo, v155, v159
	v_add_co_ci_u32_e64 v16, null, v156, v160, vcc_lo
	global_load_ushort v15, v[15:16], off
	s_waitcnt vmcnt(1)
	v_cvt_f32_f16_e32 v16, v203
	v_sub_f32_e32 v6, v16, v6
	s_waitcnt vmcnt(0)
	v_cvt_f32_f16_e32 v15, v15
	v_mul_f32_e32 v6, v6, v15
	v_add_f32_e32 v201, v3, v15
	s_waitcnt lgkmcnt(0)
	v_fmac_f32_e32 v204, v6, v5
	v_mov_b32_e32 v203, v204
.LBB74_217:                             ;   in Loop: Header=BB74_145 Depth=1
	buffer_load_dword v3, off, s[36:39], 0  ; 4-byte Folded Reload
	v_add_co_u32 v164, vcc_lo, v164, s12
	v_add_co_ci_u32_e64 v165, null, s13, v165, vcc_lo
	v_add_co_u32 v166, vcc_lo, v166, s12
	v_add_co_ci_u32_e64 v167, null, s13, v167, vcc_lo
	;; [unrolled: 2-line block ×65, first 2 shown]
	s_add_u32 s22, s22, s1
	s_addc_u32 s23, s23, 0
	s_add_u32 s14, s14, s1
	v_cmp_ge_i64_e64 s7, s[22:23], s[8:9]
	s_addc_u32 s15, 0, s15
	s_waitcnt vmcnt(0)
	v_add_co_u32 v3, vcc_lo, v3, s12
	buffer_store_dword v3, off, s[36:39], 0 ; 4-byte Folded Spill
	buffer_load_dword v3, off, s[36:39], 0 offset:4 ; 4-byte Folded Reload
	s_waitcnt vmcnt(0)
	v_add_co_ci_u32_e64 v3, null, s13, v3, vcc_lo
	buffer_store_dword v3, off, s[36:39], 0 offset:4 ; 4-byte Folded Spill
	buffer_load_dword v3, off, s[36:39], 0 offset:8 ; 4-byte Folded Reload
	s_waitcnt vmcnt(0)
	v_add_co_u32 v3, vcc_lo, v3, s12
	buffer_store_dword v3, off, s[36:39], 0 offset:8 ; 4-byte Folded Spill
	buffer_load_dword v3, off, s[36:39], 0 offset:12 ; 4-byte Folded Reload
	s_waitcnt vmcnt(0)
	v_add_co_ci_u32_e64 v3, null, s13, v3, vcc_lo
	buffer_store_dword v3, off, s[36:39], 0 offset:12 ; 4-byte Folded Spill
	buffer_load_dword v3, off, s[36:39], 0 offset:16 ; 4-byte Folded Reload
	s_waitcnt vmcnt(0)
	v_add_co_u32 v3, vcc_lo, v3, s12
	buffer_store_dword v3, off, s[36:39], 0 offset:16 ; 4-byte Folded Spill
	;; [unrolled: 8-line block ×28, first 2 shown]
	buffer_load_dword v3, off, s[36:39], 0 offset:228 ; 4-byte Folded Reload
	s_waitcnt vmcnt(0)
	v_add_co_ci_u32_e64 v3, null, s13, v3, vcc_lo
	v_add_co_u32 v226, vcc_lo, v226, s12
	v_add_co_ci_u32_e64 v227, null, s13, v227, vcc_lo
	v_add_co_u32 v228, vcc_lo, v228, s12
	;; [unrolled: 2-line block ×33, first 2 shown]
	v_add_co_ci_u32_e64 v200, null, s13, v200, vcc_lo
	s_and_b32 vcc_lo, exec_lo, s7
	buffer_store_dword v3, off, s[36:39], 0 offset:228 ; 4-byte Folded Spill
	s_cbranch_vccnz .LBB74_219
; %bb.218:                              ;   in Loop: Header=BB74_145 Depth=1
	v_mov_b32_e32 v223, v201
	v_mov_b32_e32 v204, v203
	s_branch .LBB74_145
.LBB74_219:
	s_clause 0x2
	buffer_load_dword v1, off, s[36:39], 0 offset:292
	buffer_load_dword v2, off, s[36:39], 0 offset:296
	;; [unrolled: 1-line block ×3, first 2 shown]
.LBB74_220:
	s_mov_b32 s7, 0
	s_mov_b32 s1, exec_lo
	s_lshl_b64 s[2:3], s[6:7], 6
	s_waitcnt vmcnt(0)
	v_or_b32_e32 v4, s2, v227
	v_mov_b32_e32 v5, s3
	v_cmpx_gt_i64_e64 s[10:11], v[4:5]
	s_cbranch_execz .LBB74_225
; %bb.221:
	s_clause 0x1
	s_load_dword s1, s[4:5], 0x4c
	s_load_dwordx4 s[4:7], s[4:5], 0x30
	v_mov_b32_e32 v2, 0
	s_waitcnt lgkmcnt(0)
	s_lshr_b32 s1, s1, 16
	s_cmp_eq_u64 s[4:5], 0
	v_mad_u64_u32 v[2:3], null, s1, s0, v[1:2]
	v_lshlrev_b64 v[0:1], 1, v[4:5]
	v_mul_lo_u32 v3, v3, s10
	v_mul_lo_u32 v6, v2, s11
	s_cbranch_scc1 .LBB74_223
; %bb.222:
	v_mad_u64_u32 v[4:5], null, v2, s10, 0
	v_cvt_f16_f32_e32 v7, v203
	v_add3_u32 v5, v5, v6, v3
	v_lshlrev_b64 v[4:5], 1, v[4:5]
	v_add_co_u32 v4, vcc_lo, s4, v4
	v_add_co_ci_u32_e64 v5, null, s5, v5, vcc_lo
	v_add_co_u32 v4, vcc_lo, v4, v0
	v_add_co_ci_u32_e64 v5, null, v5, v1, vcc_lo
	global_store_short v[4:5], v7, off
.LBB74_223:
	s_cmp_eq_u64 s[6:7], 0
	s_cbranch_scc1 .LBB74_225
; %bb.224:
	v_mad_u64_u32 v[4:5], null, v2, s10, 0
	v_add3_u32 v5, v5, v6, v3
	v_lshlrev_b64 v[2:3], 1, v[4:5]
	v_cvt_f16_f32_e32 v4, v201
	v_add_co_u32 v2, vcc_lo, s6, v2
	v_add_co_ci_u32_e64 v3, null, s7, v3, vcc_lo
	v_add_co_u32 v0, vcc_lo, v2, v0
	v_add_co_ci_u32_e64 v1, null, v3, v1, vcc_lo
	global_store_short v[0:1], v4, off
.LBB74_225:
	s_endpgm
	.section	.rodata,"a",@progbits
	.p2align	6, 0x0
	.amdhsa_kernel _ZN2at6native12_GLOBAL__N_135GammaBetaBackwardCUDAKernelTemplateIN3c104HalfEfLj64ELj1ELj32ELb1ELb0ELb0EEEvllPKT_S7_PKT0_SA_PS5_SB_
		.amdhsa_group_segment_fixed_size 0
		.amdhsa_private_segment_fixed_size 312
		.amdhsa_kernarg_size 320
		.amdhsa_user_sgpr_count 6
		.amdhsa_user_sgpr_private_segment_buffer 1
		.amdhsa_user_sgpr_dispatch_ptr 0
		.amdhsa_user_sgpr_queue_ptr 0
		.amdhsa_user_sgpr_kernarg_segment_ptr 1
		.amdhsa_user_sgpr_dispatch_id 0
		.amdhsa_user_sgpr_flat_scratch_init 0
		.amdhsa_user_sgpr_private_segment_size 0
		.amdhsa_wavefront_size32 1
		.amdhsa_uses_dynamic_stack 0
		.amdhsa_system_sgpr_private_segment_wavefront_offset 1
		.amdhsa_system_sgpr_workgroup_id_x 1
		.amdhsa_system_sgpr_workgroup_id_y 1
		.amdhsa_system_sgpr_workgroup_id_z 0
		.amdhsa_system_sgpr_workgroup_info 0
		.amdhsa_system_vgpr_workitem_id 1
		.amdhsa_next_free_vgpr 256
		.amdhsa_next_free_sgpr 40
		.amdhsa_reserve_vcc 1
		.amdhsa_reserve_flat_scratch 0
		.amdhsa_float_round_mode_32 0
		.amdhsa_float_round_mode_16_64 0
		.amdhsa_float_denorm_mode_32 3
		.amdhsa_float_denorm_mode_16_64 3
		.amdhsa_dx10_clamp 1
		.amdhsa_ieee_mode 1
		.amdhsa_fp16_overflow 0
		.amdhsa_workgroup_processor_mode 1
		.amdhsa_memory_ordered 1
		.amdhsa_forward_progress 1
		.amdhsa_shared_vgpr_count 0
		.amdhsa_exception_fp_ieee_invalid_op 0
		.amdhsa_exception_fp_denorm_src 0
		.amdhsa_exception_fp_ieee_div_zero 0
		.amdhsa_exception_fp_ieee_overflow 0
		.amdhsa_exception_fp_ieee_underflow 0
		.amdhsa_exception_fp_ieee_inexact 0
		.amdhsa_exception_int_div_zero 0
	.end_amdhsa_kernel
	.section	.text._ZN2at6native12_GLOBAL__N_135GammaBetaBackwardCUDAKernelTemplateIN3c104HalfEfLj64ELj1ELj32ELb1ELb0ELb0EEEvllPKT_S7_PKT0_SA_PS5_SB_,"axG",@progbits,_ZN2at6native12_GLOBAL__N_135GammaBetaBackwardCUDAKernelTemplateIN3c104HalfEfLj64ELj1ELj32ELb1ELb0ELb0EEEvllPKT_S7_PKT0_SA_PS5_SB_,comdat
.Lfunc_end74:
	.size	_ZN2at6native12_GLOBAL__N_135GammaBetaBackwardCUDAKernelTemplateIN3c104HalfEfLj64ELj1ELj32ELb1ELb0ELb0EEEvllPKT_S7_PKT0_SA_PS5_SB_, .Lfunc_end74-_ZN2at6native12_GLOBAL__N_135GammaBetaBackwardCUDAKernelTemplateIN3c104HalfEfLj64ELj1ELj32ELb1ELb0ELb0EEEvllPKT_S7_PKT0_SA_PS5_SB_
                                        ; -- End function
	.set _ZN2at6native12_GLOBAL__N_135GammaBetaBackwardCUDAKernelTemplateIN3c104HalfEfLj64ELj1ELj32ELb1ELb0ELb0EEEvllPKT_S7_PKT0_SA_PS5_SB_.num_vgpr, 256
	.set _ZN2at6native12_GLOBAL__N_135GammaBetaBackwardCUDAKernelTemplateIN3c104HalfEfLj64ELj1ELj32ELb1ELb0ELb0EEEvllPKT_S7_PKT0_SA_PS5_SB_.num_agpr, 0
	.set _ZN2at6native12_GLOBAL__N_135GammaBetaBackwardCUDAKernelTemplateIN3c104HalfEfLj64ELj1ELj32ELb1ELb0ELb0EEEvllPKT_S7_PKT0_SA_PS5_SB_.numbered_sgpr, 40
	.set _ZN2at6native12_GLOBAL__N_135GammaBetaBackwardCUDAKernelTemplateIN3c104HalfEfLj64ELj1ELj32ELb1ELb0ELb0EEEvllPKT_S7_PKT0_SA_PS5_SB_.num_named_barrier, 0
	.set _ZN2at6native12_GLOBAL__N_135GammaBetaBackwardCUDAKernelTemplateIN3c104HalfEfLj64ELj1ELj32ELb1ELb0ELb0EEEvllPKT_S7_PKT0_SA_PS5_SB_.private_seg_size, 312
	.set _ZN2at6native12_GLOBAL__N_135GammaBetaBackwardCUDAKernelTemplateIN3c104HalfEfLj64ELj1ELj32ELb1ELb0ELb0EEEvllPKT_S7_PKT0_SA_PS5_SB_.uses_vcc, 1
	.set _ZN2at6native12_GLOBAL__N_135GammaBetaBackwardCUDAKernelTemplateIN3c104HalfEfLj64ELj1ELj32ELb1ELb0ELb0EEEvllPKT_S7_PKT0_SA_PS5_SB_.uses_flat_scratch, 0
	.set _ZN2at6native12_GLOBAL__N_135GammaBetaBackwardCUDAKernelTemplateIN3c104HalfEfLj64ELj1ELj32ELb1ELb0ELb0EEEvllPKT_S7_PKT0_SA_PS5_SB_.has_dyn_sized_stack, 0
	.set _ZN2at6native12_GLOBAL__N_135GammaBetaBackwardCUDAKernelTemplateIN3c104HalfEfLj64ELj1ELj32ELb1ELb0ELb0EEEvllPKT_S7_PKT0_SA_PS5_SB_.has_recursion, 0
	.set _ZN2at6native12_GLOBAL__N_135GammaBetaBackwardCUDAKernelTemplateIN3c104HalfEfLj64ELj1ELj32ELb1ELb0ELb0EEEvllPKT_S7_PKT0_SA_PS5_SB_.has_indirect_call, 0
	.section	.AMDGPU.csdata,"",@progbits
; Kernel info:
; codeLenInByte = 32152
; TotalNumSgprs: 42
; NumVgprs: 256
; ScratchSize: 312
; MemoryBound: 0
; FloatMode: 240
; IeeeMode: 1
; LDSByteSize: 0 bytes/workgroup (compile time only)
; SGPRBlocks: 0
; VGPRBlocks: 31
; NumSGPRsForWavesPerEU: 42
; NumVGPRsForWavesPerEU: 256
; Occupancy: 4
; WaveLimiterHint : 0
; COMPUTE_PGM_RSRC2:SCRATCH_EN: 1
; COMPUTE_PGM_RSRC2:USER_SGPR: 6
; COMPUTE_PGM_RSRC2:TRAP_HANDLER: 0
; COMPUTE_PGM_RSRC2:TGID_X_EN: 1
; COMPUTE_PGM_RSRC2:TGID_Y_EN: 1
; COMPUTE_PGM_RSRC2:TGID_Z_EN: 0
; COMPUTE_PGM_RSRC2:TIDIG_COMP_CNT: 1
	.section	.text._ZN2at6native12_GLOBAL__N_135GammaBetaBackwardCUDAKernelTemplateIN3c104HalfEfLj64ELj1ELj8ELb1ELb1ELb0EEEvllPKT_S7_PKT0_SA_PS5_SB_,"axG",@progbits,_ZN2at6native12_GLOBAL__N_135GammaBetaBackwardCUDAKernelTemplateIN3c104HalfEfLj64ELj1ELj8ELb1ELb1ELb0EEEvllPKT_S7_PKT0_SA_PS5_SB_,comdat
	.globl	_ZN2at6native12_GLOBAL__N_135GammaBetaBackwardCUDAKernelTemplateIN3c104HalfEfLj64ELj1ELj8ELb1ELb1ELb0EEEvllPKT_S7_PKT0_SA_PS5_SB_ ; -- Begin function _ZN2at6native12_GLOBAL__N_135GammaBetaBackwardCUDAKernelTemplateIN3c104HalfEfLj64ELj1ELj8ELb1ELb1ELb0EEEvllPKT_S7_PKT0_SA_PS5_SB_
	.p2align	8
	.type	_ZN2at6native12_GLOBAL__N_135GammaBetaBackwardCUDAKernelTemplateIN3c104HalfEfLj64ELj1ELj8ELb1ELb1ELb0EEEvllPKT_S7_PKT0_SA_PS5_SB_,@function
_ZN2at6native12_GLOBAL__N_135GammaBetaBackwardCUDAKernelTemplateIN3c104HalfEfLj64ELj1ELj8ELb1ELb1ELb0EEEvllPKT_S7_PKT0_SA_PS5_SB_: ; @_ZN2at6native12_GLOBAL__N_135GammaBetaBackwardCUDAKernelTemplateIN3c104HalfEfLj64ELj1ELj8ELb1ELb1ELb0EEEvllPKT_S7_PKT0_SA_PS5_SB_
; %bb.0:
	s_load_dwordx4 s[16:19], s[4:5], 0x0
	s_lshl_b32 s2, s7, 3
	s_mov_b32 s3, 0
	s_waitcnt lgkmcnt(0)
	v_cmp_gt_i64_e64 s0, s[16:17], s[2:3]
	s_and_b32 vcc_lo, exec_lo, s0
	s_cbranch_vccnz .LBB75_2
; %bb.1:
	s_add_u32 s24, s4, 64
	s_addc_u32 s25, s5, 0
	s_mov_b32 s0, s3
	s_branch .LBB75_3
.LBB75_2:
	s_mov_b32 s0, -1
                                        ; implicit-def: $sgpr24_sgpr25
.LBB75_3:
	s_load_dwordx4 s[20:23], s[4:5], 0x30
	v_mov_b32_e32 v5, 0
	v_mov_b32_e32 v4, 0
	s_andn2_b32 vcc_lo, exec_lo, s0
	s_cbranch_vccnz .LBB75_11
; %bb.4:
	s_clause 0x2
	s_load_dword s0, s[4:5], 0x4c
	s_load_dword s1, s[4:5], 0x44
	s_load_dwordx8 s[8:15], s[4:5], 0x10
	v_lshlrev_b32_e32 v2, 3, v1
	s_add_u32 s24, s4, 64
	s_addc_u32 s25, s5, 0
	v_mov_b32_e32 v3, 0
	v_mov_b32_e32 v8, 8
	v_add_co_u32 v4, s4, v2, s2
	v_add_co_ci_u32_e64 v5, null, 0, 0, s4
	v_lshl_or_b32 v2, s6, 6, v0
	v_mul_lo_u32 v17, s19, v4
	v_mad_u64_u32 v[6:7], null, s18, v4, 0
	v_mul_lo_u32 v18, s18, v5
	v_lshlrev_b64 v[15:16], 1, v[2:3]
	v_mov_b32_e32 v9, 4
	v_mov_b32_e32 v10, 12
	s_waitcnt lgkmcnt(0)
	s_and_b32 s0, s0, 0xffff
	s_lshl_b32 s26, s1, 3
	v_mad_u32_u24 v14, v1, s0, v0
	s_mul_i32 s1, s19, s26
	v_add3_u32 v7, v7, v18, v17
	s_mul_hi_u32 s4, s18, s26
	v_mov_b32_e32 v11, 16
	v_and_b32_e32 v19, 31, v14
	v_mov_b32_e32 v12, 20
	v_lshlrev_b64 v[17:18], 1, v[6:7]
	v_mov_b32_e32 v13, 24
	v_mov_b32_e32 v14, 28
	v_add_co_u32 v4, vcc_lo, v4, v19
	v_add_co_ci_u32_e64 v5, null, 0, v5, vcc_lo
	v_add_co_u32 v2, vcc_lo, v17, v15
	v_cmp_gt_u32_e64 s0, 8, v19
	v_lshlrev_b64 v[6:7], 2, v[4:5]
	v_add_co_ci_u32_e64 v15, null, v18, v16, vcc_lo
	v_mov_b32_e32 v17, 0
	v_mov_b32_e32 v16, 0
	s_mov_b32 s27, 0
	s_add_i32 s29, s4, s1
	s_mul_i32 s28, s18, s26
	s_lshl_b64 s[4:5], s[26:27], 2
	s_lshl_b64 s[28:29], s[28:29], 1
	;; [unrolled: 1-line block ×3, first 2 shown]
	s_branch .LBB75_7
.LBB75_5:                               ;   in Loop: Header=BB75_7 Depth=1
	s_or_b32 exec_lo, exec_lo, s27
.LBB75_6:                               ;   in Loop: Header=BB75_7 Depth=1
	s_or_b32 exec_lo, exec_lo, s1
	v_add_co_u32 v20, vcc_lo, s8, v2
	v_add_co_ci_u32_e64 v21, null, s9, v15, vcc_lo
	v_add_co_u32 v22, vcc_lo, s10, v2
	v_add_co_ci_u32_e64 v23, null, s11, v15, vcc_lo
	;; [unrolled: 2-line block ×5, first 2 shown]
	global_load_ushort v30, v[20:21], off
	global_load_ushort v31, v[22:23], off
	global_load_ushort v32, v[24:25], off
	global_load_ushort v33, v[26:27], off
	global_load_ushort v34, v[28:29], off
	v_add_co_u32 v20, vcc_lo, v26, s30
	v_add_co_ci_u32_e64 v21, null, s31, v27, vcc_lo
	v_add_co_u32 v22, vcc_lo, v28, s30
	v_add_co_ci_u32_e64 v23, null, s31, v29, vcc_lo
	;; [unrolled: 2-line block ×5, first 2 shown]
	global_load_ushort v35, v[20:21], off
	global_load_ushort v36, v[22:23], off
	;; [unrolled: 1-line block ×5, first 2 shown]
	v_add_co_u32 v20, vcc_lo, v26, s30
	v_add_co_ci_u32_e64 v21, null, s31, v27, vcc_lo
	v_add_co_u32 v22, vcc_lo, v28, s30
	v_add_co_ci_u32_e64 v23, null, s31, v29, vcc_lo
	;; [unrolled: 2-line block ×4, first 2 shown]
	global_load_ushort v28, v[20:21], off
	global_load_ushort v29, v[22:23], off
	;; [unrolled: 1-line block ×4, first 2 shown]
	v_add_co_u32 v20, vcc_lo, v26, s30
	v_add_co_ci_u32_e64 v21, null, s31, v27, vcc_lo
	v_add_co_u32 v22, vcc_lo, v24, s30
	v_add_co_ci_u32_e64 v23, null, s31, v25, vcc_lo
	global_load_ushort v20, v[20:21], off
	global_load_ushort v21, v[22:23], off
	s_waitcnt vmcnt(17)
	ds_bpermute_b32 v22, v3, v18
	ds_bpermute_b32 v25, v9, v18
	s_waitcnt vmcnt(16)
	ds_bpermute_b32 v23, v3, v19
	ds_bpermute_b32 v27, v8, v18
	;; [unrolled: 1-line block ×14, first 2 shown]
	s_add_u32 s2, s2, s26
	v_add_co_u32 v6, vcc_lo, v6, s4
	s_addc_u32 s3, s3, 0
	v_add_co_ci_u32_e64 v7, null, s5, v7, vcc_lo
	v_add_co_u32 v4, vcc_lo, v4, s26
	v_cmp_lt_i64_e64 s1, s[2:3], s[16:17]
	v_add_co_ci_u32_e64 v5, null, 0, v5, vcc_lo
	v_add_co_u32 v2, vcc_lo, v2, s28
	v_add_co_ci_u32_e64 v15, null, s29, v15, vcc_lo
	s_and_b32 vcc_lo, exec_lo, s1
	s_waitcnt vmcnt(15)
	v_cvt_f32_f16_e32 v30, v30
	s_waitcnt vmcnt(14)
	v_cvt_f32_f16_e32 v31, v31
	;; [unrolled: 2-line block ×3, first 2 shown]
	v_add_f32_e32 v17, v17, v30
	s_waitcnt lgkmcnt(15)
	v_sub_f32_e32 v22, v31, v22
	v_cvt_f32_f16_e32 v31, v32
	s_waitcnt lgkmcnt(14)
	v_sub_f32_e32 v25, v33, v25
	v_mul_f32_e32 v22, v22, v30
	s_waitcnt vmcnt(11)
	v_cvt_f32_f16_e32 v30, v34
	v_add_f32_e32 v17, v17, v31
	s_waitcnt lgkmcnt(13)
	v_fmac_f32_e32 v16, v22, v23
	v_mul_f32_e32 v22, v25, v31
	v_add_f32_e32 v17, v17, v30
	s_waitcnt vmcnt(10)
	v_cvt_f32_f16_e32 v32, v35
	s_waitcnt lgkmcnt(11)
	v_fmac_f32_e32 v16, v22, v24
	s_waitcnt vmcnt(8)
	v_cvt_f32_f16_e32 v25, v37
	s_waitcnt vmcnt(6)
	v_cvt_f32_f16_e32 v24, v39
	v_sub_f32_e32 v23, v32, v27
	v_cvt_f32_f16_e32 v27, v36
	v_mul_f32_e32 v22, v23, v30
	s_waitcnt lgkmcnt(10)
	v_sub_f32_e32 v23, v25, v43
	v_cvt_f32_f16_e32 v25, v38
	v_add_f32_e32 v17, v17, v27
	s_waitcnt lgkmcnt(9)
	v_fmac_f32_e32 v16, v22, v26
	v_mul_f32_e32 v22, v23, v27
	s_waitcnt lgkmcnt(8)
	v_sub_f32_e32 v23, v24, v45
	s_waitcnt vmcnt(5)
	v_cvt_f32_f16_e32 v26, v28
	s_waitcnt vmcnt(4)
	v_cvt_f32_f16_e32 v24, v29
	v_add_f32_e32 v17, v17, v25
	s_waitcnt lgkmcnt(7)
	v_fmac_f32_e32 v16, v22, v42
	v_mul_f32_e32 v22, v23, v25
	s_waitcnt vmcnt(3)
	v_cvt_f32_f16_e32 v25, v40
	s_waitcnt lgkmcnt(6)
	v_sub_f32_e32 v23, v24, v47
	s_waitcnt vmcnt(2)
	v_cvt_f32_f16_e32 v24, v41
	v_add_f32_e32 v17, v17, v26
	s_waitcnt lgkmcnt(5)
	v_fmac_f32_e32 v16, v22, v44
	v_mul_f32_e32 v22, v23, v26
	s_waitcnt lgkmcnt(4)
	v_sub_f32_e32 v23, v24, v49
	s_waitcnt vmcnt(1)
	v_cvt_f32_f16_e32 v20, v20
	s_waitcnt vmcnt(0)
	v_cvt_f32_f16_e32 v21, v21
	v_add_f32_e32 v17, v17, v25
	s_waitcnt lgkmcnt(3)
	v_fmac_f32_e32 v16, v22, v46
	v_mul_f32_e32 v22, v23, v25
	s_waitcnt lgkmcnt(2)
	v_sub_f32_e32 v18, v20, v18
	v_add_f32_e32 v17, v17, v21
	s_waitcnt lgkmcnt(1)
	v_fmac_f32_e32 v16, v22, v48
	v_mul_f32_e32 v18, v18, v21
	s_waitcnt lgkmcnt(0)
	v_fmac_f32_e32 v16, v18, v19
	s_cbranch_vccz .LBB75_10
.LBB75_7:                               ; =>This Inner Loop Header: Depth=1
	v_mov_b32_e32 v19, 0
	v_mov_b32_e32 v18, 0
	s_and_saveexec_b32 s1, s0
	s_cbranch_execz .LBB75_6
; %bb.8:                                ;   in Loop: Header=BB75_7 Depth=1
	v_mov_b32_e32 v18, 0
	v_mov_b32_e32 v19, 0
	s_mov_b32 s27, exec_lo
	v_cmpx_gt_i64_e64 s[16:17], v[4:5]
	s_cbranch_execz .LBB75_5
; %bb.9:                                ;   in Loop: Header=BB75_7 Depth=1
	v_add_co_u32 v18, vcc_lo, s12, v6
	v_add_co_ci_u32_e64 v19, null, s13, v7, vcc_lo
	v_add_co_u32 v20, vcc_lo, s14, v6
	v_add_co_ci_u32_e64 v21, null, s15, v7, vcc_lo
	global_load_dword v18, v[18:19], off
	global_load_dword v19, v[20:21], off
	s_branch .LBB75_5
.LBB75_10:
	v_cvt_f16_f32_e32 v5, v16
	v_cvt_f16_f32_e32 v4, v17
.LBB75_11:
	s_load_dword s0, s[24:25], 0xc
	v_mov_b32_e32 v2, 0
	s_waitcnt lgkmcnt(0)
	s_lshr_b32 s0, s0, 16
	v_mad_u64_u32 v[1:2], null, s0, s7, v[1:2]
	s_mov_b32 s7, 0
	s_lshl_b64 s[0:1], s[6:7], 6
	s_cmp_eq_u64 s[20:21], 0
	v_or_b32_e32 v7, s0, v0
	v_mov_b32_e32 v8, s1
	v_mul_lo_u32 v0, v2, s18
	v_mul_lo_u32 v6, v1, s19
	v_lshlrev_b64 v[2:3], 1, v[7:8]
	s_cbranch_scc1 .LBB75_13
; %bb.12:
	v_mad_u64_u32 v[7:8], null, v1, s18, 0
	v_add3_u32 v8, v8, v6, v0
	v_lshlrev_b64 v[7:8], 1, v[7:8]
	v_add_co_u32 v7, vcc_lo, s20, v7
	v_add_co_ci_u32_e64 v8, null, s21, v8, vcc_lo
	v_add_co_u32 v7, vcc_lo, v7, v2
	v_add_co_ci_u32_e64 v8, null, v8, v3, vcc_lo
	global_store_short v[7:8], v5, off
.LBB75_13:
	s_cmp_eq_u64 s[22:23], 0
	s_cbranch_scc1 .LBB75_15
; %bb.14:
	v_mad_u64_u32 v[7:8], null, v1, s18, 0
	v_add3_u32 v8, v8, v6, v0
	v_lshlrev_b64 v[0:1], 1, v[7:8]
	v_add_co_u32 v0, vcc_lo, s22, v0
	v_add_co_ci_u32_e64 v1, null, s23, v1, vcc_lo
	v_add_co_u32 v0, vcc_lo, v0, v2
	v_add_co_ci_u32_e64 v1, null, v1, v3, vcc_lo
	global_store_short v[0:1], v4, off
.LBB75_15:
	s_endpgm
	.section	.rodata,"a",@progbits
	.p2align	6, 0x0
	.amdhsa_kernel _ZN2at6native12_GLOBAL__N_135GammaBetaBackwardCUDAKernelTemplateIN3c104HalfEfLj64ELj1ELj8ELb1ELb1ELb0EEEvllPKT_S7_PKT0_SA_PS5_SB_
		.amdhsa_group_segment_fixed_size 0
		.amdhsa_private_segment_fixed_size 0
		.amdhsa_kernarg_size 320
		.amdhsa_user_sgpr_count 6
		.amdhsa_user_sgpr_private_segment_buffer 1
		.amdhsa_user_sgpr_dispatch_ptr 0
		.amdhsa_user_sgpr_queue_ptr 0
		.amdhsa_user_sgpr_kernarg_segment_ptr 1
		.amdhsa_user_sgpr_dispatch_id 0
		.amdhsa_user_sgpr_flat_scratch_init 0
		.amdhsa_user_sgpr_private_segment_size 0
		.amdhsa_wavefront_size32 1
		.amdhsa_uses_dynamic_stack 0
		.amdhsa_system_sgpr_private_segment_wavefront_offset 0
		.amdhsa_system_sgpr_workgroup_id_x 1
		.amdhsa_system_sgpr_workgroup_id_y 1
		.amdhsa_system_sgpr_workgroup_id_z 0
		.amdhsa_system_sgpr_workgroup_info 0
		.amdhsa_system_vgpr_workitem_id 1
		.amdhsa_next_free_vgpr 50
		.amdhsa_next_free_sgpr 32
		.amdhsa_reserve_vcc 1
		.amdhsa_reserve_flat_scratch 0
		.amdhsa_float_round_mode_32 0
		.amdhsa_float_round_mode_16_64 0
		.amdhsa_float_denorm_mode_32 3
		.amdhsa_float_denorm_mode_16_64 3
		.amdhsa_dx10_clamp 1
		.amdhsa_ieee_mode 1
		.amdhsa_fp16_overflow 0
		.amdhsa_workgroup_processor_mode 1
		.amdhsa_memory_ordered 1
		.amdhsa_forward_progress 1
		.amdhsa_shared_vgpr_count 0
		.amdhsa_exception_fp_ieee_invalid_op 0
		.amdhsa_exception_fp_denorm_src 0
		.amdhsa_exception_fp_ieee_div_zero 0
		.amdhsa_exception_fp_ieee_overflow 0
		.amdhsa_exception_fp_ieee_underflow 0
		.amdhsa_exception_fp_ieee_inexact 0
		.amdhsa_exception_int_div_zero 0
	.end_amdhsa_kernel
	.section	.text._ZN2at6native12_GLOBAL__N_135GammaBetaBackwardCUDAKernelTemplateIN3c104HalfEfLj64ELj1ELj8ELb1ELb1ELb0EEEvllPKT_S7_PKT0_SA_PS5_SB_,"axG",@progbits,_ZN2at6native12_GLOBAL__N_135GammaBetaBackwardCUDAKernelTemplateIN3c104HalfEfLj64ELj1ELj8ELb1ELb1ELb0EEEvllPKT_S7_PKT0_SA_PS5_SB_,comdat
.Lfunc_end75:
	.size	_ZN2at6native12_GLOBAL__N_135GammaBetaBackwardCUDAKernelTemplateIN3c104HalfEfLj64ELj1ELj8ELb1ELb1ELb0EEEvllPKT_S7_PKT0_SA_PS5_SB_, .Lfunc_end75-_ZN2at6native12_GLOBAL__N_135GammaBetaBackwardCUDAKernelTemplateIN3c104HalfEfLj64ELj1ELj8ELb1ELb1ELb0EEEvllPKT_S7_PKT0_SA_PS5_SB_
                                        ; -- End function
	.set _ZN2at6native12_GLOBAL__N_135GammaBetaBackwardCUDAKernelTemplateIN3c104HalfEfLj64ELj1ELj8ELb1ELb1ELb0EEEvllPKT_S7_PKT0_SA_PS5_SB_.num_vgpr, 50
	.set _ZN2at6native12_GLOBAL__N_135GammaBetaBackwardCUDAKernelTemplateIN3c104HalfEfLj64ELj1ELj8ELb1ELb1ELb0EEEvllPKT_S7_PKT0_SA_PS5_SB_.num_agpr, 0
	.set _ZN2at6native12_GLOBAL__N_135GammaBetaBackwardCUDAKernelTemplateIN3c104HalfEfLj64ELj1ELj8ELb1ELb1ELb0EEEvllPKT_S7_PKT0_SA_PS5_SB_.numbered_sgpr, 32
	.set _ZN2at6native12_GLOBAL__N_135GammaBetaBackwardCUDAKernelTemplateIN3c104HalfEfLj64ELj1ELj8ELb1ELb1ELb0EEEvllPKT_S7_PKT0_SA_PS5_SB_.num_named_barrier, 0
	.set _ZN2at6native12_GLOBAL__N_135GammaBetaBackwardCUDAKernelTemplateIN3c104HalfEfLj64ELj1ELj8ELb1ELb1ELb0EEEvllPKT_S7_PKT0_SA_PS5_SB_.private_seg_size, 0
	.set _ZN2at6native12_GLOBAL__N_135GammaBetaBackwardCUDAKernelTemplateIN3c104HalfEfLj64ELj1ELj8ELb1ELb1ELb0EEEvllPKT_S7_PKT0_SA_PS5_SB_.uses_vcc, 1
	.set _ZN2at6native12_GLOBAL__N_135GammaBetaBackwardCUDAKernelTemplateIN3c104HalfEfLj64ELj1ELj8ELb1ELb1ELb0EEEvllPKT_S7_PKT0_SA_PS5_SB_.uses_flat_scratch, 0
	.set _ZN2at6native12_GLOBAL__N_135GammaBetaBackwardCUDAKernelTemplateIN3c104HalfEfLj64ELj1ELj8ELb1ELb1ELb0EEEvllPKT_S7_PKT0_SA_PS5_SB_.has_dyn_sized_stack, 0
	.set _ZN2at6native12_GLOBAL__N_135GammaBetaBackwardCUDAKernelTemplateIN3c104HalfEfLj64ELj1ELj8ELb1ELb1ELb0EEEvllPKT_S7_PKT0_SA_PS5_SB_.has_recursion, 0
	.set _ZN2at6native12_GLOBAL__N_135GammaBetaBackwardCUDAKernelTemplateIN3c104HalfEfLj64ELj1ELj8ELb1ELb1ELb0EEEvllPKT_S7_PKT0_SA_PS5_SB_.has_indirect_call, 0
	.section	.AMDGPU.csdata,"",@progbits
; Kernel info:
; codeLenInByte = 1564
; TotalNumSgprs: 34
; NumVgprs: 50
; ScratchSize: 0
; MemoryBound: 0
; FloatMode: 240
; IeeeMode: 1
; LDSByteSize: 0 bytes/workgroup (compile time only)
; SGPRBlocks: 0
; VGPRBlocks: 6
; NumSGPRsForWavesPerEU: 34
; NumVGPRsForWavesPerEU: 50
; Occupancy: 16
; WaveLimiterHint : 0
; COMPUTE_PGM_RSRC2:SCRATCH_EN: 0
; COMPUTE_PGM_RSRC2:USER_SGPR: 6
; COMPUTE_PGM_RSRC2:TRAP_HANDLER: 0
; COMPUTE_PGM_RSRC2:TGID_X_EN: 1
; COMPUTE_PGM_RSRC2:TGID_Y_EN: 1
; COMPUTE_PGM_RSRC2:TGID_Z_EN: 0
; COMPUTE_PGM_RSRC2:TIDIG_COMP_CNT: 1
	.section	.text._ZN2at6native12_GLOBAL__N_135GammaBetaBackwardCUDAKernelTemplateIN3c104HalfEfLj64ELj1ELj8ELb1ELb0ELb0EEEvllPKT_S7_PKT0_SA_PS5_SB_,"axG",@progbits,_ZN2at6native12_GLOBAL__N_135GammaBetaBackwardCUDAKernelTemplateIN3c104HalfEfLj64ELj1ELj8ELb1ELb0ELb0EEEvllPKT_S7_PKT0_SA_PS5_SB_,comdat
	.globl	_ZN2at6native12_GLOBAL__N_135GammaBetaBackwardCUDAKernelTemplateIN3c104HalfEfLj64ELj1ELj8ELb1ELb0ELb0EEEvllPKT_S7_PKT0_SA_PS5_SB_ ; -- Begin function _ZN2at6native12_GLOBAL__N_135GammaBetaBackwardCUDAKernelTemplateIN3c104HalfEfLj64ELj1ELj8ELb1ELb0ELb0EEEvllPKT_S7_PKT0_SA_PS5_SB_
	.p2align	8
	.type	_ZN2at6native12_GLOBAL__N_135GammaBetaBackwardCUDAKernelTemplateIN3c104HalfEfLj64ELj1ELj8ELb1ELb0ELb0EEEvllPKT_S7_PKT0_SA_PS5_SB_,@function
_ZN2at6native12_GLOBAL__N_135GammaBetaBackwardCUDAKernelTemplateIN3c104HalfEfLj64ELj1ELj8ELb1ELb0ELb0EEEvllPKT_S7_PKT0_SA_PS5_SB_: ; @_ZN2at6native12_GLOBAL__N_135GammaBetaBackwardCUDAKernelTemplateIN3c104HalfEfLj64ELj1ELj8ELb1ELb0ELb0EEEvllPKT_S7_PKT0_SA_PS5_SB_
; %bb.0:
	s_clause 0x1
	s_load_dwordx8 s[8:15], s[4:5], 0x0
	s_load_dwordx4 s[16:19], s[4:5], 0x20
	s_mov_b32 s0, s7
	s_lshl_b32 s7, s6, 6
	s_mov_b32 s21, 0
	s_or_b32 s20, s7, 63
	s_waitcnt lgkmcnt(0)
	v_cmp_le_i64_e64 s1, s[10:11], s[20:21]
	s_lshl_b32 s20, s0, 3
	v_cmp_gt_i64_e64 s28, s[8:9], s[20:21]
	s_and_b32 vcc_lo, exec_lo, s1
	v_cndmask_b32_e64 v2, 0, 1, s28
	v_cmp_ne_u32_e64 s1, 1, v2
	s_cbranch_vccz .LBB76_49
; %bb.1:
	v_mov_b32_e32 v11, 0
	v_mov_b32_e32 v58, 0
	s_and_b32 vcc_lo, exec_lo, s1
	s_cbranch_vccnz .LBB76_50
; %bb.2:
	v_lshlrev_b32_e32 v23, 3, v1
	v_mov_b32_e32 v2, 0
	v_add_nc_u32_e32 v3, s7, v0
	s_load_dword s2, s[4:5], 0x44
	s_add_u32 s22, s4, 64
	v_add_co_u32 v11, s1, v23, s20
	v_add_co_ci_u32_e64 v12, null, 0, 0, s1
	v_mov_b32_e32 v4, v2
	v_mul_lo_u32 v7, s11, v11
	v_mad_u64_u32 v[5:6], null, s10, v11, 0
	v_mul_lo_u32 v8, s10, v12
	v_cmp_gt_i64_e64 s1, s[10:11], v[3:4]
	v_lshlrev_b64 v[19:20], 1, v[3:4]
	s_addc_u32 s23, s5, 0
	v_mov_b32_e32 v24, v2
	v_mov_b32_e32 v58, 0
	;; [unrolled: 1-line block ×3, first 2 shown]
	s_mov_b64 s[26:27], s[20:21]
	v_add3_u32 v6, v6, v8, v7
	v_add_co_u32 v7, vcc_lo, v11, 7
	v_add_co_ci_u32_e64 v8, null, 0, v12, vcc_lo
	v_add_co_u32 v9, vcc_lo, v11, 6
	v_add_co_ci_u32_e64 v10, null, 0, v12, vcc_lo
	v_lshlrev_b64 v[3:4], 1, v[5:6]
	v_mul_lo_u32 v13, s11, v7
	v_mul_lo_u32 v14, s10, v8
	v_mad_u64_u32 v[7:8], null, s10, v7, 0
	v_mul_lo_u32 v15, s11, v9
	v_mul_lo_u32 v16, s10, v10
	v_mad_u64_u32 v[9:10], null, s10, v9, 0
	v_add_co_u32 v25, vcc_lo, s12, v3
	v_add_co_ci_u32_e64 v26, null, s13, v4, vcc_lo
	v_add_co_u32 v27, vcc_lo, s14, v3
	v_add3_u32 v8, v8, v14, v13
	v_add_co_ci_u32_e64 v28, null, s15, v4, vcc_lo
	v_add_co_u32 v13, vcc_lo, v11, 5
	v_add3_u32 v10, v10, v16, v15
	v_add_co_ci_u32_e64 v14, null, 0, v12, vcc_lo
	v_lshlrev_b64 v[3:4], 1, v[7:8]
	v_mul_lo_u32 v15, s11, v13
	v_lshlrev_b64 v[7:8], 1, v[9:10]
	v_mul_lo_u32 v14, s10, v14
	v_mad_u64_u32 v[9:10], null, s10, v13, 0
	v_add_co_u32 v29, vcc_lo, s12, v3
	v_add_co_ci_u32_e64 v30, null, s13, v4, vcc_lo
	v_add_co_u32 v31, vcc_lo, s14, v3
	s_waitcnt lgkmcnt(0)
	s_lshl_b32 s29, s2, 3
	v_add_co_ci_u32_e64 v32, null, s15, v4, vcc_lo
	v_add_co_u32 v33, vcc_lo, s12, v7
	v_add3_u32 v10, v10, v14, v15
	s_mul_i32 s2, s11, s29
	s_mul_hi_u32 s3, s10, s29
	v_add_co_ci_u32_e64 v34, null, s13, v8, vcc_lo
	v_add_co_u32 v13, vcc_lo, v11, 4
	s_add_i32 s25, s3, s2
	v_add_co_u32 v35, s2, s14, v7
	v_add_co_ci_u32_e64 v7, null, 0, v12, vcc_lo
	v_lshlrev_b64 v[3:4], 1, v[9:10]
	v_add_co_u32 v9, vcc_lo, v11, 3
	v_add_co_ci_u32_e64 v10, null, 0, v12, vcc_lo
	v_add_co_ci_u32_e64 v36, null, s15, v8, s2
	v_mul_lo_u32 v14, s11, v13
	v_mul_lo_u32 v15, s10, v7
	v_mad_u64_u32 v[7:8], null, s10, v13, 0
	v_mul_lo_u32 v13, s11, v9
	v_mul_lo_u32 v16, s10, v10
	v_mad_u64_u32 v[9:10], null, s10, v9, 0
	v_add_co_u32 v37, vcc_lo, s12, v3
	v_add_co_ci_u32_e64 v38, null, s13, v4, vcc_lo
	v_add3_u32 v8, v8, v15, v14
	v_add_co_u32 v39, vcc_lo, s14, v3
	v_add_co_ci_u32_e64 v40, null, s15, v4, vcc_lo
	v_add_co_u32 v11, vcc_lo, v11, 2
	v_add3_u32 v10, v10, v16, v13
	v_add_co_ci_u32_e64 v12, null, 0, v12, vcc_lo
	v_lshlrev_b64 v[3:4], 1, v[7:8]
	v_mul_lo_u32 v13, s11, v11
	v_lshlrev_b64 v[7:8], 1, v[9:10]
	v_mul_lo_u32 v12, s10, v12
	v_mad_u64_u32 v[9:10], null, s10, v11, 0
	v_add_co_u32 v41, vcc_lo, s12, v3
	v_add_co_ci_u32_e64 v42, null, s13, v4, vcc_lo
	v_add_co_u32 v43, vcc_lo, s14, v3
	v_add_co_ci_u32_e64 v44, null, s15, v4, vcc_lo
	;; [unrolled: 2-line block ×3, first 2 shown]
	v_add3_u32 v10, v10, v12, v13
	v_add_co_u32 v47, vcc_lo, s14, v7
	v_add_co_ci_u32_e64 v48, null, s15, v8, vcc_lo
	v_add_co_u32 v5, vcc_lo, v5, s10
	v_add_co_ci_u32_e64 v6, null, s11, v6, vcc_lo
	v_lshlrev_b64 v[3:4], 1, v[9:10]
	s_mul_i32 s24, s10, s29
	v_lshlrev_b64 v[5:6], 1, v[5:6]
	s_lshl_b64 s[2:3], s[24:25], 1
	s_mov_b64 s[24:25], 7
	v_add_co_u32 v49, vcc_lo, s12, v3
	v_add_co_ci_u32_e64 v50, null, s13, v4, vcc_lo
	v_add_co_u32 v51, vcc_lo, s14, v3
	v_add_co_ci_u32_e64 v52, null, s15, v4, vcc_lo
	v_add_co_u32 v53, vcc_lo, s12, v5
	v_add_co_ci_u32_e64 v54, null, s13, v6, vcc_lo
	v_add_co_u32 v55, vcc_lo, s14, v5
	v_add_co_ci_u32_e64 v56, null, s15, v6, vcc_lo
.LBB76_3:                               ; =>This Inner Loop Header: Depth=1
	s_add_u32 s30, s20, s24
	s_addc_u32 s31, 0, s25
	v_add_co_u32 v21, vcc_lo, s20, v23
	v_cmp_ge_i64_e64 s30, s[30:31], s[8:9]
	v_add_co_ci_u32_e64 v22, null, 0, v24, vcc_lo
                                        ; implicit-def: $vgpr11_vgpr12_vgpr13_vgpr14_vgpr15_vgpr16_vgpr17_vgpr18
                                        ; implicit-def: $vgpr3_vgpr4_vgpr5_vgpr6_vgpr7_vgpr8_vgpr9_vgpr10
                                        ; implicit-def: $vgpr60
                                        ; implicit-def: $vgpr3
                                        ; implicit-def: $vgpr11
                                        ; implicit-def: $vgpr4
	s_and_b32 vcc_lo, exec_lo, s30
	s_mov_b32 s30, -1
	s_cbranch_vccz .LBB76_25
; %bb.4:                                ;   in Loop: Header=BB76_3 Depth=1
	s_load_dword s30, s[22:23], 0xc
	v_mov_b32_e32 v60, 0
	v_mov_b32_e32 v59, 0
	s_waitcnt lgkmcnt(0)
	s_and_b32 s30, s30, 0xffff
	v_mad_u32_u24 v3, v1, s30, v0
	s_mov_b32 s30, exec_lo
	v_and_b32_e32 v3, 31, v3
	v_cmpx_gt_u32_e32 8, v3
	s_cbranch_execz .LBB76_8
; %bb.5:                                ;   in Loop: Header=BB76_3 Depth=1
	v_add_co_u32 v3, vcc_lo, v21, v3
	v_add_co_ci_u32_e64 v4, null, 0, v22, vcc_lo
	v_mov_b32_e32 v59, 0
	v_mov_b32_e32 v60, 0
	s_mov_b32 s31, exec_lo
	v_cmpx_gt_i64_e64 s[8:9], v[3:4]
	s_cbranch_execz .LBB76_7
; %bb.6:                                ;   in Loop: Header=BB76_3 Depth=1
	v_lshlrev_b64 v[3:4], 2, v[3:4]
	v_add_co_u32 v5, vcc_lo, s16, v3
	v_add_co_ci_u32_e64 v6, null, s17, v4, vcc_lo
	v_add_co_u32 v3, vcc_lo, s18, v3
	v_add_co_ci_u32_e64 v4, null, s19, v4, vcc_lo
	global_load_dword v59, v[5:6], off
	global_load_dword v60, v[3:4], off
.LBB76_7:                               ;   in Loop: Header=BB76_3 Depth=1
	s_or_b32 exec_lo, exec_lo, s31
.LBB76_8:                               ;   in Loop: Header=BB76_3 Depth=1
	s_or_b32 exec_lo, exec_lo, s30
	v_mov_b32_e32 v9, v2
	v_mov_b32_e32 v3, v2
	;; [unrolled: 1-line block ×7, first 2 shown]
	v_cmp_gt_i64_e32 vcc_lo, s[8:9], v[21:22]
	v_mov_b32_e32 v18, v9
	v_mov_b32_e32 v15, v6
	;; [unrolled: 1-line block ×16, first 2 shown]
	s_and_b32 s31, s1, vcc_lo
	s_and_saveexec_b32 s30, s31
	s_cbranch_execz .LBB76_10
; %bb.9:                                ;   in Loop: Header=BB76_3 Depth=1
	v_add_co_u32 v3, vcc_lo, v25, v19
	v_add_co_ci_u32_e64 v4, null, v26, v20, vcc_lo
	v_add_co_u32 v5, vcc_lo, v27, v19
	v_add_co_ci_u32_e64 v6, null, v28, v20, vcc_lo
	global_load_ushort v3, v[3:4], off
	global_load_ushort v11, v[5:6], off
	v_mov_b32_e32 v4, v2
	v_mov_b32_e32 v5, v2
	v_mov_b32_e32 v6, v2
	v_mov_b32_e32 v7, v2
	v_mov_b32_e32 v8, v2
	v_mov_b32_e32 v9, v2
	v_mov_b32_e32 v10, v2
	v_mov_b32_e32 v12, v2
	v_mov_b32_e32 v13, v2
	v_mov_b32_e32 v14, v2
	v_mov_b32_e32 v15, v2
	v_mov_b32_e32 v16, v2
	v_mov_b32_e32 v17, v2
	v_mov_b32_e32 v18, v2
	s_waitcnt vmcnt(1)
	v_cvt_f32_f16_e32 v3, v3
	s_waitcnt vmcnt(0)
	v_cvt_f32_f16_e32 v11, v11
.LBB76_10:                              ;   in Loop: Header=BB76_3 Depth=1
	s_or_b32 exec_lo, exec_lo, s30
	v_add_co_u32 v61, vcc_lo, v21, 1
	v_add_co_ci_u32_e64 v62, null, 0, v22, vcc_lo
	v_cmp_gt_i64_e32 vcc_lo, s[8:9], v[61:62]
	s_and_b32 s31, s1, vcc_lo
	s_and_saveexec_b32 s30, s31
	s_cbranch_execz .LBB76_12
; %bb.11:                               ;   in Loop: Header=BB76_3 Depth=1
	v_add_co_u32 v61, vcc_lo, v53, v19
	v_add_co_ci_u32_e64 v62, null, v54, v20, vcc_lo
	v_add_co_u32 v63, vcc_lo, v55, v19
	v_add_co_ci_u32_e64 v64, null, v56, v20, vcc_lo
	global_load_ushort v4, v[61:62], off
	global_load_ushort v12, v[63:64], off
	s_waitcnt vmcnt(1)
	v_cvt_f32_f16_e32 v4, v4
	s_waitcnt vmcnt(0)
	v_cvt_f32_f16_e32 v12, v12
.LBB76_12:                              ;   in Loop: Header=BB76_3 Depth=1
	s_or_b32 exec_lo, exec_lo, s30
	v_add_co_u32 v61, vcc_lo, v21, 2
	v_add_co_ci_u32_e64 v62, null, 0, v22, vcc_lo
	v_cmp_gt_i64_e32 vcc_lo, s[8:9], v[61:62]
	s_and_b32 s31, s1, vcc_lo
	s_and_saveexec_b32 s30, s31
	s_cbranch_execz .LBB76_14
; %bb.13:                               ;   in Loop: Header=BB76_3 Depth=1
	v_add_co_u32 v61, vcc_lo, v49, v19
	v_add_co_ci_u32_e64 v62, null, v50, v20, vcc_lo
	v_add_co_u32 v63, vcc_lo, v51, v19
	v_add_co_ci_u32_e64 v64, null, v52, v20, vcc_lo
	global_load_ushort v5, v[61:62], off
	global_load_ushort v13, v[63:64], off
	s_waitcnt vmcnt(1)
	v_cvt_f32_f16_e32 v5, v5
	s_waitcnt vmcnt(0)
	v_cvt_f32_f16_e32 v13, v13
.LBB76_14:                              ;   in Loop: Header=BB76_3 Depth=1
	;; [unrolled: 19-line block ×7, first 2 shown]
	s_or_b32 exec_lo, exec_lo, s30
	s_waitcnt vmcnt(1)
	ds_bpermute_b32 v61, v2, v59
	ds_bpermute_b32 v62, v2, v59 offset:4
	ds_bpermute_b32 v63, v2, v59 offset:8
	s_waitcnt vmcnt(0)
	ds_bpermute_b32 v64, v2, v60
	ds_bpermute_b32 v65, v2, v59 offset:12
	ds_bpermute_b32 v66, v2, v60 offset:4
	;; [unrolled: 1-line block ×7, first 2 shown]
	s_mov_b32 s30, 0
	s_waitcnt lgkmcnt(10)
	v_sub_f32_e32 v11, v11, v61
	v_add_f32_e32 v61, v58, v3
	s_waitcnt lgkmcnt(9)
	v_sub_f32_e32 v12, v12, v62
	ds_bpermute_b32 v62, v2, v60 offset:16
	s_waitcnt lgkmcnt(9)
	v_sub_f32_e32 v13, v13, v63
	v_mul_f32_e32 v3, v3, v11
	ds_bpermute_b32 v63, v2, v60 offset:20
	v_mul_f32_e32 v12, v4, v12
	v_add_f32_e32 v4, v4, v61
	v_mul_f32_e32 v13, v5, v13
	s_waitcnt lgkmcnt(9)
	v_fma_f32 v11, v3, v64, v57
	s_waitcnt lgkmcnt(8)
	v_sub_f32_e32 v3, v14, v65
	ds_bpermute_b32 v64, v2, v60 offset:24
	v_add_f32_e32 v4, v5, v4
	ds_bpermute_b32 v60, v2, v60 offset:28
	s_waitcnt lgkmcnt(9)
	v_fmac_f32_e32 v11, v12, v66
	s_waitcnt lgkmcnt(8)
	v_sub_f32_e32 v12, v15, v67
	v_mul_f32_e32 v14, v6, v3
	ds_bpermute_b32 v3, v2, v59 offset:28
	s_waitcnt lgkmcnt(6)
	v_sub_f32_e32 v5, v16, v70
	v_fmac_f32_e32 v11, v13, v68
	v_mul_f32_e32 v12, v7, v12
	v_add_f32_e32 v4, v6, v4
	s_waitcnt lgkmcnt(5)
	v_sub_f32_e32 v6, v17, v71
	v_mul_f32_e32 v5, v8, v5
	v_fmac_f32_e32 v11, v14, v69
	v_add_f32_e32 v4, v7, v4
	v_mul_f32_e32 v6, v9, v6
	s_waitcnt lgkmcnt(4)
	v_fmac_f32_e32 v11, v12, v62
	v_add_f32_e32 v4, v8, v4
	s_waitcnt lgkmcnt(3)
	v_fmac_f32_e32 v11, v5, v63
	v_add_f32_e32 v4, v9, v4
	s_waitcnt lgkmcnt(2)
	v_fmac_f32_e32 v11, v6, v64
.LBB76_25:                              ;   in Loop: Header=BB76_3 Depth=1
	s_and_b32 vcc_lo, exec_lo, s30
	s_cbranch_vccz .LBB76_40
; %bb.26:                               ;   in Loop: Header=BB76_3 Depth=1
	s_load_dword s30, s[22:23], 0x0
	s_waitcnt lgkmcnt(0)
	v_mov_b32_e32 v60, 0
	v_mov_b32_e32 v59, 0
	s_cmp_lt_u32 s6, s30
	s_cselect_b32 s30, 12, 18
	s_add_u32 s30, s22, s30
	s_addc_u32 s31, s23, 0
	global_load_ushort v3, v2, s[30:31]
	s_mov_b32 s30, exec_lo
	s_waitcnt vmcnt(0)
	v_mad_u32_u24 v3, v1, v3, v0
	v_and_b32_e32 v3, 31, v3
	v_cmpx_gt_u32_e32 8, v3
	s_cbranch_execz .LBB76_30
; %bb.27:                               ;   in Loop: Header=BB76_3 Depth=1
	v_add_co_u32 v3, vcc_lo, v21, v3
	v_add_co_ci_u32_e64 v4, null, 0, v22, vcc_lo
	v_mov_b32_e32 v59, 0
	v_mov_b32_e32 v60, 0
	s_mov_b32 s31, exec_lo
	v_cmpx_gt_i64_e64 s[8:9], v[3:4]
	s_cbranch_execz .LBB76_29
; %bb.28:                               ;   in Loop: Header=BB76_3 Depth=1
	v_lshlrev_b64 v[3:4], 2, v[3:4]
	v_add_co_u32 v5, vcc_lo, s16, v3
	v_add_co_ci_u32_e64 v6, null, s17, v4, vcc_lo
	v_add_co_u32 v3, vcc_lo, s18, v3
	v_add_co_ci_u32_e64 v4, null, s19, v4, vcc_lo
	global_load_dword v59, v[5:6], off
	global_load_dword v60, v[3:4], off
.LBB76_29:                              ;   in Loop: Header=BB76_3 Depth=1
	s_or_b32 exec_lo, exec_lo, s31
.LBB76_30:                              ;   in Loop: Header=BB76_3 Depth=1
	s_or_b32 exec_lo, exec_lo, s30
	v_mov_b32_e32 v9, v2
	v_mov_b32_e32 v3, v2
	v_mov_b32_e32 v4, v2
	v_mov_b32_e32 v5, v2
	v_mov_b32_e32 v6, v2
	v_mov_b32_e32 v7, v2
	v_mov_b32_e32 v8, v2
	v_mov_b32_e32 v18, v9
	v_mov_b32_e32 v14, v5
	v_mov_b32_e32 v15, v6
	v_mov_b32_e32 v16, v7
	v_mov_b32_e32 v17, v8
	v_mov_b32_e32 v13, v4
	v_mov_b32_e32 v12, v3
	v_mov_b32_e32 v11, v2
	v_mov_b32_e32 v10, v9
	v_mov_b32_e32 v9, v8
	v_mov_b32_e32 v8, v7
	v_mov_b32_e32 v7, v6
	v_mov_b32_e32 v6, v5
	v_mov_b32_e32 v5, v4
	v_mov_b32_e32 v4, v3
	v_mov_b32_e32 v3, v2
	s_and_saveexec_b32 s30, s1
	s_cbranch_execnz .LBB76_42
; %bb.31:                               ;   in Loop: Header=BB76_3 Depth=1
	s_or_b32 exec_lo, exec_lo, s30
	s_and_saveexec_b32 s30, s1
	s_cbranch_execnz .LBB76_43
.LBB76_32:                              ;   in Loop: Header=BB76_3 Depth=1
	s_or_b32 exec_lo, exec_lo, s30
	s_and_saveexec_b32 s30, s1
	s_cbranch_execnz .LBB76_44
.LBB76_33:                              ;   in Loop: Header=BB76_3 Depth=1
	s_or_b32 exec_lo, exec_lo, s30
	s_and_saveexec_b32 s30, s1
	s_cbranch_execnz .LBB76_45
.LBB76_34:                              ;   in Loop: Header=BB76_3 Depth=1
	s_or_b32 exec_lo, exec_lo, s30
	s_and_saveexec_b32 s30, s1
	s_cbranch_execnz .LBB76_46
.LBB76_35:                              ;   in Loop: Header=BB76_3 Depth=1
	s_or_b32 exec_lo, exec_lo, s30
	s_and_saveexec_b32 s30, s1
	s_cbranch_execnz .LBB76_47
.LBB76_36:                              ;   in Loop: Header=BB76_3 Depth=1
	s_or_b32 exec_lo, exec_lo, s30
	s_and_saveexec_b32 s30, s1
	s_cbranch_execnz .LBB76_48
.LBB76_37:                              ;   in Loop: Header=BB76_3 Depth=1
	s_or_b32 exec_lo, exec_lo, s30
	s_and_saveexec_b32 s30, s1
	s_cbranch_execz .LBB76_39
.LBB76_38:                              ;   in Loop: Header=BB76_3 Depth=1
	v_add_co_u32 v21, vcc_lo, v29, v19
	v_add_co_ci_u32_e64 v22, null, v30, v20, vcc_lo
	v_add_co_u32 v61, vcc_lo, v31, v19
	v_add_co_ci_u32_e64 v62, null, v32, v20, vcc_lo
	global_load_ushort v10, v[21:22], off
	global_load_ushort v18, v[61:62], off
	s_waitcnt vmcnt(1)
	v_cvt_f32_f16_e32 v10, v10
	s_waitcnt vmcnt(0)
	v_cvt_f32_f16_e32 v18, v18
.LBB76_39:                              ;   in Loop: Header=BB76_3 Depth=1
	s_or_b32 exec_lo, exec_lo, s30
	s_waitcnt vmcnt(1)
	ds_bpermute_b32 v21, v2, v59
	ds_bpermute_b32 v22, v2, v59 offset:4
	ds_bpermute_b32 v61, v2, v59 offset:8
	s_waitcnt vmcnt(0)
	ds_bpermute_b32 v62, v2, v60
	ds_bpermute_b32 v63, v2, v59 offset:12
	ds_bpermute_b32 v64, v2, v60 offset:4
	;; [unrolled: 1-line block ×5, first 2 shown]
	s_waitcnt lgkmcnt(8)
	v_sub_f32_e32 v11, v11, v21
	ds_bpermute_b32 v21, v2, v60 offset:12
	s_waitcnt lgkmcnt(8)
	v_sub_f32_e32 v12, v12, v22
	ds_bpermute_b32 v22, v2, v60 offset:16
	s_waitcnt lgkmcnt(8)
	v_sub_f32_e32 v13, v13, v61
	v_mul_f32_e32 v11, v3, v11
	v_add_f32_e32 v3, v58, v3
	v_mul_f32_e32 v12, v4, v12
	ds_bpermute_b32 v58, v2, v60 offset:20
	s_waitcnt lgkmcnt(7)
	v_sub_f32_e32 v14, v14, v63
	v_fmac_f32_e32 v57, v11, v62
	ds_bpermute_b32 v11, v2, v59 offset:24
	v_mul_f32_e32 v13, v5, v13
	v_add_f32_e32 v3, v4, v3
	s_waitcnt lgkmcnt(6)
	v_sub_f32_e32 v4, v15, v65
	v_fmac_f32_e32 v57, v12, v64
	v_mul_f32_e32 v12, v6, v14
	s_waitcnt lgkmcnt(4)
	v_sub_f32_e32 v14, v16, v67
	v_add_f32_e32 v5, v5, v3
	v_mul_f32_e32 v4, v7, v4
	v_fmac_f32_e32 v57, v13, v66
	ds_bpermute_b32 v13, v2, v60 offset:24
	ds_bpermute_b32 v60, v2, v60 offset:28
	;; [unrolled: 1-line block ×3, first 2 shown]
	v_add_f32_e32 v5, v6, v5
	s_waitcnt lgkmcnt(6)
	v_fmac_f32_e32 v57, v12, v21
	v_mul_f32_e32 v6, v8, v14
	v_add_f32_e32 v5, v7, v5
	s_waitcnt lgkmcnt(5)
	v_fmac_f32_e32 v57, v4, v22
	s_waitcnt lgkmcnt(3)
	v_sub_f32_e32 v4, v17, v11
	v_add_f32_e32 v5, v8, v5
	v_fmac_f32_e32 v57, v6, v58
	v_mul_f32_e32 v4, v9, v4
	s_waitcnt lgkmcnt(2)
	v_fmac_f32_e32 v57, v4, v13
	v_add_f32_e32 v4, v9, v5
	v_mov_b32_e32 v11, v57
.LBB76_40:                              ;   in Loop: Header=BB76_3 Depth=1
	v_add_co_u32 v25, vcc_lo, v25, s2
	v_add_co_ci_u32_e64 v26, null, s3, v26, vcc_lo
	v_add_co_u32 v27, vcc_lo, v27, s2
	v_add_co_ci_u32_e64 v28, null, s3, v28, vcc_lo
	;; [unrolled: 2-line block ×11, first 2 shown]
	v_add_co_u32 v47, vcc_lo, v47, s2
	s_waitcnt lgkmcnt(0)
	v_sub_f32_e32 v3, v18, v3
	v_add_co_ci_u32_e64 v48, null, s3, v48, vcc_lo
	v_add_co_u32 v49, vcc_lo, v49, s2
	v_add_co_ci_u32_e64 v50, null, s3, v50, vcc_lo
	v_add_co_u32 v51, vcc_lo, v51, s2
	s_add_u32 s26, s26, s29
	v_add_co_ci_u32_e64 v52, null, s3, v52, vcc_lo
	v_add_co_u32 v53, vcc_lo, v53, s2
	v_mul_f32_e32 v3, v10, v3
	s_addc_u32 s27, s27, 0
	v_add_co_ci_u32_e64 v54, null, s3, v54, vcc_lo
	v_add_co_u32 v55, vcc_lo, v55, s2
	v_cmp_lt_i64_e64 s30, s[26:27], s[8:9]
	v_add_co_ci_u32_e64 v56, null, s3, v56, vcc_lo
	v_add_co_u32 v23, vcc_lo, v23, s29
	v_add_f32_e32 v58, v4, v10
	v_fmac_f32_e32 v11, v3, v60
	v_add_co_ci_u32_e64 v24, null, 0, v24, vcc_lo
	s_add_u32 s24, s24, s29
	s_addc_u32 s25, 0, s25
	s_and_b32 vcc_lo, exec_lo, s30
	s_cbranch_vccz .LBB76_50
; %bb.41:                               ;   in Loop: Header=BB76_3 Depth=1
	v_mov_b32_e32 v57, v11
	s_branch .LBB76_3
.LBB76_42:                              ;   in Loop: Header=BB76_3 Depth=1
	v_add_co_u32 v3, vcc_lo, v25, v19
	v_add_co_ci_u32_e64 v4, null, v26, v20, vcc_lo
	v_add_co_u32 v5, vcc_lo, v27, v19
	v_add_co_ci_u32_e64 v6, null, v28, v20, vcc_lo
	global_load_ushort v3, v[3:4], off
	global_load_ushort v11, v[5:6], off
	v_mov_b32_e32 v4, v2
	v_mov_b32_e32 v5, v2
	;; [unrolled: 1-line block ×14, first 2 shown]
	s_waitcnt vmcnt(1)
	v_cvt_f32_f16_e32 v3, v3
	s_waitcnt vmcnt(0)
	v_cvt_f32_f16_e32 v11, v11
	s_or_b32 exec_lo, exec_lo, s30
	s_and_saveexec_b32 s30, s1
	s_cbranch_execz .LBB76_32
.LBB76_43:                              ;   in Loop: Header=BB76_3 Depth=1
	v_add_co_u32 v21, vcc_lo, v53, v19
	v_add_co_ci_u32_e64 v22, null, v54, v20, vcc_lo
	v_add_co_u32 v61, vcc_lo, v55, v19
	v_add_co_ci_u32_e64 v62, null, v56, v20, vcc_lo
	global_load_ushort v4, v[21:22], off
	global_load_ushort v12, v[61:62], off
	s_waitcnt vmcnt(1)
	v_cvt_f32_f16_e32 v4, v4
	s_waitcnt vmcnt(0)
	v_cvt_f32_f16_e32 v12, v12
	s_or_b32 exec_lo, exec_lo, s30
	s_and_saveexec_b32 s30, s1
	s_cbranch_execz .LBB76_33
.LBB76_44:                              ;   in Loop: Header=BB76_3 Depth=1
	v_add_co_u32 v21, vcc_lo, v49, v19
	v_add_co_ci_u32_e64 v22, null, v50, v20, vcc_lo
	v_add_co_u32 v61, vcc_lo, v51, v19
	v_add_co_ci_u32_e64 v62, null, v52, v20, vcc_lo
	global_load_ushort v5, v[21:22], off
	global_load_ushort v13, v[61:62], off
	s_waitcnt vmcnt(1)
	v_cvt_f32_f16_e32 v5, v5
	s_waitcnt vmcnt(0)
	v_cvt_f32_f16_e32 v13, v13
	s_or_b32 exec_lo, exec_lo, s30
	s_and_saveexec_b32 s30, s1
	s_cbranch_execz .LBB76_34
.LBB76_45:                              ;   in Loop: Header=BB76_3 Depth=1
	v_add_co_u32 v21, vcc_lo, v45, v19
	v_add_co_ci_u32_e64 v22, null, v46, v20, vcc_lo
	v_add_co_u32 v61, vcc_lo, v47, v19
	v_add_co_ci_u32_e64 v62, null, v48, v20, vcc_lo
	global_load_ushort v6, v[21:22], off
	global_load_ushort v14, v[61:62], off
	s_waitcnt vmcnt(1)
	v_cvt_f32_f16_e32 v6, v6
	s_waitcnt vmcnt(0)
	v_cvt_f32_f16_e32 v14, v14
	s_or_b32 exec_lo, exec_lo, s30
	s_and_saveexec_b32 s30, s1
	s_cbranch_execz .LBB76_35
.LBB76_46:                              ;   in Loop: Header=BB76_3 Depth=1
	v_add_co_u32 v21, vcc_lo, v41, v19
	v_add_co_ci_u32_e64 v22, null, v42, v20, vcc_lo
	v_add_co_u32 v61, vcc_lo, v43, v19
	v_add_co_ci_u32_e64 v62, null, v44, v20, vcc_lo
	global_load_ushort v7, v[21:22], off
	global_load_ushort v15, v[61:62], off
	s_waitcnt vmcnt(1)
	v_cvt_f32_f16_e32 v7, v7
	s_waitcnt vmcnt(0)
	v_cvt_f32_f16_e32 v15, v15
	s_or_b32 exec_lo, exec_lo, s30
	s_and_saveexec_b32 s30, s1
	s_cbranch_execz .LBB76_36
.LBB76_47:                              ;   in Loop: Header=BB76_3 Depth=1
	v_add_co_u32 v21, vcc_lo, v37, v19
	v_add_co_ci_u32_e64 v22, null, v38, v20, vcc_lo
	v_add_co_u32 v61, vcc_lo, v39, v19
	v_add_co_ci_u32_e64 v62, null, v40, v20, vcc_lo
	global_load_ushort v8, v[21:22], off
	global_load_ushort v16, v[61:62], off
	s_waitcnt vmcnt(1)
	v_cvt_f32_f16_e32 v8, v8
	s_waitcnt vmcnt(0)
	v_cvt_f32_f16_e32 v16, v16
	s_or_b32 exec_lo, exec_lo, s30
	s_and_saveexec_b32 s30, s1
	s_cbranch_execz .LBB76_37
.LBB76_48:                              ;   in Loop: Header=BB76_3 Depth=1
	v_add_co_u32 v21, vcc_lo, v33, v19
	v_add_co_ci_u32_e64 v22, null, v34, v20, vcc_lo
	v_add_co_u32 v61, vcc_lo, v35, v19
	v_add_co_ci_u32_e64 v62, null, v36, v20, vcc_lo
	global_load_ushort v9, v[21:22], off
	global_load_ushort v17, v[61:62], off
	s_waitcnt vmcnt(1)
	v_cvt_f32_f16_e32 v9, v9
	s_waitcnt vmcnt(0)
	v_cvt_f32_f16_e32 v17, v17
	s_or_b32 exec_lo, exec_lo, s30
	s_and_saveexec_b32 s30, s1
	s_cbranch_execnz .LBB76_38
	s_branch .LBB76_39
.LBB76_49:
                                        ; implicit-def: $vgpr11
                                        ; implicit-def: $vgpr58
	s_branch .LBB76_51
.LBB76_50:
	s_cbranch_execnz .LBB76_83
.LBB76_51:
	v_mov_b32_e32 v11, 0
	v_mov_b32_e32 v58, 0
	s_andn2_b32 vcc_lo, exec_lo, s28
	s_cbranch_vccnz .LBB76_83
; %bb.52:
	v_lshlrev_b32_e32 v51, 3, v1
	v_lshlrev_b32_e32 v4, 4, v1
	s_add_u32 s2, s4, 64
	s_addc_u32 s3, s5, 0
	s_lshl_b64 s[22:23], s[20:21], 1
	v_add_co_u32 v10, s1, v51, s20
	v_add_co_ci_u32_e64 v11, null, 0, 0, s1
	v_add_co_u32 v7, s1, v4, s22
	v_mul_lo_u32 v5, s11, v10
	v_mul_lo_u32 v6, s10, v11
	v_mad_u64_u32 v[2:3], null, s10, v10, 0
	v_add_co_ci_u32_e64 v8, null, 0, s23, s1
	v_mov_b32_e32 v87, 0
	v_mov_b32_e32 v86, 0
	s_mov_b64 s[22:23], s[20:21]
	v_add3_u32 v3, v3, v6, v5
	v_add_co_u32 v6, vcc_lo, v7, 2
	v_add_co_ci_u32_e64 v9, null, 0, v8, vcc_lo
	v_lshlrev_b64 v[4:5], 1, v[2:3]
	v_mad_u64_u32 v[19:20], null, s10, v6, s[12:13]
	v_mul_lo_u32 v9, s10, v9
	v_mul_lo_u32 v12, s11, v6
	v_mad_u64_u32 v[33:34], null, s10, v6, s[14:15]
	v_add_co_u32 v52, vcc_lo, s12, v4
	v_add_co_ci_u32_e64 v53, null, s13, v5, vcc_lo
	v_add_co_u32 v54, vcc_lo, s14, v4
	v_add_co_ci_u32_e64 v55, null, s15, v5, vcc_lo
	;; [unrolled: 2-line block ×4, first 2 shown]
	v_add_co_u32 v16, vcc_lo, v7, 8
	v_mad_u64_u32 v[21:22], null, s10, v4, s[12:13]
	v_mul_lo_u32 v5, s10, v5
	v_mul_lo_u32 v15, s11, v4
	v_add_co_ci_u32_e64 v18, null, 0, v8, vcc_lo
	v_add_co_u32 v41, vcc_lo, v7, 10
	v_mad_u64_u32 v[35:36], null, s10, v4, s[14:15]
	v_add_co_ci_u32_e64 v29, null, 0, v8, vcc_lo
	v_add_co_u32 v44, vcc_lo, v7, 12
	v_add_co_ci_u32_e64 v31, null, 0, v8, vcc_lo
	v_add_co_u32 v7, vcc_lo, v7, 14
	;; [unrolled: 2-line block ×3, first 2 shown]
	v_add3_u32 v22, v15, v22, v5
	v_add3_u32 v36, v15, v36, v5
	v_add_co_ci_u32_e64 v5, null, 0, v11, vcc_lo
	v_add3_u32 v20, v12, v20, v9
	v_add3_u32 v34, v12, v34, v9
	v_mul_lo_u32 v6, s11, v4
	v_mul_lo_u32 v9, s10, v5
	v_mad_u64_u32 v[4:5], null, s10, v4, 0
	v_mul_lo_u32 v49, s10, v31
	v_mad_u64_u32 v[31:32], null, s10, v7, s[12:13]
	v_mul_lo_u32 v8, s10, v8
	v_mul_lo_u32 v56, s11, v7
	v_mad_u64_u32 v[45:46], null, s10, v7, s[14:15]
	v_add3_u32 v5, v5, v9, v6
	v_add_co_u32 v6, vcc_lo, v10, 6
	v_add_co_ci_u32_e64 v7, null, 0, v11, vcc_lo
	v_mad_u64_u32 v[23:24], null, s10, v13, s[12:13]
	v_mul_lo_u32 v14, s10, v14
	v_mul_lo_u32 v17, s11, v13
	v_add3_u32 v32, v56, v32, v8
	v_mad_u64_u32 v[37:38], null, s10, v13, s[14:15]
	v_add3_u32 v46, v56, v46, v8
	v_mul_lo_u32 v8, s11, v6
	v_mul_lo_u32 v9, s10, v7
	v_mad_u64_u32 v[6:7], null, s10, v6, 0
	v_lshlrev_b64 v[4:5], 1, v[4:5]
	v_add_co_u32 v12, vcc_lo, v10, 5
	v_add_co_ci_u32_e64 v13, null, 0, v11, vcc_lo
	v_add3_u32 v24, v17, v24, v14
	v_add_co_u32 v56, vcc_lo, s12, v4
	v_add3_u32 v38, v17, v38, v14
	v_add3_u32 v7, v7, v9, v8
	v_mul_lo_u32 v14, s11, v12
	v_mul_lo_u32 v13, s10, v13
	v_mad_u64_u32 v[8:9], null, s10, v12, 0
	v_add_co_ci_u32_e64 v57, null, s13, v5, vcc_lo
	v_add_co_u32 v12, vcc_lo, v10, 4
	v_add_co_ci_u32_e64 v15, null, 0, v11, vcc_lo
	v_add_co_u32 v59, vcc_lo, s14, v4
	v_add_co_ci_u32_e64 v60, null, s15, v5, vcc_lo
	v_lshlrev_b64 v[4:5], 1, v[6:7]
	v_add3_u32 v9, v9, v13, v14
	v_mul_lo_u32 v13, s11, v12
	v_mul_lo_u32 v14, s10, v15
	v_mad_u64_u32 v[6:7], null, s10, v12, 0
	v_lshlrev_b64 v[8:9], 1, v[8:9]
	v_add_co_u32 v61, vcc_lo, s12, v4
	v_add_co_ci_u32_e64 v62, null, s13, v5, vcc_lo
	v_add_co_u32 v63, vcc_lo, s14, v4
	v_add3_u32 v7, v7, v14, v13
	v_add_co_ci_u32_e64 v64, null, s15, v5, vcc_lo
	v_add_co_u32 v65, vcc_lo, s12, v8
	v_add_co_ci_u32_e64 v66, null, s13, v9, vcc_lo
	v_lshlrev_b64 v[4:5], 1, v[6:7]
	v_add_co_u32 v6, vcc_lo, v10, 3
	v_add_co_ci_u32_e64 v7, null, 0, v11, vcc_lo
	v_add_co_u32 v67, s1, s14, v8
	v_add_co_u32 v8, vcc_lo, v10, 2
	v_add_co_ci_u32_e64 v68, null, s15, v9, s1
	v_mul_lo_u32 v12, s11, v6
	v_add_co_ci_u32_e64 v9, null, 0, v11, vcc_lo
	v_mul_lo_u32 v10, s10, v7
	v_mad_u64_u32 v[6:7], null, s10, v6, 0
	v_mul_lo_u32 v11, s11, v8
	v_mul_lo_u32 v13, s10, v9
	v_mad_u64_u32 v[8:9], null, s10, v8, 0
	v_add_co_u32 v69, vcc_lo, s12, v4
	v_add3_u32 v7, v7, v10, v12
	s_load_dword s1, s[4:5], 0x44
	v_add_co_ci_u32_e64 v70, null, s13, v5, vcc_lo
	v_add_co_u32 v71, vcc_lo, s14, v4
	v_add_co_ci_u32_e64 v72, null, s15, v5, vcc_lo
	v_lshlrev_b64 v[4:5], 1, v[6:7]
	v_add3_u32 v9, v9, v13, v11
	v_add_co_u32 v2, vcc_lo, v2, s10
	v_mad_u64_u32 v[25:26], null, s10, v16, s[12:13]
	v_mul_lo_u32 v18, s10, v18
	v_mul_lo_u32 v43, s11, v16
	v_mad_u64_u32 v[39:40], null, s10, v16, s[14:15]
	v_add_co_ci_u32_e64 v3, null, s11, v3, vcc_lo
	v_lshlrev_b64 v[6:7], 1, v[8:9]
	v_add_co_u32 v73, vcc_lo, s12, v4
	v_add_co_ci_u32_e64 v74, null, s13, v5, vcc_lo
	v_add_co_u32 v75, vcc_lo, s14, v4
	v_lshlrev_b64 v[3:4], 1, v[2:3]
	v_mov_b32_e32 v2, 0
	v_mad_u64_u32 v[27:28], null, s10, v41, s[12:13]
	v_mul_lo_u32 v47, s10, v29
	v_mul_lo_u32 v48, s11, v41
	v_mad_u64_u32 v[41:42], null, s10, v41, s[14:15]
	v_mad_u64_u32 v[29:30], null, s10, v44, s[12:13]
	v_mul_lo_u32 v50, s11, v44
	v_add3_u32 v26, v43, v26, v18
	v_add3_u32 v40, v43, v40, v18
	v_mad_u64_u32 v[43:44], null, s10, v44, s[14:15]
	v_add_co_ci_u32_e64 v76, null, s15, v5, vcc_lo
	v_add_co_u32 v77, vcc_lo, s12, v6
	v_add_co_ci_u32_e64 v78, null, s13, v7, vcc_lo
	v_add_co_u32 v79, vcc_lo, s14, v6
	v_add_nc_u32_e32 v5, s7, v0
	v_mov_b32_e32 v6, v2
	v_add_co_ci_u32_e64 v80, null, s15, v7, vcc_lo
	v_add_co_u32 v81, vcc_lo, s12, v3
	s_waitcnt lgkmcnt(0)
	s_lshl_b32 s24, s1, 3
	v_add_co_ci_u32_e64 v82, null, s13, v4, vcc_lo
	v_add_co_u32 v83, vcc_lo, s14, v3
	v_add3_u32 v28, v48, v28, v47
	v_add3_u32 v42, v48, v42, v47
	s_mul_i32 s1, s11, s24
	s_mul_hi_u32 s7, s10, s24
	v_lshlrev_b64 v[47:48], 1, v[5:6]
	v_add3_u32 v30, v50, v30, v49
	v_add3_u32 v44, v50, v44, v49
	v_add_co_ci_u32_e64 v84, null, s15, v4, vcc_lo
	v_mov_b32_e32 v85, v2
	s_add_i32 s13, s7, s1
	s_mul_i32 s12, s10, s24
	s_mov_b64 s[14:15], 7
	s_lshl_b64 s[12:13], s[12:13], 1
.LBB76_53:                              ; =>This Inner Loop Header: Depth=1
	s_add_u32 s26, s20, s14
	s_addc_u32 s27, 0, s15
	v_add_co_u32 v49, vcc_lo, s20, v51
	v_cmp_ge_i64_e64 s1, s[26:27], s[8:9]
	v_add_co_ci_u32_e64 v50, null, 0, v85, vcc_lo
                                        ; implicit-def: $vgpr58
                                        ; implicit-def: $vgpr11
	s_and_b32 vcc_lo, exec_lo, s1
	s_mov_b32 s1, -1
	s_cbranch_vccz .LBB76_75
; %bb.54:                               ;   in Loop: Header=BB76_53 Depth=1
	s_load_dword s1, s[2:3], 0xc
	v_mov_b32_e32 v88, 0
	v_mov_b32_e32 v58, 0
	s_waitcnt lgkmcnt(0)
	s_and_b32 s1, s1, 0xffff
	v_mad_u32_u24 v3, v1, s1, v0
	s_mov_b32 s1, exec_lo
	v_and_b32_e32 v3, 31, v3
	v_cmpx_gt_u32_e32 8, v3
	s_cbranch_execz .LBB76_58
; %bb.55:                               ;   in Loop: Header=BB76_53 Depth=1
	v_add_co_u32 v3, vcc_lo, v49, v3
	v_add_co_ci_u32_e64 v4, null, 0, v50, vcc_lo
	v_mov_b32_e32 v58, 0
	v_mov_b32_e32 v88, 0
	s_mov_b32 s7, exec_lo
	v_cmpx_gt_i64_e64 s[8:9], v[3:4]
	s_cbranch_execz .LBB76_57
; %bb.56:                               ;   in Loop: Header=BB76_53 Depth=1
	v_lshlrev_b64 v[3:4], 2, v[3:4]
	v_add_co_u32 v5, vcc_lo, s16, v3
	v_add_co_ci_u32_e64 v6, null, s17, v4, vcc_lo
	v_add_co_u32 v3, vcc_lo, s18, v3
	v_add_co_ci_u32_e64 v4, null, s19, v4, vcc_lo
	global_load_dword v58, v[5:6], off
	global_load_dword v88, v[3:4], off
.LBB76_57:                              ;   in Loop: Header=BB76_53 Depth=1
	s_or_b32 exec_lo, exec_lo, s7
.LBB76_58:                              ;   in Loop: Header=BB76_53 Depth=1
	s_or_b32 exec_lo, exec_lo, s1
	v_mov_b32_e32 v9, v2
	v_mov_b32_e32 v3, v2
	;; [unrolled: 1-line block ×23, first 2 shown]
	s_mov_b32 s1, exec_lo
	v_cmpx_gt_i64_e64 s[8:9], v[49:50]
	s_cbranch_execz .LBB76_60
; %bb.59:                               ;   in Loop: Header=BB76_53 Depth=1
	v_add_co_u32 v3, vcc_lo, v52, v47
	v_add_co_ci_u32_e64 v4, null, v53, v48, vcc_lo
	v_add_co_u32 v5, vcc_lo, v54, v47
	v_add_co_ci_u32_e64 v6, null, v55, v48, vcc_lo
	global_load_ushort v3, v[3:4], off
	global_load_ushort v11, v[5:6], off
	v_mov_b32_e32 v4, v2
	v_mov_b32_e32 v5, v2
	;; [unrolled: 1-line block ×14, first 2 shown]
	s_waitcnt vmcnt(1)
	v_cvt_f32_f16_e32 v3, v3
	s_waitcnt vmcnt(0)
	v_cvt_f32_f16_e32 v11, v11
.LBB76_60:                              ;   in Loop: Header=BB76_53 Depth=1
	s_or_b32 exec_lo, exec_lo, s1
	v_add_co_u32 v89, vcc_lo, v49, 1
	v_add_co_ci_u32_e64 v90, null, 0, v50, vcc_lo
	s_mov_b32 s1, exec_lo
	v_cmpx_gt_i64_e64 s[8:9], v[89:90]
	s_cbranch_execz .LBB76_62
; %bb.61:                               ;   in Loop: Header=BB76_53 Depth=1
	v_add_co_u32 v89, vcc_lo, v81, v47
	v_add_co_ci_u32_e64 v90, null, v82, v48, vcc_lo
	v_add_co_u32 v91, vcc_lo, v83, v47
	v_add_co_ci_u32_e64 v92, null, v84, v48, vcc_lo
	global_load_ushort v4, v[89:90], off
	global_load_ushort v12, v[91:92], off
	s_waitcnt vmcnt(1)
	v_cvt_f32_f16_e32 v4, v4
	s_waitcnt vmcnt(0)
	v_cvt_f32_f16_e32 v12, v12
.LBB76_62:                              ;   in Loop: Header=BB76_53 Depth=1
	s_or_b32 exec_lo, exec_lo, s1
	v_add_co_u32 v89, vcc_lo, v49, 2
	v_add_co_ci_u32_e64 v90, null, 0, v50, vcc_lo
	s_mov_b32 s1, exec_lo
	v_cmpx_gt_i64_e64 s[8:9], v[89:90]
	s_cbranch_execz .LBB76_64
; %bb.63:                               ;   in Loop: Header=BB76_53 Depth=1
	v_add_co_u32 v89, vcc_lo, v77, v47
	v_add_co_ci_u32_e64 v90, null, v78, v48, vcc_lo
	v_add_co_u32 v91, vcc_lo, v79, v47
	v_add_co_ci_u32_e64 v92, null, v80, v48, vcc_lo
	global_load_ushort v5, v[89:90], off
	global_load_ushort v13, v[91:92], off
	s_waitcnt vmcnt(1)
	v_cvt_f32_f16_e32 v5, v5
	s_waitcnt vmcnt(0)
	v_cvt_f32_f16_e32 v13, v13
.LBB76_64:                              ;   in Loop: Header=BB76_53 Depth=1
	;; [unrolled: 18-line block ×7, first 2 shown]
	s_or_b32 exec_lo, exec_lo, s1
	s_waitcnt vmcnt(1)
	ds_bpermute_b32 v90, v2, v58
	s_waitcnt vmcnt(0)
	ds_bpermute_b32 v89, v2, v88
	s_mov_b32 s1, 0
	s_waitcnt lgkmcnt(1)
	v_sub_f32_e32 v11, v11, v90
	ds_bpermute_b32 v90, v2, v58 offset:4
	v_mul_f32_e32 v11, v3, v11
	v_add_f32_e32 v3, v87, v3
	s_waitcnt lgkmcnt(1)
	v_fma_f32 v11, v11, v89, v86
	ds_bpermute_b32 v89, v2, v88 offset:4
	v_add_f32_e32 v3, v4, v3
	v_add_f32_e32 v3, v5, v3
	s_waitcnt lgkmcnt(1)
	v_sub_f32_e32 v12, v12, v90
	v_add_f32_e32 v3, v6, v3
	v_mul_f32_e32 v12, v4, v12
	ds_bpermute_b32 v4, v2, v88 offset:8
	v_add_f32_e32 v3, v7, v3
	s_waitcnt lgkmcnt(1)
	v_fmac_f32_e32 v11, v12, v89
	ds_bpermute_b32 v12, v2, v58 offset:8
	v_add_f32_e32 v3, v8, v3
	v_add_f32_e32 v3, v9, v3
	s_waitcnt lgkmcnt(0)
	v_sub_f32_e32 v12, v13, v12
	v_mul_f32_e32 v12, v5, v12
	ds_bpermute_b32 v5, v2, v58 offset:12
	v_fmac_f32_e32 v11, v12, v4
	ds_bpermute_b32 v4, v2, v88 offset:12
	s_waitcnt lgkmcnt(1)
	v_sub_f32_e32 v5, v14, v5
	v_mul_f32_e32 v5, v6, v5
	s_waitcnt lgkmcnt(0)
	v_fmac_f32_e32 v11, v5, v4
	ds_bpermute_b32 v5, v2, v58 offset:16
	ds_bpermute_b32 v4, v2, v88 offset:16
	s_waitcnt lgkmcnt(1)
	v_sub_f32_e32 v5, v15, v5
	v_mul_f32_e32 v5, v7, v5
	s_waitcnt lgkmcnt(0)
	v_fmac_f32_e32 v11, v5, v4
	ds_bpermute_b32 v5, v2, v58 offset:20
	;; [unrolled: 7-line block ×4, first 2 shown]
	ds_bpermute_b32 v4, v2, v88 offset:28
	v_add_f32_e32 v58, v10, v3
	s_waitcnt lgkmcnt(1)
	v_sub_f32_e32 v5, v18, v5
	v_mul_f32_e32 v5, v10, v5
	s_waitcnt lgkmcnt(0)
	v_fmac_f32_e32 v11, v5, v4
.LBB76_75:                              ;   in Loop: Header=BB76_53 Depth=1
	s_and_b32 vcc_lo, exec_lo, s1
	s_cbranch_vccz .LBB76_81
; %bb.76:                               ;   in Loop: Header=BB76_53 Depth=1
	s_load_dword s1, s[2:3], 0x0
	v_mov_b32_e32 v6, 0
	v_mov_b32_e32 v5, 0
	s_waitcnt lgkmcnt(0)
	s_cmp_lt_u32 s6, s1
	s_cselect_b32 s1, 12, 18
	s_add_u32 s26, s2, s1
	s_addc_u32 s27, s3, 0
	s_mov_b32 s1, exec_lo
	global_load_ushort v3, v2, s[26:27]
	s_waitcnt vmcnt(0)
	v_mad_u32_u24 v3, v1, v3, v0
	v_and_b32_e32 v3, 31, v3
	v_cmpx_gt_u32_e32 8, v3
	s_cbranch_execz .LBB76_80
; %bb.77:                               ;   in Loop: Header=BB76_53 Depth=1
	v_add_co_u32 v3, vcc_lo, v49, v3
	v_add_co_ci_u32_e64 v4, null, 0, v50, vcc_lo
	v_mov_b32_e32 v5, 0
	v_mov_b32_e32 v6, 0
	s_mov_b32 s7, exec_lo
	v_cmpx_gt_i64_e64 s[8:9], v[3:4]
	s_cbranch_execz .LBB76_79
; %bb.78:                               ;   in Loop: Header=BB76_53 Depth=1
	v_lshlrev_b64 v[3:4], 2, v[3:4]
	v_add_co_u32 v5, vcc_lo, s16, v3
	v_add_co_ci_u32_e64 v6, null, s17, v4, vcc_lo
	v_add_co_u32 v3, vcc_lo, s18, v3
	v_add_co_ci_u32_e64 v4, null, s19, v4, vcc_lo
	global_load_dword v5, v[5:6], off
	global_load_dword v6, v[3:4], off
.LBB76_79:                              ;   in Loop: Header=BB76_53 Depth=1
	s_or_b32 exec_lo, exec_lo, s7
.LBB76_80:                              ;   in Loop: Header=BB76_53 Depth=1
	s_or_b32 exec_lo, exec_lo, s1
	v_add_co_u32 v3, vcc_lo, v52, v47
	v_add_co_ci_u32_e64 v4, null, v53, v48, vcc_lo
	v_add_co_u32 v7, vcc_lo, v54, v47
	v_add_co_ci_u32_e64 v8, null, v55, v48, vcc_lo
	global_load_ushort v15, v[3:4], off
	v_add_co_u32 v3, vcc_lo, v19, v47
	v_add_co_ci_u32_e64 v4, null, v20, v48, vcc_lo
	v_add_co_u32 v9, vcc_lo, v33, v47
	v_add_co_ci_u32_e64 v10, null, v34, v48, vcc_lo
	;; [unrolled: 2-line block ×4, first 2 shown]
	global_load_ushort v16, v[7:8], off
	global_load_ushort v17, v[3:4], off
	;; [unrolled: 1-line block ×5, first 2 shown]
	v_add_co_u32 v3, vcc_lo, v23, v47
	v_add_co_ci_u32_e64 v4, null, v24, v48, vcc_lo
	v_add_co_u32 v7, vcc_lo, v37, v47
	v_add_co_ci_u32_e64 v8, null, v38, v48, vcc_lo
	;; [unrolled: 2-line block ×5, first 2 shown]
	global_load_ushort v58, v[7:8], off
	global_load_ushort v88, v[3:4], off
	;; [unrolled: 1-line block ×5, first 2 shown]
	v_add_co_u32 v3, vcc_lo, v41, v47
	v_add_co_ci_u32_e64 v4, null, v42, v48, vcc_lo
	v_add_co_u32 v7, vcc_lo, v29, v47
	v_add_co_ci_u32_e64 v8, null, v30, v48, vcc_lo
	;; [unrolled: 2-line block ×3, first 2 shown]
	global_load_ushort v13, v[3:4], off
	global_load_ushort v14, v[7:8], off
	global_load_ushort v9, v[9:10], off
	v_add_co_u32 v7, s1, v45, v47
	v_add_co_u32 v3, vcc_lo, v31, v47
	v_add_co_ci_u32_e64 v8, null, v46, v48, s1
	v_add_co_ci_u32_e64 v4, null, v32, v48, vcc_lo
	global_load_ushort v7, v[7:8], off
	global_load_ushort v3, v[3:4], off
	s_waitcnt vmcnt(17)
	ds_bpermute_b32 v4, v2, v5
	s_waitcnt vmcnt(16)
	ds_bpermute_b32 v8, v2, v6
	ds_bpermute_b32 v90, v2, v5 offset:8
	ds_bpermute_b32 v91, v2, v6 offset:4
	;; [unrolled: 1-line block ×4, first 2 shown]
	s_waitcnt vmcnt(15)
	v_cvt_f32_f16_e32 v15, v15
	s_waitcnt vmcnt(14)
	v_cvt_f32_f16_e32 v10, v16
	ds_bpermute_b32 v16, v2, v5 offset:4
	s_waitcnt vmcnt(12)
	v_cvt_f32_f16_e32 v18, v18
	v_cvt_f32_f16_e32 v17, v17
	s_waitcnt vmcnt(10)
	v_cvt_f32_f16_e32 v50, v50
	s_waitcnt lgkmcnt(6)
	v_sub_f32_e32 v4, v10, v4
	ds_bpermute_b32 v10, v2, v5 offset:12
	v_cvt_f32_f16_e32 v49, v49
	s_waitcnt lgkmcnt(5)
	v_sub_f32_e32 v50, v50, v90
	v_mul_f32_e32 v4, v4, v15
	v_add_f32_e32 v15, v87, v15
	ds_bpermute_b32 v87, v2, v6 offset:20
	ds_bpermute_b32 v90, v2, v6 offset:24
	v_mul_f32_e32 v50, v50, v49
	v_fmac_f32_e32 v86, v4, v8
	ds_bpermute_b32 v8, v2, v5 offset:16
	ds_bpermute_b32 v4, v2, v6 offset:16
	;; [unrolled: 1-line block ×3, first 2 shown]
	s_waitcnt vmcnt(9)
	v_cvt_f32_f16_e32 v58, v58
	s_waitcnt lgkmcnt(6)
	v_sub_f32_e32 v16, v18, v16
	ds_bpermute_b32 v18, v2, v5 offset:20
	s_waitcnt vmcnt(8)
	v_cvt_f32_f16_e32 v88, v88
	s_waitcnt vmcnt(6)
	v_cvt_f32_f16_e32 v11, v11
	s_waitcnt lgkmcnt(6)
	v_sub_f32_e32 v10, v58, v10
	ds_bpermute_b32 v58, v2, v5 offset:24
	v_mul_f32_e32 v16, v16, v17
	ds_bpermute_b32 v5, v2, v5 offset:28
	v_cvt_f32_f16_e32 v89, v89
	v_mul_f32_e32 v10, v10, v88
	s_waitcnt vmcnt(5)
	v_cvt_f32_f16_e32 v12, v12
	v_fmac_f32_e32 v86, v16, v91
	s_waitcnt lgkmcnt(5)
	v_sub_f32_e32 v8, v11, v8
	s_waitcnt vmcnt(4)
	v_cvt_f32_f16_e32 v13, v13
	v_add_f32_e32 v11, v15, v17
	v_fmac_f32_e32 v86, v50, v92
	s_waitcnt vmcnt(2)
	v_cvt_f32_f16_e32 v9, v9
	v_mul_f32_e32 v8, v8, v89
	s_waitcnt lgkmcnt(2)
	v_sub_f32_e32 v13, v13, v18
	v_add_f32_e32 v11, v11, v49
	v_fmac_f32_e32 v86, v10, v93
	v_cvt_f32_f16_e32 v10, v14
	s_waitcnt lgkmcnt(1)
	v_sub_f32_e32 v9, v9, v58
	v_mul_f32_e32 v13, v13, v12
	v_add_f32_e32 v11, v11, v88
	v_fmac_f32_e32 v86, v8, v4
	s_waitcnt vmcnt(1)
	v_cvt_f32_f16_e32 v4, v7
	s_waitcnt vmcnt(0)
	v_cvt_f32_f16_e32 v3, v3
	v_mul_f32_e32 v7, v9, v10
	v_add_f32_e32 v8, v11, v89
	v_fmac_f32_e32 v86, v13, v87
	s_waitcnt lgkmcnt(0)
	v_sub_f32_e32 v4, v4, v5
	v_add_f32_e32 v5, v8, v12
	v_fmac_f32_e32 v86, v7, v90
	v_mul_f32_e32 v4, v4, v3
	v_add_f32_e32 v5, v5, v10
	v_fmac_f32_e32 v86, v4, v6
	v_add_f32_e32 v58, v5, v3
	v_mov_b32_e32 v11, v86
.LBB76_81:                              ;   in Loop: Header=BB76_53 Depth=1
	v_add_co_u32 v52, vcc_lo, v52, s12
	v_add_co_ci_u32_e64 v53, null, s13, v53, vcc_lo
	v_add_co_u32 v54, vcc_lo, v54, s12
	v_add_co_ci_u32_e64 v55, null, s13, v55, vcc_lo
	;; [unrolled: 2-line block ×27, first 2 shown]
	v_add_co_u32 v77, vcc_lo, v77, s12
	s_add_u32 s22, s22, s24
	v_add_co_ci_u32_e64 v78, null, s13, v78, vcc_lo
	v_add_co_u32 v79, vcc_lo, v79, s12
	s_addc_u32 s23, s23, 0
	v_add_co_ci_u32_e64 v80, null, s13, v80, vcc_lo
	v_add_co_u32 v81, vcc_lo, v81, s12
	v_cmp_ge_i64_e64 s1, s[22:23], s[8:9]
	v_add_co_ci_u32_e64 v82, null, s13, v82, vcc_lo
	v_add_co_u32 v83, vcc_lo, v83, s12
	v_add_co_ci_u32_e64 v84, null, s13, v84, vcc_lo
	s_add_u32 s14, s14, s24
	s_addc_u32 s15, 0, s15
	s_and_b32 vcc_lo, exec_lo, s1
	s_cbranch_vccnz .LBB76_83
; %bb.82:                               ;   in Loop: Header=BB76_53 Depth=1
	v_mov_b32_e32 v87, v58
	v_mov_b32_e32 v86, v11
	s_branch .LBB76_53
.LBB76_83:
	s_mov_b32 s7, 0
	s_mov_b32 s1, exec_lo
	s_lshl_b64 s[2:3], s[6:7], 6
	v_or_b32_e32 v4, s2, v0
	v_mov_b32_e32 v5, s3
	v_cmpx_gt_i64_e64 s[10:11], v[4:5]
	s_cbranch_execz .LBB76_88
; %bb.84:
	s_clause 0x1
	s_load_dword s1, s[4:5], 0x4c
	s_load_dwordx4 s[4:7], s[4:5], 0x30
	v_mov_b32_e32 v2, 0
	s_waitcnt lgkmcnt(0)
	s_lshr_b32 s1, s1, 16
	s_cmp_eq_u64 s[4:5], 0
	v_mad_u64_u32 v[2:3], null, s1, s0, v[1:2]
	v_lshlrev_b64 v[0:1], 1, v[4:5]
	v_mul_lo_u32 v3, v3, s10
	v_mul_lo_u32 v6, v2, s11
	s_cbranch_scc1 .LBB76_86
; %bb.85:
	v_mad_u64_u32 v[4:5], null, v2, s10, 0
	v_cvt_f16_f32_e32 v7, v11
	v_add3_u32 v5, v5, v6, v3
	v_lshlrev_b64 v[4:5], 1, v[4:5]
	v_add_co_u32 v4, vcc_lo, s4, v4
	v_add_co_ci_u32_e64 v5, null, s5, v5, vcc_lo
	v_add_co_u32 v4, vcc_lo, v4, v0
	v_add_co_ci_u32_e64 v5, null, v5, v1, vcc_lo
	global_store_short v[4:5], v7, off
.LBB76_86:
	s_cmp_eq_u64 s[6:7], 0
	s_cbranch_scc1 .LBB76_88
; %bb.87:
	v_mad_u64_u32 v[4:5], null, v2, s10, 0
	v_add3_u32 v5, v5, v6, v3
	v_lshlrev_b64 v[2:3], 1, v[4:5]
	v_cvt_f16_f32_e32 v4, v58
	v_add_co_u32 v2, vcc_lo, s6, v2
	v_add_co_ci_u32_e64 v3, null, s7, v3, vcc_lo
	v_add_co_u32 v0, vcc_lo, v2, v0
	v_add_co_ci_u32_e64 v1, null, v3, v1, vcc_lo
	global_store_short v[0:1], v4, off
.LBB76_88:
	s_endpgm
	.section	.rodata,"a",@progbits
	.p2align	6, 0x0
	.amdhsa_kernel _ZN2at6native12_GLOBAL__N_135GammaBetaBackwardCUDAKernelTemplateIN3c104HalfEfLj64ELj1ELj8ELb1ELb0ELb0EEEvllPKT_S7_PKT0_SA_PS5_SB_
		.amdhsa_group_segment_fixed_size 0
		.amdhsa_private_segment_fixed_size 0
		.amdhsa_kernarg_size 320
		.amdhsa_user_sgpr_count 6
		.amdhsa_user_sgpr_private_segment_buffer 1
		.amdhsa_user_sgpr_dispatch_ptr 0
		.amdhsa_user_sgpr_queue_ptr 0
		.amdhsa_user_sgpr_kernarg_segment_ptr 1
		.amdhsa_user_sgpr_dispatch_id 0
		.amdhsa_user_sgpr_flat_scratch_init 0
		.amdhsa_user_sgpr_private_segment_size 0
		.amdhsa_wavefront_size32 1
		.amdhsa_uses_dynamic_stack 0
		.amdhsa_system_sgpr_private_segment_wavefront_offset 0
		.amdhsa_system_sgpr_workgroup_id_x 1
		.amdhsa_system_sgpr_workgroup_id_y 1
		.amdhsa_system_sgpr_workgroup_id_z 0
		.amdhsa_system_sgpr_workgroup_info 0
		.amdhsa_system_vgpr_workitem_id 1
		.amdhsa_next_free_vgpr 94
		.amdhsa_next_free_sgpr 32
		.amdhsa_reserve_vcc 1
		.amdhsa_reserve_flat_scratch 0
		.amdhsa_float_round_mode_32 0
		.amdhsa_float_round_mode_16_64 0
		.amdhsa_float_denorm_mode_32 3
		.amdhsa_float_denorm_mode_16_64 3
		.amdhsa_dx10_clamp 1
		.amdhsa_ieee_mode 1
		.amdhsa_fp16_overflow 0
		.amdhsa_workgroup_processor_mode 1
		.amdhsa_memory_ordered 1
		.amdhsa_forward_progress 1
		.amdhsa_shared_vgpr_count 0
		.amdhsa_exception_fp_ieee_invalid_op 0
		.amdhsa_exception_fp_denorm_src 0
		.amdhsa_exception_fp_ieee_div_zero 0
		.amdhsa_exception_fp_ieee_overflow 0
		.amdhsa_exception_fp_ieee_underflow 0
		.amdhsa_exception_fp_ieee_inexact 0
		.amdhsa_exception_int_div_zero 0
	.end_amdhsa_kernel
	.section	.text._ZN2at6native12_GLOBAL__N_135GammaBetaBackwardCUDAKernelTemplateIN3c104HalfEfLj64ELj1ELj8ELb1ELb0ELb0EEEvllPKT_S7_PKT0_SA_PS5_SB_,"axG",@progbits,_ZN2at6native12_GLOBAL__N_135GammaBetaBackwardCUDAKernelTemplateIN3c104HalfEfLj64ELj1ELj8ELb1ELb0ELb0EEEvllPKT_S7_PKT0_SA_PS5_SB_,comdat
.Lfunc_end76:
	.size	_ZN2at6native12_GLOBAL__N_135GammaBetaBackwardCUDAKernelTemplateIN3c104HalfEfLj64ELj1ELj8ELb1ELb0ELb0EEEvllPKT_S7_PKT0_SA_PS5_SB_, .Lfunc_end76-_ZN2at6native12_GLOBAL__N_135GammaBetaBackwardCUDAKernelTemplateIN3c104HalfEfLj64ELj1ELj8ELb1ELb0ELb0EEEvllPKT_S7_PKT0_SA_PS5_SB_
                                        ; -- End function
	.set _ZN2at6native12_GLOBAL__N_135GammaBetaBackwardCUDAKernelTemplateIN3c104HalfEfLj64ELj1ELj8ELb1ELb0ELb0EEEvllPKT_S7_PKT0_SA_PS5_SB_.num_vgpr, 94
	.set _ZN2at6native12_GLOBAL__N_135GammaBetaBackwardCUDAKernelTemplateIN3c104HalfEfLj64ELj1ELj8ELb1ELb0ELb0EEEvllPKT_S7_PKT0_SA_PS5_SB_.num_agpr, 0
	.set _ZN2at6native12_GLOBAL__N_135GammaBetaBackwardCUDAKernelTemplateIN3c104HalfEfLj64ELj1ELj8ELb1ELb0ELb0EEEvllPKT_S7_PKT0_SA_PS5_SB_.numbered_sgpr, 32
	.set _ZN2at6native12_GLOBAL__N_135GammaBetaBackwardCUDAKernelTemplateIN3c104HalfEfLj64ELj1ELj8ELb1ELb0ELb0EEEvllPKT_S7_PKT0_SA_PS5_SB_.num_named_barrier, 0
	.set _ZN2at6native12_GLOBAL__N_135GammaBetaBackwardCUDAKernelTemplateIN3c104HalfEfLj64ELj1ELj8ELb1ELb0ELb0EEEvllPKT_S7_PKT0_SA_PS5_SB_.private_seg_size, 0
	.set _ZN2at6native12_GLOBAL__N_135GammaBetaBackwardCUDAKernelTemplateIN3c104HalfEfLj64ELj1ELj8ELb1ELb0ELb0EEEvllPKT_S7_PKT0_SA_PS5_SB_.uses_vcc, 1
	.set _ZN2at6native12_GLOBAL__N_135GammaBetaBackwardCUDAKernelTemplateIN3c104HalfEfLj64ELj1ELj8ELb1ELb0ELb0EEEvllPKT_S7_PKT0_SA_PS5_SB_.uses_flat_scratch, 0
	.set _ZN2at6native12_GLOBAL__N_135GammaBetaBackwardCUDAKernelTemplateIN3c104HalfEfLj64ELj1ELj8ELb1ELb0ELb0EEEvllPKT_S7_PKT0_SA_PS5_SB_.has_dyn_sized_stack, 0
	.set _ZN2at6native12_GLOBAL__N_135GammaBetaBackwardCUDAKernelTemplateIN3c104HalfEfLj64ELj1ELj8ELb1ELb0ELb0EEEvllPKT_S7_PKT0_SA_PS5_SB_.has_recursion, 0
	.set _ZN2at6native12_GLOBAL__N_135GammaBetaBackwardCUDAKernelTemplateIN3c104HalfEfLj64ELj1ELj8ELb1ELb0ELb0EEEvllPKT_S7_PKT0_SA_PS5_SB_.has_indirect_call, 0
	.section	.AMDGPU.csdata,"",@progbits
; Kernel info:
; codeLenInByte = 8448
; TotalNumSgprs: 34
; NumVgprs: 94
; ScratchSize: 0
; MemoryBound: 0
; FloatMode: 240
; IeeeMode: 1
; LDSByteSize: 0 bytes/workgroup (compile time only)
; SGPRBlocks: 0
; VGPRBlocks: 11
; NumSGPRsForWavesPerEU: 34
; NumVGPRsForWavesPerEU: 94
; Occupancy: 10
; WaveLimiterHint : 0
; COMPUTE_PGM_RSRC2:SCRATCH_EN: 0
; COMPUTE_PGM_RSRC2:USER_SGPR: 6
; COMPUTE_PGM_RSRC2:TRAP_HANDLER: 0
; COMPUTE_PGM_RSRC2:TGID_X_EN: 1
; COMPUTE_PGM_RSRC2:TGID_Y_EN: 1
; COMPUTE_PGM_RSRC2:TGID_Z_EN: 0
; COMPUTE_PGM_RSRC2:TIDIG_COMP_CNT: 1
	.section	.text._ZN2at6native12_GLOBAL__N_135GammaBetaBackwardCUDAKernelTemplateIN3c104HalfEfLj64ELj8ELj64ELb0ELb1ELb0EEEvllPKT_S7_PKT0_SA_PS5_SB_,"axG",@progbits,_ZN2at6native12_GLOBAL__N_135GammaBetaBackwardCUDAKernelTemplateIN3c104HalfEfLj64ELj8ELj64ELb0ELb1ELb0EEEvllPKT_S7_PKT0_SA_PS5_SB_,comdat
	.globl	_ZN2at6native12_GLOBAL__N_135GammaBetaBackwardCUDAKernelTemplateIN3c104HalfEfLj64ELj8ELj64ELb0ELb1ELb0EEEvllPKT_S7_PKT0_SA_PS5_SB_ ; -- Begin function _ZN2at6native12_GLOBAL__N_135GammaBetaBackwardCUDAKernelTemplateIN3c104HalfEfLj64ELj8ELj64ELb0ELb1ELb0EEEvllPKT_S7_PKT0_SA_PS5_SB_
	.p2align	8
	.type	_ZN2at6native12_GLOBAL__N_135GammaBetaBackwardCUDAKernelTemplateIN3c104HalfEfLj64ELj8ELj64ELb0ELb1ELb0EEEvllPKT_S7_PKT0_SA_PS5_SB_,@function
_ZN2at6native12_GLOBAL__N_135GammaBetaBackwardCUDAKernelTemplateIN3c104HalfEfLj64ELj8ELj64ELb0ELb1ELb0EEEvllPKT_S7_PKT0_SA_PS5_SB_: ; @_ZN2at6native12_GLOBAL__N_135GammaBetaBackwardCUDAKernelTemplateIN3c104HalfEfLj64ELj8ELj64ELb0ELb1ELb0EEEvllPKT_S7_PKT0_SA_PS5_SB_
; %bb.0:
	s_load_dwordx4 s[20:23], s[4:5], 0x0
	s_lshl_b32 s2, s7, 6
	s_mov_b32 s3, 0
	s_waitcnt lgkmcnt(0)
	v_cmp_gt_i64_e64 s0, s[20:21], s[2:3]
	s_and_b32 vcc_lo, exec_lo, s0
	s_cbranch_vccnz .LBB77_2
; %bb.1:
	s_mov_b32 s0, s3
	s_branch .LBB77_3
.LBB77_2:
	s_mov_b32 s0, -1
.LBB77_3:
	s_load_dwordx4 s[16:19], s[4:5], 0x30
	v_mov_b32_e32 v2, 0
	v_mov_b32_e32 v17, 0
	s_andn2_b32 vcc_lo, exec_lo, s0
	s_cbranch_vccnz .LBB77_10
; %bb.4:
	s_clause 0x2
	s_load_dword s0, s[4:5], 0x4c
	s_load_dword s1, s[4:5], 0x44
	s_load_dwordx8 s[8:15], s[4:5], 0x10
	v_lshlrev_b32_e32 v2, 3, v1
	v_mov_b32_e32 v3, 0
	v_mov_b32_e32 v8, 8
	;; [unrolled: 1-line block ×4, first 2 shown]
	v_add_co_u32 v4, s4, v2, s2
	v_add_co_ci_u32_e64 v5, null, 0, 0, s4
	v_lshl_add_u32 v2, s6, 6, v0
	v_mul_lo_u32 v17, s23, v4
	v_mad_u64_u32 v[6:7], null, s22, v4, 0
	v_mul_lo_u32 v18, s22, v5
	v_mov_b32_e32 v11, 16
	v_mov_b32_e32 v12, 20
	v_mov_b32_e32 v13, 24
	s_waitcnt lgkmcnt(0)
	s_and_b32 s0, s0, 0xffff
	s_lshl_b32 s4, s1, 6
	v_mad_u32_u24 v15, v1, s0, v0
	s_mul_i32 s1, s23, s4
	v_add3_u32 v7, v7, v18, v17
	s_mul_hi_u32 s7, s22, s4
	v_mov_b32_e32 v14, 28
	v_and_b32_e32 v19, 31, v15
	v_lshlrev_b64 v[15:16], 1, v[2:3]
	v_lshlrev_b64 v[17:18], 1, v[6:7]
	v_mov_b32_e32 v2, 0
	s_mov_b32 s5, 0
	v_add_co_u32 v4, vcc_lo, v4, v19
	v_add_co_ci_u32_e64 v5, null, 0, v5, vcc_lo
	v_add_co_u32 v15, vcc_lo, v17, v15
	v_cmp_gt_u32_e64 s0, 8, v19
	v_lshlrev_b64 v[6:7], 2, v[4:5]
	v_add_co_ci_u32_e64 v16, null, v18, v16, vcc_lo
	v_mov_b32_e32 v17, 0
	s_add_i32 s27, s7, s1
	s_mul_i32 s26, s22, s4
	s_lshl_b64 s[24:25], s[4:5], 2
	s_lshl_b64 s[26:27], s[26:27], 1
	;; [unrolled: 1-line block ×3, first 2 shown]
	s_branch .LBB77_7
.LBB77_5:                               ;   in Loop: Header=BB77_7 Depth=1
	s_or_b32 exec_lo, exec_lo, s5
.LBB77_6:                               ;   in Loop: Header=BB77_7 Depth=1
	s_or_b32 exec_lo, exec_lo, s1
	v_add_co_u32 v20, vcc_lo, s8, v15
	v_add_co_ci_u32_e64 v21, null, s9, v16, vcc_lo
	v_add_co_u32 v22, vcc_lo, s10, v15
	v_add_co_ci_u32_e64 v23, null, s11, v16, vcc_lo
	;; [unrolled: 2-line block ×5, first 2 shown]
	global_load_ushort v30, v[20:21], off
	global_load_ushort v31, v[22:23], off
	;; [unrolled: 1-line block ×5, first 2 shown]
	v_add_co_u32 v20, vcc_lo, v26, s22
	v_add_co_ci_u32_e64 v21, null, s23, v27, vcc_lo
	v_add_co_u32 v22, vcc_lo, v28, s22
	v_add_co_ci_u32_e64 v23, null, s23, v29, vcc_lo
	;; [unrolled: 2-line block ×5, first 2 shown]
	global_load_ushort v35, v[20:21], off
	global_load_ushort v36, v[22:23], off
	;; [unrolled: 1-line block ×5, first 2 shown]
	v_add_co_u32 v20, vcc_lo, v26, s22
	v_add_co_ci_u32_e64 v21, null, s23, v27, vcc_lo
	v_add_co_u32 v22, vcc_lo, v28, s22
	v_add_co_ci_u32_e64 v23, null, s23, v29, vcc_lo
	;; [unrolled: 2-line block ×4, first 2 shown]
	global_load_ushort v28, v[20:21], off
	global_load_ushort v29, v[22:23], off
	;; [unrolled: 1-line block ×4, first 2 shown]
	v_add_co_u32 v20, vcc_lo, v26, s22
	v_add_co_ci_u32_e64 v21, null, s23, v27, vcc_lo
	v_add_co_u32 v22, vcc_lo, v24, s22
	v_add_co_ci_u32_e64 v23, null, s23, v25, vcc_lo
	global_load_ushort v20, v[20:21], off
	global_load_ushort v21, v[22:23], off
	s_waitcnt vmcnt(17)
	ds_bpermute_b32 v22, v3, v18
	ds_bpermute_b32 v25, v9, v18
	s_waitcnt vmcnt(16)
	ds_bpermute_b32 v23, v3, v19
	ds_bpermute_b32 v27, v8, v18
	;; [unrolled: 1-line block ×14, first 2 shown]
	s_add_u32 s2, s2, s4
	v_add_co_u32 v6, vcc_lo, v6, s24
	s_addc_u32 s3, s3, 0
	v_add_co_ci_u32_e64 v7, null, s25, v7, vcc_lo
	v_add_co_u32 v4, vcc_lo, v4, s4
	v_cmp_lt_i64_e64 s1, s[2:3], s[20:21]
	v_add_co_ci_u32_e64 v5, null, 0, v5, vcc_lo
	v_add_co_u32 v15, vcc_lo, v15, s26
	v_add_co_ci_u32_e64 v16, null, s27, v16, vcc_lo
	s_and_b32 vcc_lo, exec_lo, s1
	s_waitcnt vmcnt(15)
	v_cvt_f32_f16_e32 v30, v30
	s_waitcnt vmcnt(14)
	v_cvt_f32_f16_e32 v31, v31
	;; [unrolled: 2-line block ×3, first 2 shown]
	v_add_f32_e32 v17, v17, v30
	s_waitcnt lgkmcnt(15)
	v_sub_f32_e32 v22, v31, v22
	v_cvt_f32_f16_e32 v31, v32
	s_waitcnt lgkmcnt(14)
	v_sub_f32_e32 v25, v33, v25
	v_mul_f32_e32 v22, v22, v30
	s_waitcnt vmcnt(11)
	v_cvt_f32_f16_e32 v30, v34
	v_add_f32_e32 v17, v17, v31
	s_waitcnt lgkmcnt(13)
	v_fmac_f32_e32 v2, v22, v23
	v_mul_f32_e32 v22, v25, v31
	v_add_f32_e32 v17, v17, v30
	s_waitcnt vmcnt(10)
	v_cvt_f32_f16_e32 v32, v35
	s_waitcnt lgkmcnt(11)
	v_fmac_f32_e32 v2, v22, v24
	s_waitcnt vmcnt(8)
	v_cvt_f32_f16_e32 v25, v37
	s_waitcnt vmcnt(6)
	v_cvt_f32_f16_e32 v24, v39
	v_sub_f32_e32 v23, v32, v27
	v_cvt_f32_f16_e32 v27, v36
	v_mul_f32_e32 v22, v23, v30
	s_waitcnt lgkmcnt(10)
	v_sub_f32_e32 v23, v25, v43
	v_cvt_f32_f16_e32 v25, v38
	v_add_f32_e32 v17, v17, v27
	s_waitcnt lgkmcnt(9)
	v_fmac_f32_e32 v2, v22, v26
	v_mul_f32_e32 v22, v23, v27
	s_waitcnt lgkmcnt(8)
	v_sub_f32_e32 v23, v24, v45
	s_waitcnt vmcnt(5)
	v_cvt_f32_f16_e32 v26, v28
	s_waitcnt vmcnt(4)
	v_cvt_f32_f16_e32 v24, v29
	v_add_f32_e32 v17, v17, v25
	s_waitcnt lgkmcnt(7)
	v_fmac_f32_e32 v2, v22, v42
	v_mul_f32_e32 v22, v23, v25
	s_waitcnt vmcnt(3)
	v_cvt_f32_f16_e32 v25, v40
	s_waitcnt lgkmcnt(6)
	v_sub_f32_e32 v23, v24, v47
	s_waitcnt vmcnt(2)
	v_cvt_f32_f16_e32 v24, v41
	v_add_f32_e32 v17, v17, v26
	s_waitcnt lgkmcnt(5)
	v_fmac_f32_e32 v2, v22, v44
	v_mul_f32_e32 v22, v23, v26
	s_waitcnt lgkmcnt(4)
	v_sub_f32_e32 v23, v24, v49
	s_waitcnt vmcnt(1)
	v_cvt_f32_f16_e32 v20, v20
	s_waitcnt vmcnt(0)
	v_cvt_f32_f16_e32 v21, v21
	v_add_f32_e32 v17, v17, v25
	s_waitcnt lgkmcnt(3)
	v_fmac_f32_e32 v2, v22, v46
	v_mul_f32_e32 v22, v23, v25
	s_waitcnt lgkmcnt(2)
	v_sub_f32_e32 v18, v20, v18
	v_add_f32_e32 v17, v17, v21
	s_waitcnt lgkmcnt(1)
	v_fmac_f32_e32 v2, v22, v48
	v_mul_f32_e32 v18, v18, v21
	s_waitcnt lgkmcnt(0)
	v_fmac_f32_e32 v2, v18, v19
	s_cbranch_vccz .LBB77_10
.LBB77_7:                               ; =>This Inner Loop Header: Depth=1
	v_mov_b32_e32 v19, 0
	v_mov_b32_e32 v18, 0
	s_and_saveexec_b32 s1, s0
	s_cbranch_execz .LBB77_6
; %bb.8:                                ;   in Loop: Header=BB77_7 Depth=1
	v_mov_b32_e32 v18, 0
	v_mov_b32_e32 v19, 0
	s_mov_b32 s5, exec_lo
	v_cmpx_gt_i64_e64 s[20:21], v[4:5]
	s_cbranch_execz .LBB77_5
; %bb.9:                                ;   in Loop: Header=BB77_7 Depth=1
	v_add_co_u32 v18, vcc_lo, s12, v6
	v_add_co_ci_u32_e64 v19, null, s13, v7, vcc_lo
	v_add_co_u32 v20, vcc_lo, s14, v6
	v_add_co_ci_u32_e64 v21, null, s15, v7, vcc_lo
	global_load_dword v18, v[18:19], off
	global_load_dword v19, v[20:21], off
	s_branch .LBB77_5
.LBB77_10:
	v_mad_u32_u24 v3, 0x41, v1, v0
	s_mov_b32 s0, exec_lo
	v_lshl_add_u32 v4, v3, 2, 0
	v_sub_nc_u32_e32 v3, v3, v1
	ds_write_b32 v4, v2
	ds_write_b32 v4, v17 offset:2080
	s_waitcnt lgkmcnt(0)
	s_barrier
	buffer_gl0_inv
	v_cmpx_gt_u32_e32 0x800, v3
	s_cbranch_execz .LBB77_42
; %bb.11:
	v_and_b32_e32 v1, 31, v0
	v_lshrrev_b32_e32 v2, 5, v3
                                        ; implicit-def: $vgpr7
	v_cmp_gt_u32_e64 s0, 8, v1
	v_mul_u32_u24_e32 v4, 0x41, v1
                                        ; implicit-def: $vgpr1
	s_and_saveexec_b32 s1, s0
	s_cbranch_execz .LBB77_13
; %bb.12:
	v_add_nc_u32_e32 v1, v2, v4
	v_lshl_add_u32 v1, v1, 2, 0
	ds_read_b32 v7, v1
	ds_read_b32 v1, v1 offset:2080
.LBB77_13:
	s_or_b32 exec_lo, exec_lo, s1
	v_mbcnt_lo_u32_b32 v8, -1, 0
	s_mov_b32 s7, 0
	v_cmp_eq_u32_e64 s1, 0, v0
	s_lshl_b64 s[2:3], s[6:7], 6
	s_cmp_lg_u64 s[16:17], 0
	v_xor_b32_e32 v5, 4, v8
	v_xor_b32_e32 v6, 2, v8
	s_cselect_b32 s5, -1, 0
	s_cmp_lg_u64 s[18:19], 0
	s_cselect_b32 s4, -1, 0
	v_cmp_gt_i32_e32 vcc_lo, 32, v5
	v_cndmask_b32_e32 v5, v8, v5, vcc_lo
	v_cmp_gt_i32_e32 vcc_lo, 32, v6
	v_lshlrev_b32_e32 v5, 2, v5
	v_cndmask_b32_e32 v6, v8, v6, vcc_lo
	s_waitcnt lgkmcnt(1)
	ds_bpermute_b32 v9, v5, v7
	s_waitcnt lgkmcnt(1)
	ds_bpermute_b32 v10, v5, v1
	v_lshlrev_b32_e32 v6, 2, v6
	s_waitcnt lgkmcnt(1)
	v_add_f32_e32 v9, v7, v9
	s_waitcnt lgkmcnt(0)
	v_add_f32_e32 v1, v1, v10
	v_xor_b32_e32 v7, 1, v8
	ds_bpermute_b32 v10, v6, v9
	ds_bpermute_b32 v11, v6, v1
	v_cmp_gt_i32_e32 vcc_lo, 32, v7
	v_cndmask_b32_e32 v7, v8, v7, vcc_lo
	v_lshlrev_b32_e32 v7, 2, v7
	s_waitcnt lgkmcnt(1)
	v_add_f32_e32 v8, v9, v10
	s_waitcnt lgkmcnt(0)
	v_add_f32_e32 v1, v1, v11
	ds_bpermute_b32 v9, v7, v8
	ds_bpermute_b32 v10, v7, v1
	s_waitcnt lgkmcnt(1)
	v_add_f32_e32 v8, v8, v9
	s_waitcnt lgkmcnt(0)
	v_add_f32_e32 v9, v1, v10
	s_and_saveexec_b32 s6, s1
	s_cbranch_execz .LBB77_18
; %bb.14:
	v_mov_b32_e32 v1, s3
	v_or_b32_e32 v0, s2, v2
	s_andn2_b32 vcc_lo, exec_lo, s5
	v_lshlrev_b64 v[0:1], 1, v[0:1]
	s_cbranch_vccnz .LBB77_16
; %bb.15:
	v_add_co_u32 v10, vcc_lo, s16, v0
	v_add_co_ci_u32_e64 v11, null, s17, v1, vcc_lo
	v_cvt_f16_f32_e32 v12, v8
	global_store_short v[10:11], v12, off
.LBB77_16:
	s_andn2_b32 vcc_lo, exec_lo, s4
	s_cbranch_vccnz .LBB77_18
; %bb.17:
	v_add_co_u32 v0, vcc_lo, s18, v0
	v_add_co_ci_u32_e64 v1, null, s19, v1, vcc_lo
	v_cvt_f16_f32_e32 v10, v9
	global_store_short v[0:1], v10, off
.LBB77_18:
	s_or_b32 exec_lo, exec_lo, s6
	v_cmp_gt_u32_e32 vcc_lo, 0x600, v3
	s_and_b32 exec_lo, exec_lo, vcc_lo
	s_cbranch_execz .LBB77_42
; %bb.19:
	s_and_saveexec_b32 s6, s0
	s_cbranch_execz .LBB77_21
; %bb.20:
	v_add_nc_u32_e32 v0, v2, v4
	v_lshl_add_u32 v0, v0, 2, 0
	ds_read_b32 v8, v0 offset:64
	ds_read_b32 v9, v0 offset:2144
.LBB77_21:
	s_or_b32 exec_lo, exec_lo, s6
	s_waitcnt lgkmcnt(1)
	ds_bpermute_b32 v0, v5, v8
	s_waitcnt lgkmcnt(1)
	ds_bpermute_b32 v1, v5, v9
	s_waitcnt lgkmcnt(1)
	v_add_f32_e32 v0, v8, v0
	s_waitcnt lgkmcnt(0)
	v_add_f32_e32 v1, v9, v1
	ds_bpermute_b32 v8, v6, v0
	ds_bpermute_b32 v9, v6, v1
	s_waitcnt lgkmcnt(1)
	v_add_f32_e32 v0, v0, v8
	s_waitcnt lgkmcnt(0)
	v_add_f32_e32 v1, v1, v9
	ds_bpermute_b32 v8, v7, v0
	ds_bpermute_b32 v9, v7, v1
	s_waitcnt lgkmcnt(1)
	v_add_f32_e32 v0, v0, v8
	s_waitcnt lgkmcnt(0)
	v_add_f32_e32 v1, v1, v9
	s_and_saveexec_b32 s6, s1
	s_cbranch_execz .LBB77_26
; %bb.22:
	s_andn2_b32 vcc_lo, exec_lo, s5
	s_cbranch_vccnz .LBB77_24
; %bb.23:
	v_add_co_u32 v8, s7, s2, v2
	v_add_co_ci_u32_e64 v9, null, s3, 0, s7
	v_cvt_f16_f32_e32 v10, v0
	v_lshlrev_b64 v[8:9], 1, v[8:9]
	v_add_co_u32 v8, vcc_lo, s16, v8
	v_add_co_ci_u32_e64 v9, null, s17, v9, vcc_lo
	global_store_short v[8:9], v10, off offset:32
.LBB77_24:
	s_andn2_b32 vcc_lo, exec_lo, s4
	s_cbranch_vccnz .LBB77_26
; %bb.25:
	v_add_co_u32 v8, s7, s2, v2
	v_add_co_ci_u32_e64 v9, null, s3, 0, s7
	v_cvt_f16_f32_e32 v10, v1
	v_lshlrev_b64 v[8:9], 1, v[8:9]
	v_add_co_u32 v8, vcc_lo, s18, v8
	v_add_co_ci_u32_e64 v9, null, s19, v9, vcc_lo
	global_store_short v[8:9], v10, off offset:32
.LBB77_26:
	s_or_b32 exec_lo, exec_lo, s6
	v_cmp_gt_u32_e32 vcc_lo, 0x400, v3
	s_and_b32 exec_lo, exec_lo, vcc_lo
	s_cbranch_execz .LBB77_42
; %bb.27:
	s_and_saveexec_b32 s6, s0
	s_cbranch_execz .LBB77_29
; %bb.28:
	v_add_nc_u32_e32 v0, v2, v4
	v_lshl_add_u32 v1, v0, 2, 0
	ds_read_b32 v0, v1 offset:128
	ds_read_b32 v1, v1 offset:2208
.LBB77_29:
	s_or_b32 exec_lo, exec_lo, s6
	s_waitcnt lgkmcnt(1)
	ds_bpermute_b32 v8, v5, v0
	s_waitcnt lgkmcnt(1)
	ds_bpermute_b32 v9, v5, v1
	s_waitcnt lgkmcnt(1)
	v_add_f32_e32 v0, v0, v8
	s_waitcnt lgkmcnt(0)
	v_add_f32_e32 v1, v1, v9
	ds_bpermute_b32 v8, v6, v0
	ds_bpermute_b32 v9, v6, v1
	s_waitcnt lgkmcnt(1)
	v_add_f32_e32 v0, v0, v8
	s_waitcnt lgkmcnt(0)
	v_add_f32_e32 v1, v1, v9
	ds_bpermute_b32 v8, v7, v0
	ds_bpermute_b32 v9, v7, v1
	s_waitcnt lgkmcnt(1)
	v_add_f32_e32 v0, v0, v8
	s_waitcnt lgkmcnt(0)
	v_add_f32_e32 v1, v1, v9
	s_and_saveexec_b32 s6, s1
	s_cbranch_execz .LBB77_34
; %bb.30:
	s_andn2_b32 vcc_lo, exec_lo, s5
	s_cbranch_vccnz .LBB77_32
; %bb.31:
	v_add_co_u32 v8, s7, s2, v2
	v_add_co_ci_u32_e64 v9, null, s3, 0, s7
	v_cvt_f16_f32_e32 v10, v0
	v_lshlrev_b64 v[8:9], 1, v[8:9]
	v_add_co_u32 v8, vcc_lo, s16, v8
	v_add_co_ci_u32_e64 v9, null, s17, v9, vcc_lo
	global_store_short v[8:9], v10, off offset:64
.LBB77_32:
	s_andn2_b32 vcc_lo, exec_lo, s4
	s_cbranch_vccnz .LBB77_34
; %bb.33:
	v_add_co_u32 v8, s7, s2, v2
	v_add_co_ci_u32_e64 v9, null, s3, 0, s7
	v_cvt_f16_f32_e32 v10, v1
	v_lshlrev_b64 v[8:9], 1, v[8:9]
	v_add_co_u32 v8, vcc_lo, s18, v8
	v_add_co_ci_u32_e64 v9, null, s19, v9, vcc_lo
	global_store_short v[8:9], v10, off offset:64
.LBB77_34:
	s_or_b32 exec_lo, exec_lo, s6
	v_cmp_gt_u32_e32 vcc_lo, 0x200, v3
	s_and_b32 exec_lo, exec_lo, vcc_lo
	s_cbranch_execz .LBB77_42
; %bb.35:
	s_and_saveexec_b32 s6, s0
	s_cbranch_execz .LBB77_37
; %bb.36:
	v_add_nc_u32_e32 v0, v2, v4
	v_lshl_add_u32 v1, v0, 2, 0
	ds_read_b32 v0, v1 offset:192
	ds_read_b32 v1, v1 offset:2272
.LBB77_37:
	s_or_b32 exec_lo, exec_lo, s6
	s_waitcnt lgkmcnt(1)
	ds_bpermute_b32 v3, v5, v0
	s_waitcnt lgkmcnt(1)
	ds_bpermute_b32 v4, v5, v1
	s_waitcnt lgkmcnt(1)
	v_add_f32_e32 v0, v0, v3
	s_waitcnt lgkmcnt(0)
	v_add_f32_e32 v1, v1, v4
	ds_bpermute_b32 v3, v6, v0
	ds_bpermute_b32 v4, v6, v1
	s_waitcnt lgkmcnt(1)
	v_add_f32_e32 v3, v0, v3
	s_waitcnt lgkmcnt(0)
	v_add_f32_e32 v0, v1, v4
	ds_bpermute_b32 v4, v7, v3
	ds_bpermute_b32 v1, v7, v0
	s_and_b32 exec_lo, exec_lo, s1
	s_cbranch_execz .LBB77_42
; %bb.38:
	s_andn2_b32 vcc_lo, exec_lo, s5
	s_cbranch_vccnz .LBB77_40
; %bb.39:
	v_add_co_u32 v5, s0, s2, v2
	v_add_co_ci_u32_e64 v6, null, s3, 0, s0
	s_waitcnt lgkmcnt(1)
	v_add_f32_e32 v7, v3, v4
	v_lshlrev_b64 v[5:6], 1, v[5:6]
	v_add_co_u32 v3, vcc_lo, s16, v5
	v_add_co_ci_u32_e64 v4, null, s17, v6, vcc_lo
	v_cvt_f16_f32_e32 v5, v7
	global_store_short v[3:4], v5, off offset:96
.LBB77_40:
	s_andn2_b32 vcc_lo, exec_lo, s4
	s_cbranch_vccnz .LBB77_42
; %bb.41:
	v_add_co_u32 v2, s0, s2, v2
	v_add_co_ci_u32_e64 v3, null, s3, 0, s0
	s_waitcnt lgkmcnt(0)
	v_add_f32_e32 v4, v0, v1
	v_lshlrev_b64 v[2:3], 1, v[2:3]
	v_add_co_u32 v0, vcc_lo, s18, v2
	v_add_co_ci_u32_e64 v1, null, s19, v3, vcc_lo
	v_cvt_f16_f32_e32 v2, v4
	global_store_short v[0:1], v2, off offset:96
.LBB77_42:
	s_endpgm
	.section	.rodata,"a",@progbits
	.p2align	6, 0x0
	.amdhsa_kernel _ZN2at6native12_GLOBAL__N_135GammaBetaBackwardCUDAKernelTemplateIN3c104HalfEfLj64ELj8ELj64ELb0ELb1ELb0EEEvllPKT_S7_PKT0_SA_PS5_SB_
		.amdhsa_group_segment_fixed_size 0
		.amdhsa_private_segment_fixed_size 0
		.amdhsa_kernarg_size 320
		.amdhsa_user_sgpr_count 6
		.amdhsa_user_sgpr_private_segment_buffer 1
		.amdhsa_user_sgpr_dispatch_ptr 0
		.amdhsa_user_sgpr_queue_ptr 0
		.amdhsa_user_sgpr_kernarg_segment_ptr 1
		.amdhsa_user_sgpr_dispatch_id 0
		.amdhsa_user_sgpr_flat_scratch_init 0
		.amdhsa_user_sgpr_private_segment_size 0
		.amdhsa_wavefront_size32 1
		.amdhsa_uses_dynamic_stack 0
		.amdhsa_system_sgpr_private_segment_wavefront_offset 0
		.amdhsa_system_sgpr_workgroup_id_x 1
		.amdhsa_system_sgpr_workgroup_id_y 1
		.amdhsa_system_sgpr_workgroup_id_z 0
		.amdhsa_system_sgpr_workgroup_info 0
		.amdhsa_system_vgpr_workitem_id 1
		.amdhsa_next_free_vgpr 50
		.amdhsa_next_free_sgpr 28
		.amdhsa_reserve_vcc 1
		.amdhsa_reserve_flat_scratch 0
		.amdhsa_float_round_mode_32 0
		.amdhsa_float_round_mode_16_64 0
		.amdhsa_float_denorm_mode_32 3
		.amdhsa_float_denorm_mode_16_64 3
		.amdhsa_dx10_clamp 1
		.amdhsa_ieee_mode 1
		.amdhsa_fp16_overflow 0
		.amdhsa_workgroup_processor_mode 1
		.amdhsa_memory_ordered 1
		.amdhsa_forward_progress 1
		.amdhsa_shared_vgpr_count 0
		.amdhsa_exception_fp_ieee_invalid_op 0
		.amdhsa_exception_fp_denorm_src 0
		.amdhsa_exception_fp_ieee_div_zero 0
		.amdhsa_exception_fp_ieee_overflow 0
		.amdhsa_exception_fp_ieee_underflow 0
		.amdhsa_exception_fp_ieee_inexact 0
		.amdhsa_exception_int_div_zero 0
	.end_amdhsa_kernel
	.section	.text._ZN2at6native12_GLOBAL__N_135GammaBetaBackwardCUDAKernelTemplateIN3c104HalfEfLj64ELj8ELj64ELb0ELb1ELb0EEEvllPKT_S7_PKT0_SA_PS5_SB_,"axG",@progbits,_ZN2at6native12_GLOBAL__N_135GammaBetaBackwardCUDAKernelTemplateIN3c104HalfEfLj64ELj8ELj64ELb0ELb1ELb0EEEvllPKT_S7_PKT0_SA_PS5_SB_,comdat
.Lfunc_end77:
	.size	_ZN2at6native12_GLOBAL__N_135GammaBetaBackwardCUDAKernelTemplateIN3c104HalfEfLj64ELj8ELj64ELb0ELb1ELb0EEEvllPKT_S7_PKT0_SA_PS5_SB_, .Lfunc_end77-_ZN2at6native12_GLOBAL__N_135GammaBetaBackwardCUDAKernelTemplateIN3c104HalfEfLj64ELj8ELj64ELb0ELb1ELb0EEEvllPKT_S7_PKT0_SA_PS5_SB_
                                        ; -- End function
	.set _ZN2at6native12_GLOBAL__N_135GammaBetaBackwardCUDAKernelTemplateIN3c104HalfEfLj64ELj8ELj64ELb0ELb1ELb0EEEvllPKT_S7_PKT0_SA_PS5_SB_.num_vgpr, 50
	.set _ZN2at6native12_GLOBAL__N_135GammaBetaBackwardCUDAKernelTemplateIN3c104HalfEfLj64ELj8ELj64ELb0ELb1ELb0EEEvllPKT_S7_PKT0_SA_PS5_SB_.num_agpr, 0
	.set _ZN2at6native12_GLOBAL__N_135GammaBetaBackwardCUDAKernelTemplateIN3c104HalfEfLj64ELj8ELj64ELb0ELb1ELb0EEEvllPKT_S7_PKT0_SA_PS5_SB_.numbered_sgpr, 28
	.set _ZN2at6native12_GLOBAL__N_135GammaBetaBackwardCUDAKernelTemplateIN3c104HalfEfLj64ELj8ELj64ELb0ELb1ELb0EEEvllPKT_S7_PKT0_SA_PS5_SB_.num_named_barrier, 0
	.set _ZN2at6native12_GLOBAL__N_135GammaBetaBackwardCUDAKernelTemplateIN3c104HalfEfLj64ELj8ELj64ELb0ELb1ELb0EEEvllPKT_S7_PKT0_SA_PS5_SB_.private_seg_size, 0
	.set _ZN2at6native12_GLOBAL__N_135GammaBetaBackwardCUDAKernelTemplateIN3c104HalfEfLj64ELj8ELj64ELb0ELb1ELb0EEEvllPKT_S7_PKT0_SA_PS5_SB_.uses_vcc, 1
	.set _ZN2at6native12_GLOBAL__N_135GammaBetaBackwardCUDAKernelTemplateIN3c104HalfEfLj64ELj8ELj64ELb0ELb1ELb0EEEvllPKT_S7_PKT0_SA_PS5_SB_.uses_flat_scratch, 0
	.set _ZN2at6native12_GLOBAL__N_135GammaBetaBackwardCUDAKernelTemplateIN3c104HalfEfLj64ELj8ELj64ELb0ELb1ELb0EEEvllPKT_S7_PKT0_SA_PS5_SB_.has_dyn_sized_stack, 0
	.set _ZN2at6native12_GLOBAL__N_135GammaBetaBackwardCUDAKernelTemplateIN3c104HalfEfLj64ELj8ELj64ELb0ELb1ELb0EEEvllPKT_S7_PKT0_SA_PS5_SB_.has_recursion, 0
	.set _ZN2at6native12_GLOBAL__N_135GammaBetaBackwardCUDAKernelTemplateIN3c104HalfEfLj64ELj8ELj64ELb0ELb1ELb0EEEvllPKT_S7_PKT0_SA_PS5_SB_.has_indirect_call, 0
	.section	.AMDGPU.csdata,"",@progbits
; Kernel info:
; codeLenInByte = 2628
; TotalNumSgprs: 30
; NumVgprs: 50
; ScratchSize: 0
; MemoryBound: 0
; FloatMode: 240
; IeeeMode: 1
; LDSByteSize: 0 bytes/workgroup (compile time only)
; SGPRBlocks: 0
; VGPRBlocks: 6
; NumSGPRsForWavesPerEU: 30
; NumVGPRsForWavesPerEU: 50
; Occupancy: 16
; WaveLimiterHint : 0
; COMPUTE_PGM_RSRC2:SCRATCH_EN: 0
; COMPUTE_PGM_RSRC2:USER_SGPR: 6
; COMPUTE_PGM_RSRC2:TRAP_HANDLER: 0
; COMPUTE_PGM_RSRC2:TGID_X_EN: 1
; COMPUTE_PGM_RSRC2:TGID_Y_EN: 1
; COMPUTE_PGM_RSRC2:TGID_Z_EN: 0
; COMPUTE_PGM_RSRC2:TIDIG_COMP_CNT: 1
	.section	.text._ZN2at6native12_GLOBAL__N_135GammaBetaBackwardCUDAKernelTemplateIN3c104HalfEfLj64ELj8ELj64ELb0ELb0ELb0EEEvllPKT_S7_PKT0_SA_PS5_SB_,"axG",@progbits,_ZN2at6native12_GLOBAL__N_135GammaBetaBackwardCUDAKernelTemplateIN3c104HalfEfLj64ELj8ELj64ELb0ELb0ELb0EEEvllPKT_S7_PKT0_SA_PS5_SB_,comdat
	.globl	_ZN2at6native12_GLOBAL__N_135GammaBetaBackwardCUDAKernelTemplateIN3c104HalfEfLj64ELj8ELj64ELb0ELb0ELb0EEEvllPKT_S7_PKT0_SA_PS5_SB_ ; -- Begin function _ZN2at6native12_GLOBAL__N_135GammaBetaBackwardCUDAKernelTemplateIN3c104HalfEfLj64ELj8ELj64ELb0ELb0ELb0EEEvllPKT_S7_PKT0_SA_PS5_SB_
	.p2align	8
	.type	_ZN2at6native12_GLOBAL__N_135GammaBetaBackwardCUDAKernelTemplateIN3c104HalfEfLj64ELj8ELj64ELb0ELb0ELb0EEEvllPKT_S7_PKT0_SA_PS5_SB_,@function
_ZN2at6native12_GLOBAL__N_135GammaBetaBackwardCUDAKernelTemplateIN3c104HalfEfLj64ELj8ELj64ELb0ELb0ELb0EEEvllPKT_S7_PKT0_SA_PS5_SB_: ; @_ZN2at6native12_GLOBAL__N_135GammaBetaBackwardCUDAKernelTemplateIN3c104HalfEfLj64ELj8ELj64ELb0ELb0ELb0EEEvllPKT_S7_PKT0_SA_PS5_SB_
; %bb.0:
	s_clause 0x1
	s_load_dwordx8 s[8:15], s[4:5], 0x0
	s_load_dwordx4 s[16:19], s[4:5], 0x20
	s_lshl_b32 s28, s6, 6
	s_mov_b32 s3, 0
	s_or_b32 s2, s28, 63
	s_waitcnt lgkmcnt(0)
	v_cmp_le_i64_e64 s0, s[10:11], s[2:3]
	s_lshl_b32 s2, s7, 6
	v_cmp_gt_i64_e64 s7, s[8:9], s[2:3]
	s_and_b32 vcc_lo, exec_lo, s0
	v_cndmask_b32_e64 v2, 0, 1, s7
	v_cmp_ne_u32_e64 s0, 1, v2
	s_cbranch_vccz .LBB78_49
; %bb.1:
	v_mov_b32_e32 v11, 0
	v_mov_b32_e32 v62, 0
	s_and_b32 vcc_lo, exec_lo, s0
	s_cbranch_vccnz .LBB78_50
; %bb.2:
	v_lshlrev_b32_e32 v21, 3, v1
	v_mov_b32_e32 v2, 0
	v_add_nc_u32_e32 v5, s28, v0
	s_load_dword s1, s[4:5], 0x44
	s_add_u32 s20, s4, 64
	v_add_co_u32 v11, s0, v21, s2
	v_add_co_ci_u32_e64 v12, null, 0, 0, s0
	v_mov_b32_e32 v6, v2
	v_mul_lo_u32 v7, s11, v11
	v_mad_u64_u32 v[3:4], null, s10, v11, 0
	v_mul_lo_u32 v8, s10, v12
	v_cmp_gt_i64_e64 s0, s[10:11], v[5:6]
	v_lshlrev_b64 v[19:20], 1, v[5:6]
	s_addc_u32 s21, s5, 0
	v_mov_b32_e32 v62, 0
	v_mov_b32_e32 v54, 0
	s_mov_b64 s[26:27], s[2:3]
	v_add3_u32 v4, v4, v8, v7
	v_add_co_u32 v7, vcc_lo, v11, 7
	v_add_co_ci_u32_e64 v8, null, 0, v12, vcc_lo
	v_lshlrev_b64 v[5:6], 1, v[3:4]
	v_mul_lo_u32 v13, s11, v7
	s_waitcnt lgkmcnt(0)
	s_lshl_b32 s29, s1, 6
	v_mul_lo_u32 v14, s10, v8
	v_mad_u64_u32 v[7:8], null, s10, v7, 0
	v_add_co_u32 v22, vcc_lo, s12, v5
	v_add_co_ci_u32_e64 v23, null, s13, v6, vcc_lo
	v_add_co_u32 v9, vcc_lo, v11, 6
	v_add_co_ci_u32_e64 v10, null, 0, v12, vcc_lo
	v_add_co_u32 v24, vcc_lo, s14, v5
	v_mul_lo_u32 v15, s11, v9
	v_mul_lo_u32 v16, s10, v10
	v_mad_u64_u32 v[9:10], null, s10, v9, 0
	v_add3_u32 v8, v8, v14, v13
	v_add_co_ci_u32_e64 v25, null, s15, v6, vcc_lo
	v_add_co_u32 v13, vcc_lo, v11, 5
	v_add_co_ci_u32_e64 v14, null, 0, v12, vcc_lo
	v_add3_u32 v10, v10, v16, v15
	v_lshlrev_b64 v[5:6], 1, v[7:8]
	v_mul_lo_u32 v15, s11, v13
	v_mul_lo_u32 v14, s10, v14
	s_mul_i32 s1, s11, s29
	v_lshlrev_b64 v[7:8], 1, v[9:10]
	v_mad_u64_u32 v[9:10], null, s10, v13, 0
	v_add_co_u32 v26, vcc_lo, s12, v5
	v_add_co_ci_u32_e64 v27, null, s13, v6, vcc_lo
	v_add_co_u32 v28, vcc_lo, s14, v5
	v_add_co_ci_u32_e64 v29, null, s15, v6, vcc_lo
	v_add_co_u32 v30, vcc_lo, s12, v7
	v_add3_u32 v10, v10, v14, v15
	s_mul_hi_u32 s22, s10, s29
	v_add_co_ci_u32_e64 v31, null, s13, v8, vcc_lo
	v_add_co_u32 v13, vcc_lo, v11, 4
	s_add_i32 s23, s22, s1
	v_add_co_u32 v32, s1, s14, v7
	v_add_co_ci_u32_e64 v7, null, 0, v12, vcc_lo
	v_lshlrev_b64 v[5:6], 1, v[9:10]
	v_add_co_u32 v9, vcc_lo, v11, 3
	v_add_co_ci_u32_e64 v10, null, 0, v12, vcc_lo
	v_add_co_ci_u32_e64 v33, null, s15, v8, s1
	v_mul_lo_u32 v14, s11, v13
	v_mul_lo_u32 v15, s10, v7
	v_mad_u64_u32 v[7:8], null, s10, v13, 0
	v_mul_lo_u32 v13, s11, v9
	v_mul_lo_u32 v16, s10, v10
	v_mad_u64_u32 v[9:10], null, s10, v9, 0
	v_add_co_u32 v34, vcc_lo, s12, v5
	v_add_co_ci_u32_e64 v35, null, s13, v6, vcc_lo
	v_add3_u32 v8, v8, v15, v14
	v_add_co_u32 v36, vcc_lo, s14, v5
	v_add_co_ci_u32_e64 v37, null, s15, v6, vcc_lo
	v_add_co_u32 v11, vcc_lo, v11, 2
	v_add3_u32 v10, v10, v16, v13
	v_add_co_ci_u32_e64 v12, null, 0, v12, vcc_lo
	v_lshlrev_b64 v[5:6], 1, v[7:8]
	v_mul_lo_u32 v13, s11, v11
	v_lshlrev_b64 v[7:8], 1, v[9:10]
	v_mul_lo_u32 v12, s10, v12
	v_mad_u64_u32 v[9:10], null, s10, v11, 0
	v_add_co_u32 v38, vcc_lo, s12, v5
	v_add_co_ci_u32_e64 v39, null, s13, v6, vcc_lo
	v_add_co_u32 v40, vcc_lo, s14, v5
	v_add_co_ci_u32_e64 v41, null, s15, v6, vcc_lo
	;; [unrolled: 2-line block ×3, first 2 shown]
	v_add3_u32 v10, v10, v12, v13
	v_add_co_u32 v44, vcc_lo, s14, v7
	v_add_co_ci_u32_e64 v45, null, s15, v8, vcc_lo
	v_add_co_u32 v3, vcc_lo, v3, s10
	v_add_co_ci_u32_e64 v4, null, s11, v4, vcc_lo
	v_lshlrev_b64 v[5:6], 1, v[9:10]
	s_mul_i32 s22, s10, s29
	v_lshlrev_b64 v[3:4], 1, v[3:4]
	s_lshl_b64 s[22:23], s[22:23], 1
	s_add_u32 s24, s2, 63
	v_add_co_u32 v46, vcc_lo, s12, v5
	v_add_co_ci_u32_e64 v47, null, s13, v6, vcc_lo
	v_add_co_u32 v48, vcc_lo, s14, v5
	v_add_co_ci_u32_e64 v49, null, s15, v6, vcc_lo
	;; [unrolled: 2-line block ×4, first 2 shown]
	s_addc_u32 s25, 0, 0
.LBB78_3:                               ; =>This Inner Loop Header: Depth=1
	v_cmp_ge_i64_e64 s1, s[24:25], s[8:9]
	v_add_co_u32 v55, s30, v21, s24
	v_add_co_ci_u32_e64 v56, null, 0, s25, s30
                                        ; implicit-def: $vgpr11_vgpr12_vgpr13_vgpr14_vgpr15_vgpr16_vgpr17_vgpr18
                                        ; implicit-def: $vgpr3_vgpr4_vgpr5_vgpr6_vgpr7_vgpr8_vgpr9_vgpr10
                                        ; implicit-def: $vgpr58
                                        ; implicit-def: $vgpr3
	s_and_b32 vcc_lo, exec_lo, s1
	s_mov_b32 s1, -1
                                        ; implicit-def: $vgpr11
                                        ; implicit-def: $vgpr4
	s_cbranch_vccz .LBB78_25
; %bb.4:                                ;   in Loop: Header=BB78_3 Depth=1
	s_load_dword s1, s[20:21], 0xc
	v_mov_b32_e32 v58, 0
	v_mov_b32_e32 v57, 0
	s_waitcnt lgkmcnt(0)
	s_and_b32 s1, s1, 0xffff
	v_mad_u32_u24 v3, v1, s1, v0
	s_mov_b32 s1, exec_lo
	v_and_b32_e32 v3, 31, v3
	v_cmpx_gt_u32_e32 8, v3
	s_cbranch_execz .LBB78_8
; %bb.5:                                ;   in Loop: Header=BB78_3 Depth=1
	v_add_co_u32 v3, vcc_lo, v55, v3
	v_add_co_ci_u32_e64 v4, null, 0, v56, vcc_lo
	v_mov_b32_e32 v57, 0
	v_add_co_u32 v3, vcc_lo, 0xffffffc1, v3
	v_add_co_ci_u32_e64 v4, null, -1, v4, vcc_lo
	v_mov_b32_e32 v58, 0
	s_mov_b32 s30, exec_lo
	v_cmpx_gt_i64_e64 s[8:9], v[3:4]
	s_cbranch_execz .LBB78_7
; %bb.6:                                ;   in Loop: Header=BB78_3 Depth=1
	v_lshlrev_b64 v[3:4], 2, v[3:4]
	v_add_co_u32 v5, vcc_lo, s16, v3
	v_add_co_ci_u32_e64 v6, null, s17, v4, vcc_lo
	v_add_co_u32 v3, vcc_lo, s18, v3
	v_add_co_ci_u32_e64 v4, null, s19, v4, vcc_lo
	global_load_dword v57, v[5:6], off
	global_load_dword v58, v[3:4], off
.LBB78_7:                               ;   in Loop: Header=BB78_3 Depth=1
	s_or_b32 exec_lo, exec_lo, s30
.LBB78_8:                               ;   in Loop: Header=BB78_3 Depth=1
	s_or_b32 exec_lo, exec_lo, s1
	v_add_co_u32 v10, vcc_lo, 0xffffffc1, v55
	v_add_co_ci_u32_e64 v11, null, -1, v56, vcc_lo
	v_mov_b32_e32 v9, v2
	v_mov_b32_e32 v3, v2
	;; [unrolled: 1-line block ×7, first 2 shown]
	v_cmp_gt_i64_e32 vcc_lo, s[8:9], v[10:11]
	v_mov_b32_e32 v18, v9
	v_mov_b32_e32 v15, v6
	;; [unrolled: 1-line block ×16, first 2 shown]
	s_and_b32 s30, s0, vcc_lo
	s_and_saveexec_b32 s1, s30
	s_cbranch_execz .LBB78_10
; %bb.9:                                ;   in Loop: Header=BB78_3 Depth=1
	v_add_co_u32 v3, vcc_lo, v22, v19
	v_add_co_ci_u32_e64 v4, null, v23, v20, vcc_lo
	v_add_co_u32 v5, vcc_lo, v24, v19
	v_add_co_ci_u32_e64 v6, null, v25, v20, vcc_lo
	global_load_ushort v3, v[3:4], off
	global_load_ushort v11, v[5:6], off
	v_mov_b32_e32 v4, v2
	v_mov_b32_e32 v5, v2
	;; [unrolled: 1-line block ×14, first 2 shown]
	s_waitcnt vmcnt(1)
	v_cvt_f32_f16_e32 v3, v3
	s_waitcnt vmcnt(0)
	v_cvt_f32_f16_e32 v11, v11
.LBB78_10:                              ;   in Loop: Header=BB78_3 Depth=1
	s_or_b32 exec_lo, exec_lo, s1
	v_add_co_u32 v59, vcc_lo, 0xffffffc2, v55
	v_add_co_ci_u32_e64 v60, null, -1, v56, vcc_lo
	v_cmp_gt_i64_e32 vcc_lo, s[8:9], v[59:60]
	s_and_b32 s30, s0, vcc_lo
	s_and_saveexec_b32 s1, s30
	s_cbranch_execz .LBB78_12
; %bb.11:                               ;   in Loop: Header=BB78_3 Depth=1
	v_add_co_u32 v59, vcc_lo, v50, v19
	v_add_co_ci_u32_e64 v60, null, v51, v20, vcc_lo
	v_add_co_u32 v63, vcc_lo, v52, v19
	v_add_co_ci_u32_e64 v64, null, v53, v20, vcc_lo
	global_load_ushort v4, v[59:60], off
	global_load_ushort v12, v[63:64], off
	s_waitcnt vmcnt(1)
	v_cvt_f32_f16_e32 v4, v4
	s_waitcnt vmcnt(0)
	v_cvt_f32_f16_e32 v12, v12
.LBB78_12:                              ;   in Loop: Header=BB78_3 Depth=1
	s_or_b32 exec_lo, exec_lo, s1
	v_add_co_u32 v59, vcc_lo, 0xffffffc3, v55
	v_add_co_ci_u32_e64 v60, null, -1, v56, vcc_lo
	v_cmp_gt_i64_e32 vcc_lo, s[8:9], v[59:60]
	s_and_b32 s30, s0, vcc_lo
	s_and_saveexec_b32 s1, s30
	s_cbranch_execz .LBB78_14
; %bb.13:                               ;   in Loop: Header=BB78_3 Depth=1
	v_add_co_u32 v59, vcc_lo, v46, v19
	v_add_co_ci_u32_e64 v60, null, v47, v20, vcc_lo
	v_add_co_u32 v63, vcc_lo, v48, v19
	v_add_co_ci_u32_e64 v64, null, v49, v20, vcc_lo
	global_load_ushort v5, v[59:60], off
	global_load_ushort v13, v[63:64], off
	s_waitcnt vmcnt(1)
	v_cvt_f32_f16_e32 v5, v5
	s_waitcnt vmcnt(0)
	v_cvt_f32_f16_e32 v13, v13
.LBB78_14:                              ;   in Loop: Header=BB78_3 Depth=1
	;; [unrolled: 19-line block ×7, first 2 shown]
	s_or_b32 exec_lo, exec_lo, s1
	s_waitcnt vmcnt(1)
	ds_bpermute_b32 v59, v2, v57
	ds_bpermute_b32 v60, v2, v57 offset:4
	ds_bpermute_b32 v61, v2, v57 offset:8
	s_waitcnt vmcnt(0)
	ds_bpermute_b32 v63, v2, v58
	ds_bpermute_b32 v64, v2, v57 offset:12
	ds_bpermute_b32 v65, v2, v58 offset:4
	;; [unrolled: 1-line block ×7, first 2 shown]
	s_mov_b32 s1, 0
	s_waitcnt lgkmcnt(10)
	v_sub_f32_e32 v11, v11, v59
	v_add_f32_e32 v59, v62, v3
	s_waitcnt lgkmcnt(9)
	v_sub_f32_e32 v12, v12, v60
	ds_bpermute_b32 v60, v2, v58 offset:16
	s_waitcnt lgkmcnt(9)
	v_sub_f32_e32 v13, v13, v61
	v_mul_f32_e32 v3, v3, v11
	ds_bpermute_b32 v61, v2, v58 offset:20
	v_mul_f32_e32 v12, v4, v12
	v_add_f32_e32 v4, v4, v59
	v_mul_f32_e32 v13, v5, v13
	s_waitcnt lgkmcnt(9)
	v_fma_f32 v11, v3, v63, v54
	s_waitcnt lgkmcnt(8)
	v_sub_f32_e32 v3, v14, v64
	ds_bpermute_b32 v63, v2, v58 offset:24
	v_add_f32_e32 v4, v5, v4
	ds_bpermute_b32 v58, v2, v58 offset:28
	s_waitcnt lgkmcnt(9)
	v_fmac_f32_e32 v11, v12, v65
	s_waitcnt lgkmcnt(8)
	v_sub_f32_e32 v12, v15, v66
	v_mul_f32_e32 v14, v6, v3
	ds_bpermute_b32 v3, v2, v57 offset:28
	s_waitcnt lgkmcnt(6)
	v_sub_f32_e32 v5, v16, v69
	v_fmac_f32_e32 v11, v13, v67
	v_mul_f32_e32 v12, v7, v12
	v_add_f32_e32 v4, v6, v4
	s_waitcnt lgkmcnt(5)
	v_sub_f32_e32 v6, v17, v70
	v_mul_f32_e32 v5, v8, v5
	v_fmac_f32_e32 v11, v14, v68
	v_add_f32_e32 v4, v7, v4
	v_mul_f32_e32 v6, v9, v6
	s_waitcnt lgkmcnt(4)
	v_fmac_f32_e32 v11, v12, v60
	v_add_f32_e32 v4, v8, v4
	s_waitcnt lgkmcnt(3)
	v_fmac_f32_e32 v11, v5, v61
	v_add_f32_e32 v4, v9, v4
	s_waitcnt lgkmcnt(2)
	v_fmac_f32_e32 v11, v6, v63
.LBB78_25:                              ;   in Loop: Header=BB78_3 Depth=1
	s_and_b32 vcc_lo, exec_lo, s1
	s_cbranch_vccz .LBB78_40
; %bb.26:                               ;   in Loop: Header=BB78_3 Depth=1
	s_load_dword s1, s[20:21], 0x0
	s_waitcnt lgkmcnt(0)
	v_mov_b32_e32 v58, 0
	v_mov_b32_e32 v57, 0
	s_cmp_lt_u32 s6, s1
	s_cselect_b32 s1, 12, 18
	s_add_u32 s30, s20, s1
	s_addc_u32 s31, s21, 0
	s_mov_b32 s1, exec_lo
	global_load_ushort v3, v2, s[30:31]
	s_waitcnt vmcnt(0)
	v_mad_u32_u24 v3, v1, v3, v0
	v_and_b32_e32 v3, 31, v3
	v_cmpx_gt_u32_e32 8, v3
	s_cbranch_execz .LBB78_30
; %bb.27:                               ;   in Loop: Header=BB78_3 Depth=1
	v_add_co_u32 v3, vcc_lo, v55, v3
	v_add_co_ci_u32_e64 v4, null, 0, v56, vcc_lo
	v_mov_b32_e32 v57, 0
	v_add_co_u32 v3, vcc_lo, 0xffffffc1, v3
	v_add_co_ci_u32_e64 v4, null, -1, v4, vcc_lo
	v_mov_b32_e32 v58, 0
	s_mov_b32 s30, exec_lo
	v_cmpx_gt_i64_e64 s[8:9], v[3:4]
	s_cbranch_execz .LBB78_29
; %bb.28:                               ;   in Loop: Header=BB78_3 Depth=1
	v_lshlrev_b64 v[3:4], 2, v[3:4]
	v_add_co_u32 v5, vcc_lo, s16, v3
	v_add_co_ci_u32_e64 v6, null, s17, v4, vcc_lo
	v_add_co_u32 v3, vcc_lo, s18, v3
	v_add_co_ci_u32_e64 v4, null, s19, v4, vcc_lo
	global_load_dword v57, v[5:6], off
	global_load_dword v58, v[3:4], off
.LBB78_29:                              ;   in Loop: Header=BB78_3 Depth=1
	s_or_b32 exec_lo, exec_lo, s30
.LBB78_30:                              ;   in Loop: Header=BB78_3 Depth=1
	s_or_b32 exec_lo, exec_lo, s1
	v_mov_b32_e32 v9, v2
	v_mov_b32_e32 v3, v2
	;; [unrolled: 1-line block ×23, first 2 shown]
	s_and_saveexec_b32 s1, s0
	s_cbranch_execnz .LBB78_42
; %bb.31:                               ;   in Loop: Header=BB78_3 Depth=1
	s_or_b32 exec_lo, exec_lo, s1
	s_and_saveexec_b32 s1, s0
	s_cbranch_execnz .LBB78_43
.LBB78_32:                              ;   in Loop: Header=BB78_3 Depth=1
	s_or_b32 exec_lo, exec_lo, s1
	s_and_saveexec_b32 s1, s0
	s_cbranch_execnz .LBB78_44
.LBB78_33:                              ;   in Loop: Header=BB78_3 Depth=1
	s_or_b32 exec_lo, exec_lo, s1
	s_and_saveexec_b32 s1, s0
	s_cbranch_execnz .LBB78_45
.LBB78_34:                              ;   in Loop: Header=BB78_3 Depth=1
	s_or_b32 exec_lo, exec_lo, s1
	s_and_saveexec_b32 s1, s0
	s_cbranch_execnz .LBB78_46
.LBB78_35:                              ;   in Loop: Header=BB78_3 Depth=1
	s_or_b32 exec_lo, exec_lo, s1
	s_and_saveexec_b32 s1, s0
	s_cbranch_execnz .LBB78_47
.LBB78_36:                              ;   in Loop: Header=BB78_3 Depth=1
	s_or_b32 exec_lo, exec_lo, s1
	s_and_saveexec_b32 s1, s0
	s_cbranch_execnz .LBB78_48
.LBB78_37:                              ;   in Loop: Header=BB78_3 Depth=1
	s_or_b32 exec_lo, exec_lo, s1
	s_and_saveexec_b32 s1, s0
	s_cbranch_execz .LBB78_39
.LBB78_38:                              ;   in Loop: Header=BB78_3 Depth=1
	v_add_co_u32 v55, vcc_lo, v26, v19
	v_add_co_ci_u32_e64 v56, null, v27, v20, vcc_lo
	v_add_co_u32 v59, vcc_lo, v28, v19
	v_add_co_ci_u32_e64 v60, null, v29, v20, vcc_lo
	global_load_ushort v10, v[55:56], off
	global_load_ushort v18, v[59:60], off
	s_waitcnt vmcnt(1)
	v_cvt_f32_f16_e32 v10, v10
	s_waitcnt vmcnt(0)
	v_cvt_f32_f16_e32 v18, v18
.LBB78_39:                              ;   in Loop: Header=BB78_3 Depth=1
	s_or_b32 exec_lo, exec_lo, s1
	s_waitcnt vmcnt(1)
	ds_bpermute_b32 v55, v2, v57
	ds_bpermute_b32 v56, v2, v57 offset:4
	ds_bpermute_b32 v59, v2, v57 offset:8
	s_waitcnt vmcnt(0)
	ds_bpermute_b32 v60, v2, v58
	ds_bpermute_b32 v61, v2, v57 offset:12
	ds_bpermute_b32 v63, v2, v58 offset:4
	;; [unrolled: 1-line block ×5, first 2 shown]
	s_waitcnt lgkmcnt(8)
	v_sub_f32_e32 v11, v11, v55
	ds_bpermute_b32 v55, v2, v58 offset:12
	s_waitcnt lgkmcnt(8)
	v_sub_f32_e32 v12, v12, v56
	ds_bpermute_b32 v56, v2, v58 offset:16
	s_waitcnt lgkmcnt(8)
	v_sub_f32_e32 v13, v13, v59
	v_mul_f32_e32 v11, v3, v11
	v_add_f32_e32 v3, v62, v3
	v_mul_f32_e32 v12, v4, v12
	ds_bpermute_b32 v59, v2, v58 offset:20
	s_waitcnt lgkmcnt(7)
	v_sub_f32_e32 v14, v14, v61
	v_fmac_f32_e32 v54, v11, v60
	ds_bpermute_b32 v11, v2, v57 offset:24
	v_mul_f32_e32 v13, v5, v13
	v_add_f32_e32 v3, v4, v3
	s_waitcnt lgkmcnt(6)
	v_sub_f32_e32 v4, v15, v64
	v_fmac_f32_e32 v54, v12, v63
	v_mul_f32_e32 v12, v6, v14
	s_waitcnt lgkmcnt(4)
	v_sub_f32_e32 v14, v16, v66
	v_add_f32_e32 v5, v5, v3
	v_mul_f32_e32 v4, v7, v4
	v_fmac_f32_e32 v54, v13, v65
	ds_bpermute_b32 v13, v2, v58 offset:24
	ds_bpermute_b32 v58, v2, v58 offset:28
	;; [unrolled: 1-line block ×3, first 2 shown]
	v_add_f32_e32 v5, v6, v5
	s_waitcnt lgkmcnt(6)
	v_fmac_f32_e32 v54, v12, v55
	v_mul_f32_e32 v6, v8, v14
	v_add_f32_e32 v5, v7, v5
	s_waitcnt lgkmcnt(5)
	v_fmac_f32_e32 v54, v4, v56
	s_waitcnt lgkmcnt(3)
	v_sub_f32_e32 v4, v17, v11
	v_add_f32_e32 v5, v8, v5
	v_fmac_f32_e32 v54, v6, v59
	v_mul_f32_e32 v4, v9, v4
	s_waitcnt lgkmcnt(2)
	v_fmac_f32_e32 v54, v4, v13
	v_add_f32_e32 v4, v9, v5
	v_mov_b32_e32 v11, v54
.LBB78_40:                              ;   in Loop: Header=BB78_3 Depth=1
	v_add_co_u32 v22, vcc_lo, v22, s22
	v_add_co_ci_u32_e64 v23, null, s23, v23, vcc_lo
	v_add_co_u32 v24, vcc_lo, v24, s22
	v_add_co_ci_u32_e64 v25, null, s23, v25, vcc_lo
	;; [unrolled: 2-line block ×10, first 2 shown]
	v_add_co_u32 v42, vcc_lo, v42, s22
	s_waitcnt lgkmcnt(0)
	v_sub_f32_e32 v3, v18, v3
	v_add_co_ci_u32_e64 v43, null, s23, v43, vcc_lo
	v_add_co_u32 v44, vcc_lo, v44, s22
	v_add_co_ci_u32_e64 v45, null, s23, v45, vcc_lo
	v_add_co_u32 v46, vcc_lo, v46, s22
	s_add_u32 s26, s26, s29
	v_add_co_ci_u32_e64 v47, null, s23, v47, vcc_lo
	v_add_co_u32 v48, vcc_lo, v48, s22
	v_mul_f32_e32 v3, v10, v3
	s_addc_u32 s27, s27, 0
	v_add_co_ci_u32_e64 v49, null, s23, v49, vcc_lo
	v_add_co_u32 v50, vcc_lo, v50, s22
	v_cmp_lt_i64_e64 s1, s[26:27], s[8:9]
	v_add_co_ci_u32_e64 v51, null, s23, v51, vcc_lo
	v_add_co_u32 v52, vcc_lo, v52, s22
	v_add_f32_e32 v62, v4, v10
	v_fmac_f32_e32 v11, v3, v58
	v_add_co_ci_u32_e64 v53, null, s23, v53, vcc_lo
	s_add_u32 s24, s24, s29
	s_addc_u32 s25, s25, 0
	s_and_b32 vcc_lo, exec_lo, s1
	s_cbranch_vccz .LBB78_50
; %bb.41:                               ;   in Loop: Header=BB78_3 Depth=1
	v_mov_b32_e32 v54, v11
	s_branch .LBB78_3
.LBB78_42:                              ;   in Loop: Header=BB78_3 Depth=1
	v_add_co_u32 v3, vcc_lo, v22, v19
	v_add_co_ci_u32_e64 v4, null, v23, v20, vcc_lo
	v_add_co_u32 v5, vcc_lo, v24, v19
	v_add_co_ci_u32_e64 v6, null, v25, v20, vcc_lo
	global_load_ushort v3, v[3:4], off
	global_load_ushort v11, v[5:6], off
	v_mov_b32_e32 v4, v2
	v_mov_b32_e32 v5, v2
	;; [unrolled: 1-line block ×14, first 2 shown]
	s_waitcnt vmcnt(1)
	v_cvt_f32_f16_e32 v3, v3
	s_waitcnt vmcnt(0)
	v_cvt_f32_f16_e32 v11, v11
	s_or_b32 exec_lo, exec_lo, s1
	s_and_saveexec_b32 s1, s0
	s_cbranch_execz .LBB78_32
.LBB78_43:                              ;   in Loop: Header=BB78_3 Depth=1
	v_add_co_u32 v55, vcc_lo, v50, v19
	v_add_co_ci_u32_e64 v56, null, v51, v20, vcc_lo
	v_add_co_u32 v59, vcc_lo, v52, v19
	v_add_co_ci_u32_e64 v60, null, v53, v20, vcc_lo
	global_load_ushort v4, v[55:56], off
	global_load_ushort v12, v[59:60], off
	s_waitcnt vmcnt(1)
	v_cvt_f32_f16_e32 v4, v4
	s_waitcnt vmcnt(0)
	v_cvt_f32_f16_e32 v12, v12
	s_or_b32 exec_lo, exec_lo, s1
	s_and_saveexec_b32 s1, s0
	s_cbranch_execz .LBB78_33
.LBB78_44:                              ;   in Loop: Header=BB78_3 Depth=1
	v_add_co_u32 v55, vcc_lo, v46, v19
	v_add_co_ci_u32_e64 v56, null, v47, v20, vcc_lo
	v_add_co_u32 v59, vcc_lo, v48, v19
	v_add_co_ci_u32_e64 v60, null, v49, v20, vcc_lo
	global_load_ushort v5, v[55:56], off
	global_load_ushort v13, v[59:60], off
	s_waitcnt vmcnt(1)
	v_cvt_f32_f16_e32 v5, v5
	s_waitcnt vmcnt(0)
	v_cvt_f32_f16_e32 v13, v13
	s_or_b32 exec_lo, exec_lo, s1
	s_and_saveexec_b32 s1, s0
	s_cbranch_execz .LBB78_34
.LBB78_45:                              ;   in Loop: Header=BB78_3 Depth=1
	v_add_co_u32 v55, vcc_lo, v42, v19
	v_add_co_ci_u32_e64 v56, null, v43, v20, vcc_lo
	v_add_co_u32 v59, vcc_lo, v44, v19
	v_add_co_ci_u32_e64 v60, null, v45, v20, vcc_lo
	global_load_ushort v6, v[55:56], off
	global_load_ushort v14, v[59:60], off
	s_waitcnt vmcnt(1)
	v_cvt_f32_f16_e32 v6, v6
	s_waitcnt vmcnt(0)
	v_cvt_f32_f16_e32 v14, v14
	s_or_b32 exec_lo, exec_lo, s1
	s_and_saveexec_b32 s1, s0
	s_cbranch_execz .LBB78_35
.LBB78_46:                              ;   in Loop: Header=BB78_3 Depth=1
	v_add_co_u32 v55, vcc_lo, v38, v19
	v_add_co_ci_u32_e64 v56, null, v39, v20, vcc_lo
	v_add_co_u32 v59, vcc_lo, v40, v19
	v_add_co_ci_u32_e64 v60, null, v41, v20, vcc_lo
	global_load_ushort v7, v[55:56], off
	global_load_ushort v15, v[59:60], off
	s_waitcnt vmcnt(1)
	v_cvt_f32_f16_e32 v7, v7
	s_waitcnt vmcnt(0)
	v_cvt_f32_f16_e32 v15, v15
	s_or_b32 exec_lo, exec_lo, s1
	s_and_saveexec_b32 s1, s0
	s_cbranch_execz .LBB78_36
.LBB78_47:                              ;   in Loop: Header=BB78_3 Depth=1
	v_add_co_u32 v55, vcc_lo, v34, v19
	v_add_co_ci_u32_e64 v56, null, v35, v20, vcc_lo
	v_add_co_u32 v59, vcc_lo, v36, v19
	v_add_co_ci_u32_e64 v60, null, v37, v20, vcc_lo
	global_load_ushort v8, v[55:56], off
	global_load_ushort v16, v[59:60], off
	s_waitcnt vmcnt(1)
	v_cvt_f32_f16_e32 v8, v8
	s_waitcnt vmcnt(0)
	v_cvt_f32_f16_e32 v16, v16
	s_or_b32 exec_lo, exec_lo, s1
	s_and_saveexec_b32 s1, s0
	s_cbranch_execz .LBB78_37
.LBB78_48:                              ;   in Loop: Header=BB78_3 Depth=1
	v_add_co_u32 v55, vcc_lo, v30, v19
	v_add_co_ci_u32_e64 v56, null, v31, v20, vcc_lo
	v_add_co_u32 v59, vcc_lo, v32, v19
	v_add_co_ci_u32_e64 v60, null, v33, v20, vcc_lo
	global_load_ushort v9, v[55:56], off
	global_load_ushort v17, v[59:60], off
	s_waitcnt vmcnt(1)
	v_cvt_f32_f16_e32 v9, v9
	s_waitcnt vmcnt(0)
	v_cvt_f32_f16_e32 v17, v17
	s_or_b32 exec_lo, exec_lo, s1
	s_and_saveexec_b32 s1, s0
	s_cbranch_execnz .LBB78_38
	s_branch .LBB78_39
.LBB78_49:
                                        ; implicit-def: $vgpr11
                                        ; implicit-def: $vgpr62
	s_branch .LBB78_51
.LBB78_50:
	s_cbranch_execnz .LBB78_83
.LBB78_51:
	v_mov_b32_e32 v11, 0
	v_mov_b32_e32 v62, 0
	s_andn2_b32 vcc_lo, exec_lo, s7
	s_cbranch_vccnz .LBB78_83
; %bb.52:
	s_load_dword s0, s[4:5], 0x44
	v_lshlrev_b32_e32 v49, 3, v1
	s_add_u32 s20, s4, 64
	s_addc_u32 s21, s5, 0
	v_lshlrev_b32_e32 v6, 4, v1
	v_mov_b32_e32 v84, 0
	v_add_co_u32 v10, s1, v49, s2
	v_add_co_ci_u32_e64 v11, null, 0, 0, s1
	v_mov_b32_e32 v83, 0
	v_mul_lo_u32 v4, s11, v10
	v_mad_u64_u32 v[2:3], null, s10, v10, 0
	v_mul_lo_u32 v5, s10, v11
	s_waitcnt lgkmcnt(0)
	s_lshl_b32 s1, s0, 6
	v_add3_u32 v3, v3, v5, v4
	s_mul_i32 s0, s11, s1
	s_mul_hi_u32 s7, s10, s1
	s_mul_i32 s22, s10, s1
	s_add_i32 s23, s7, s0
	v_lshlrev_b64 v[4:5], 1, v[2:3]
	s_lshl_b64 s[22:23], s[22:23], 1
	s_add_u32 s24, s2, 63
	s_addc_u32 s25, 0, 0
	s_lshl_b64 s[26:27], s[2:3], 1
	v_add_co_u32 v6, s0, v6, s26
	v_add_co_ci_u32_e64 v7, null, 0, s27, s0
	v_add_co_u32 v8, vcc_lo, v6, 2
	v_add_co_ci_u32_e64 v9, null, 0, v7, vcc_lo
	v_add_co_u32 v50, vcc_lo, s12, v4
	v_add_co_ci_u32_e64 v51, null, s13, v5, vcc_lo
	;; [unrolled: 2-line block ×6, first 2 shown]
	v_add_co_u32 v41, vcc_lo, v6, 10
	v_mad_u64_u32 v[21:22], null, s10, v4, s[12:13]
	v_mul_lo_u32 v5, s10, v5
	v_mul_lo_u32 v15, s11, v4
	v_mad_u64_u32 v[35:36], null, s10, v4, s[14:15]
	v_add_co_ci_u32_e64 v29, null, 0, v7, vcc_lo
	v_add_co_u32 v43, vcc_lo, v6, 12
	v_add_co_ci_u32_e64 v31, null, 0, v7, vcc_lo
	v_add_co_u32 v6, vcc_lo, v6, 14
	v_mad_u64_u32 v[19:20], null, s10, v8, s[12:13]
	v_mul_lo_u32 v9, s10, v9
	v_mul_lo_u32 v12, s11, v8
	v_mad_u64_u32 v[33:34], null, s10, v8, s[14:15]
	v_add_co_ci_u32_e64 v7, null, 0, v7, vcc_lo
	v_add_co_u32 v4, vcc_lo, v10, 7
	v_add3_u32 v22, v15, v22, v5
	v_add3_u32 v36, v15, v36, v5
	v_add_co_ci_u32_e64 v5, null, 0, v11, vcc_lo
	v_mul_lo_u32 v57, s10, v7
	v_add_co_u32 v7, vcc_lo, v10, 6
	v_add3_u32 v20, v12, v20, v9
	v_add3_u32 v34, v12, v34, v9
	v_add_co_ci_u32_e64 v12, null, 0, v11, vcc_lo
	v_mul_lo_u32 v8, s11, v4
	v_mul_lo_u32 v9, s10, v5
	v_mad_u64_u32 v[4:5], null, s10, v4, 0
	v_mad_u64_u32 v[23:24], null, s10, v13, s[12:13]
	v_mul_lo_u32 v17, s11, v13
	v_mul_lo_u32 v55, s10, v31
	v_mad_u64_u32 v[31:32], null, s10, v6, s[12:13]
	v_mul_lo_u32 v58, s11, v6
	v_mad_u64_u32 v[37:38], null, s10, v13, s[14:15]
	v_mad_u64_u32 v[45:46], null, s10, v6, s[14:15]
	v_mul_lo_u32 v13, s11, v7
	v_mul_lo_u32 v12, s10, v12
	v_mad_u64_u32 v[6:7], null, s10, v7, 0
	v_add3_u32 v5, v5, v9, v8
	v_add_co_u32 v8, vcc_lo, v10, 5
	v_mad_u64_u32 v[27:28], null, s10, v41, s[12:13]
	v_mul_lo_u32 v48, s10, v29
	v_mul_lo_u32 v54, s11, v41
	v_mad_u64_u32 v[41:42], null, s10, v41, s[14:15]
	v_add3_u32 v7, v7, v12, v13
	v_add_co_ci_u32_e64 v9, null, 0, v11, vcc_lo
	v_mad_u64_u32 v[29:30], null, s10, v43, s[12:13]
	v_mul_lo_u32 v56, s11, v43
	v_mad_u64_u32 v[43:44], null, s10, v43, s[14:15]
	v_lshlrev_b64 v[4:5], 1, v[4:5]
	v_lshlrev_b64 v[6:7], 1, v[6:7]
	v_mul_lo_u32 v12, s11, v8
	v_mul_lo_u32 v13, s10, v9
	v_mad_u64_u32 v[8:9], null, s10, v8, 0
	v_add3_u32 v28, v54, v28, v48
	v_add3_u32 v42, v54, v42, v48
	v_add_co_u32 v54, vcc_lo, s12, v4
	v_add3_u32 v30, v56, v30, v55
	v_add3_u32 v44, v56, v44, v55
	v_add_co_ci_u32_e64 v55, null, s13, v5, vcc_lo
	v_add_co_u32 v56, vcc_lo, s14, v4
	v_add3_u32 v32, v58, v32, v57
	v_add3_u32 v46, v58, v46, v57
	v_add_co_ci_u32_e64 v57, null, s15, v5, vcc_lo
	v_add_co_u32 v58, vcc_lo, s12, v6
	v_add_co_ci_u32_e64 v59, null, s13, v7, vcc_lo
	v_add3_u32 v9, v9, v13, v12
	v_add_co_u32 v12, vcc_lo, v10, 4
	v_add_co_ci_u32_e64 v13, null, 0, v11, vcc_lo
	v_add_co_u32 v60, vcc_lo, s14, v6
	v_add_co_ci_u32_e64 v61, null, s15, v7, vcc_lo
	v_lshlrev_b64 v[4:5], 1, v[8:9]
	v_mul_lo_u32 v8, s11, v12
	v_mul_lo_u32 v9, s10, v13
	v_mad_u64_u32 v[6:7], null, s10, v12, 0
	v_mul_lo_u32 v14, s10, v14
	v_add_co_u32 v12, vcc_lo, v10, 3
	v_add_co_ci_u32_e64 v13, null, 0, v11, vcc_lo
	v_add_co_u32 v63, vcc_lo, s12, v4
	v_add_co_ci_u32_e64 v64, null, s13, v5, vcc_lo
	v_add3_u32 v7, v7, v9, v8
	v_add_co_u32 v10, vcc_lo, v10, 2
	v_add3_u32 v24, v17, v24, v14
	v_add3_u32 v38, v17, v38, v14
	v_mul_lo_u32 v14, s11, v12
	v_mul_lo_u32 v13, s10, v13
	v_mad_u64_u32 v[8:9], null, s10, v12, 0
	v_add_co_ci_u32_e64 v11, null, 0, v11, vcc_lo
	v_add_co_u32 v65, vcc_lo, s14, v4
	v_add_co_ci_u32_e64 v66, null, s15, v5, vcc_lo
	v_lshlrev_b64 v[4:5], 1, v[6:7]
	v_mul_lo_u32 v12, s11, v10
	v_mul_lo_u32 v11, s10, v11
	v_mad_u64_u32 v[6:7], null, s10, v10, 0
	v_add3_u32 v9, v9, v13, v14
	v_add_co_u32 v67, vcc_lo, s12, v4
	v_add_co_ci_u32_e64 v68, null, s13, v5, vcc_lo
	v_add_co_u32 v69, vcc_lo, s14, v4
	v_add_co_ci_u32_e64 v70, null, s15, v5, vcc_lo
	v_lshlrev_b64 v[4:5], 1, v[8:9]
	v_add3_u32 v7, v7, v11, v12
	v_add_co_u32 v2, vcc_lo, v2, s10
	v_add_co_ci_u32_e64 v3, null, s11, v3, vcc_lo
	v_lshlrev_b64 v[6:7], 1, v[6:7]
	v_add_co_u32 v71, vcc_lo, s12, v4
	v_add_co_ci_u32_e64 v72, null, s13, v5, vcc_lo
	v_add_co_u32 v73, vcc_lo, s14, v4
	v_lshlrev_b64 v[3:4], 1, v[2:3]
	v_mov_b32_e32 v2, 0
	v_mad_u64_u32 v[25:26], null, s10, v16, s[12:13]
	v_mul_lo_u32 v18, s10, v18
	v_mul_lo_u32 v47, s11, v16
	v_mad_u64_u32 v[39:40], null, s10, v16, s[14:15]
	v_add_co_ci_u32_e64 v74, null, s15, v5, vcc_lo
	v_add_co_u32 v75, vcc_lo, s12, v6
	v_add_co_ci_u32_e64 v76, null, s13, v7, vcc_lo
	v_add_co_u32 v77, vcc_lo, s14, v6
	v_add_nc_u32_e32 v5, s28, v0
	v_mov_b32_e32 v6, v2
	v_add_co_ci_u32_e64 v78, null, s15, v7, vcc_lo
	v_add_co_u32 v79, vcc_lo, s12, v3
	v_add_co_ci_u32_e64 v80, null, s13, v4, vcc_lo
	v_add_co_u32 v81, vcc_lo, s14, v3
	v_add3_u32 v26, v47, v26, v18
	v_add3_u32 v40, v47, v40, v18
	v_lshlrev_b64 v[47:48], 1, v[5:6]
	v_add_co_ci_u32_e64 v82, null, s15, v4, vcc_lo
.LBB78_53:                              ; =>This Inner Loop Header: Depth=1
	v_cmp_ge_i64_e64 s0, s[24:25], s[8:9]
	v_add_co_u32 v85, s7, v49, s24
	v_add_co_ci_u32_e64 v86, null, 0, s25, s7
                                        ; implicit-def: $vgpr62
                                        ; implicit-def: $vgpr11
	s_and_b32 vcc_lo, exec_lo, s0
	s_mov_b32 s0, -1
	s_cbranch_vccz .LBB78_75
; %bb.54:                               ;   in Loop: Header=BB78_53 Depth=1
	s_load_dword s0, s[20:21], 0xc
	v_mov_b32_e32 v87, 0
	v_mov_b32_e32 v62, 0
	s_waitcnt lgkmcnt(0)
	s_and_b32 s0, s0, 0xffff
	v_mad_u32_u24 v3, v1, s0, v0
	s_mov_b32 s0, exec_lo
	v_and_b32_e32 v3, 31, v3
	v_cmpx_gt_u32_e32 8, v3
	s_cbranch_execz .LBB78_58
; %bb.55:                               ;   in Loop: Header=BB78_53 Depth=1
	v_add_co_u32 v3, vcc_lo, v85, v3
	v_add_co_ci_u32_e64 v4, null, 0, v86, vcc_lo
	v_mov_b32_e32 v62, 0
	v_add_co_u32 v3, vcc_lo, 0xffffffc1, v3
	v_add_co_ci_u32_e64 v4, null, -1, v4, vcc_lo
	v_mov_b32_e32 v87, 0
	s_mov_b32 s7, exec_lo
	v_cmpx_gt_i64_e64 s[8:9], v[3:4]
	s_cbranch_execz .LBB78_57
; %bb.56:                               ;   in Loop: Header=BB78_53 Depth=1
	v_lshlrev_b64 v[3:4], 2, v[3:4]
	v_add_co_u32 v5, vcc_lo, s16, v3
	v_add_co_ci_u32_e64 v6, null, s17, v4, vcc_lo
	v_add_co_u32 v3, vcc_lo, s18, v3
	v_add_co_ci_u32_e64 v4, null, s19, v4, vcc_lo
	global_load_dword v62, v[5:6], off
	global_load_dword v87, v[3:4], off
.LBB78_57:                              ;   in Loop: Header=BB78_53 Depth=1
	s_or_b32 exec_lo, exec_lo, s7
.LBB78_58:                              ;   in Loop: Header=BB78_53 Depth=1
	s_or_b32 exec_lo, exec_lo, s0
	v_add_co_u32 v10, vcc_lo, 0xffffffc1, v85
	v_add_co_ci_u32_e64 v11, null, -1, v86, vcc_lo
	v_mov_b32_e32 v9, v2
	v_mov_b32_e32 v3, v2
	;; [unrolled: 1-line block ×7, first 2 shown]
	v_cmp_gt_i64_e32 vcc_lo, s[8:9], v[10:11]
	v_mov_b32_e32 v18, v9
	v_mov_b32_e32 v15, v6
	;; [unrolled: 1-line block ×16, first 2 shown]
	s_and_saveexec_b32 s0, vcc_lo
	s_cbranch_execz .LBB78_60
; %bb.59:                               ;   in Loop: Header=BB78_53 Depth=1
	v_add_co_u32 v3, vcc_lo, v50, v47
	v_add_co_ci_u32_e64 v4, null, v51, v48, vcc_lo
	v_add_co_u32 v5, vcc_lo, v52, v47
	v_add_co_ci_u32_e64 v6, null, v53, v48, vcc_lo
	global_load_ushort v3, v[3:4], off
	global_load_ushort v11, v[5:6], off
	v_mov_b32_e32 v4, v2
	v_mov_b32_e32 v5, v2
	;; [unrolled: 1-line block ×14, first 2 shown]
	s_waitcnt vmcnt(1)
	v_cvt_f32_f16_e32 v3, v3
	s_waitcnt vmcnt(0)
	v_cvt_f32_f16_e32 v11, v11
.LBB78_60:                              ;   in Loop: Header=BB78_53 Depth=1
	s_or_b32 exec_lo, exec_lo, s0
	v_add_co_u32 v88, vcc_lo, 0xffffffc2, v85
	v_add_co_ci_u32_e64 v89, null, -1, v86, vcc_lo
	s_mov_b32 s0, exec_lo
	v_cmpx_gt_i64_e64 s[8:9], v[88:89]
	s_cbranch_execz .LBB78_62
; %bb.61:                               ;   in Loop: Header=BB78_53 Depth=1
	v_add_co_u32 v88, vcc_lo, v79, v47
	v_add_co_ci_u32_e64 v89, null, v80, v48, vcc_lo
	v_add_co_u32 v90, vcc_lo, v81, v47
	v_add_co_ci_u32_e64 v91, null, v82, v48, vcc_lo
	global_load_ushort v4, v[88:89], off
	global_load_ushort v12, v[90:91], off
	s_waitcnt vmcnt(1)
	v_cvt_f32_f16_e32 v4, v4
	s_waitcnt vmcnt(0)
	v_cvt_f32_f16_e32 v12, v12
.LBB78_62:                              ;   in Loop: Header=BB78_53 Depth=1
	s_or_b32 exec_lo, exec_lo, s0
	v_add_co_u32 v88, vcc_lo, 0xffffffc3, v85
	v_add_co_ci_u32_e64 v89, null, -1, v86, vcc_lo
	s_mov_b32 s0, exec_lo
	v_cmpx_gt_i64_e64 s[8:9], v[88:89]
	s_cbranch_execz .LBB78_64
; %bb.63:                               ;   in Loop: Header=BB78_53 Depth=1
	v_add_co_u32 v88, vcc_lo, v75, v47
	v_add_co_ci_u32_e64 v89, null, v76, v48, vcc_lo
	v_add_co_u32 v90, vcc_lo, v77, v47
	v_add_co_ci_u32_e64 v91, null, v78, v48, vcc_lo
	global_load_ushort v5, v[88:89], off
	global_load_ushort v13, v[90:91], off
	s_waitcnt vmcnt(1)
	v_cvt_f32_f16_e32 v5, v5
	s_waitcnt vmcnt(0)
	v_cvt_f32_f16_e32 v13, v13
.LBB78_64:                              ;   in Loop: Header=BB78_53 Depth=1
	;; [unrolled: 18-line block ×7, first 2 shown]
	s_or_b32 exec_lo, exec_lo, s0
	s_waitcnt vmcnt(1)
	ds_bpermute_b32 v89, v2, v62
	s_waitcnt vmcnt(0)
	ds_bpermute_b32 v88, v2, v87
	s_mov_b32 s0, 0
	s_waitcnt lgkmcnt(1)
	v_sub_f32_e32 v11, v11, v89
	ds_bpermute_b32 v89, v2, v62 offset:4
	v_mul_f32_e32 v11, v3, v11
	v_add_f32_e32 v3, v84, v3
	s_waitcnt lgkmcnt(1)
	v_fma_f32 v11, v11, v88, v83
	ds_bpermute_b32 v88, v2, v87 offset:4
	v_add_f32_e32 v3, v4, v3
	v_add_f32_e32 v3, v5, v3
	s_waitcnt lgkmcnt(1)
	v_sub_f32_e32 v12, v12, v89
	v_add_f32_e32 v3, v6, v3
	v_mul_f32_e32 v12, v4, v12
	ds_bpermute_b32 v4, v2, v87 offset:8
	v_add_f32_e32 v3, v7, v3
	s_waitcnt lgkmcnt(1)
	v_fmac_f32_e32 v11, v12, v88
	ds_bpermute_b32 v12, v2, v62 offset:8
	v_add_f32_e32 v3, v8, v3
	v_add_f32_e32 v3, v9, v3
	s_waitcnt lgkmcnt(0)
	v_sub_f32_e32 v12, v13, v12
	v_mul_f32_e32 v12, v5, v12
	ds_bpermute_b32 v5, v2, v62 offset:12
	v_fmac_f32_e32 v11, v12, v4
	ds_bpermute_b32 v4, v2, v87 offset:12
	s_waitcnt lgkmcnt(1)
	v_sub_f32_e32 v5, v14, v5
	v_mul_f32_e32 v5, v6, v5
	s_waitcnt lgkmcnt(0)
	v_fmac_f32_e32 v11, v5, v4
	ds_bpermute_b32 v5, v2, v62 offset:16
	ds_bpermute_b32 v4, v2, v87 offset:16
	s_waitcnt lgkmcnt(1)
	v_sub_f32_e32 v5, v15, v5
	v_mul_f32_e32 v5, v7, v5
	s_waitcnt lgkmcnt(0)
	v_fmac_f32_e32 v11, v5, v4
	ds_bpermute_b32 v5, v2, v62 offset:20
	;; [unrolled: 7-line block ×4, first 2 shown]
	ds_bpermute_b32 v4, v2, v87 offset:28
	v_add_f32_e32 v62, v10, v3
	s_waitcnt lgkmcnt(1)
	v_sub_f32_e32 v5, v18, v5
	v_mul_f32_e32 v5, v10, v5
	s_waitcnt lgkmcnt(0)
	v_fmac_f32_e32 v11, v5, v4
.LBB78_75:                              ;   in Loop: Header=BB78_53 Depth=1
	s_and_b32 vcc_lo, exec_lo, s0
	s_cbranch_vccz .LBB78_81
; %bb.76:                               ;   in Loop: Header=BB78_53 Depth=1
	s_load_dword s0, s[20:21], 0x0
	v_mov_b32_e32 v6, 0
	v_mov_b32_e32 v5, 0
	s_waitcnt lgkmcnt(0)
	s_cmp_lt_u32 s6, s0
	s_cselect_b32 s0, 12, 18
	s_add_u32 s12, s20, s0
	s_addc_u32 s13, s21, 0
	s_mov_b32 s0, exec_lo
	global_load_ushort v3, v2, s[12:13]
	s_waitcnt vmcnt(0)
	v_mad_u32_u24 v3, v1, v3, v0
	v_and_b32_e32 v3, 31, v3
	v_cmpx_gt_u32_e32 8, v3
	s_cbranch_execz .LBB78_80
; %bb.77:                               ;   in Loop: Header=BB78_53 Depth=1
	v_add_co_u32 v3, vcc_lo, v85, v3
	v_add_co_ci_u32_e64 v4, null, 0, v86, vcc_lo
	v_mov_b32_e32 v5, 0
	v_add_co_u32 v3, vcc_lo, 0xffffffc1, v3
	v_add_co_ci_u32_e64 v4, null, -1, v4, vcc_lo
	v_mov_b32_e32 v6, 0
	s_mov_b32 s7, exec_lo
	v_cmpx_gt_i64_e64 s[8:9], v[3:4]
	s_cbranch_execz .LBB78_79
; %bb.78:                               ;   in Loop: Header=BB78_53 Depth=1
	v_lshlrev_b64 v[3:4], 2, v[3:4]
	v_add_co_u32 v5, vcc_lo, s16, v3
	v_add_co_ci_u32_e64 v6, null, s17, v4, vcc_lo
	v_add_co_u32 v3, vcc_lo, s18, v3
	v_add_co_ci_u32_e64 v4, null, s19, v4, vcc_lo
	global_load_dword v5, v[5:6], off
	global_load_dword v6, v[3:4], off
.LBB78_79:                              ;   in Loop: Header=BB78_53 Depth=1
	s_or_b32 exec_lo, exec_lo, s7
.LBB78_80:                              ;   in Loop: Header=BB78_53 Depth=1
	s_or_b32 exec_lo, exec_lo, s0
	v_add_co_u32 v3, vcc_lo, v50, v47
	v_add_co_ci_u32_e64 v4, null, v51, v48, vcc_lo
	v_add_co_u32 v7, vcc_lo, v52, v47
	v_add_co_ci_u32_e64 v8, null, v53, v48, vcc_lo
	global_load_ushort v15, v[3:4], off
	v_add_co_u32 v3, vcc_lo, v19, v47
	v_add_co_ci_u32_e64 v4, null, v20, v48, vcc_lo
	v_add_co_u32 v9, vcc_lo, v33, v47
	v_add_co_ci_u32_e64 v10, null, v34, v48, vcc_lo
	;; [unrolled: 2-line block ×4, first 2 shown]
	global_load_ushort v16, v[7:8], off
	global_load_ushort v17, v[3:4], off
	;; [unrolled: 1-line block ×5, first 2 shown]
	v_add_co_u32 v3, vcc_lo, v23, v47
	v_add_co_ci_u32_e64 v4, null, v24, v48, vcc_lo
	v_add_co_u32 v7, vcc_lo, v37, v47
	v_add_co_ci_u32_e64 v8, null, v38, v48, vcc_lo
	;; [unrolled: 2-line block ×5, first 2 shown]
	global_load_ushort v86, v[7:8], off
	global_load_ushort v87, v[3:4], off
	;; [unrolled: 1-line block ×5, first 2 shown]
	v_add_co_u32 v3, vcc_lo, v41, v47
	v_add_co_ci_u32_e64 v4, null, v42, v48, vcc_lo
	v_add_co_u32 v7, vcc_lo, v29, v47
	v_add_co_ci_u32_e64 v8, null, v30, v48, vcc_lo
	;; [unrolled: 2-line block ×3, first 2 shown]
	global_load_ushort v13, v[3:4], off
	global_load_ushort v14, v[7:8], off
	;; [unrolled: 1-line block ×3, first 2 shown]
	v_add_co_u32 v7, s0, v45, v47
	v_add_co_u32 v3, vcc_lo, v31, v47
	v_add_co_ci_u32_e64 v8, null, v46, v48, s0
	v_add_co_ci_u32_e64 v4, null, v32, v48, vcc_lo
	global_load_ushort v7, v[7:8], off
	global_load_ushort v3, v[3:4], off
	s_waitcnt vmcnt(17)
	ds_bpermute_b32 v4, v2, v5
	s_waitcnt vmcnt(16)
	ds_bpermute_b32 v8, v2, v6
	ds_bpermute_b32 v89, v2, v5 offset:8
	ds_bpermute_b32 v90, v2, v6 offset:4
	;; [unrolled: 1-line block ×4, first 2 shown]
	s_waitcnt vmcnt(15)
	v_cvt_f32_f16_e32 v15, v15
	s_waitcnt vmcnt(14)
	v_cvt_f32_f16_e32 v10, v16
	ds_bpermute_b32 v16, v2, v5 offset:4
	s_waitcnt vmcnt(12)
	v_cvt_f32_f16_e32 v18, v18
	v_cvt_f32_f16_e32 v17, v17
	s_waitcnt vmcnt(10)
	v_cvt_f32_f16_e32 v85, v85
	s_waitcnt lgkmcnt(6)
	v_sub_f32_e32 v4, v10, v4
	ds_bpermute_b32 v10, v2, v5 offset:12
	v_cvt_f32_f16_e32 v62, v62
	s_waitcnt lgkmcnt(5)
	v_sub_f32_e32 v85, v85, v89
	v_mul_f32_e32 v4, v4, v15
	v_add_f32_e32 v15, v84, v15
	ds_bpermute_b32 v84, v2, v6 offset:20
	ds_bpermute_b32 v89, v2, v6 offset:24
	v_mul_f32_e32 v85, v85, v62
	v_fmac_f32_e32 v83, v4, v8
	ds_bpermute_b32 v8, v2, v5 offset:16
	ds_bpermute_b32 v4, v2, v6 offset:16
	;; [unrolled: 1-line block ×3, first 2 shown]
	s_waitcnt vmcnt(9)
	v_cvt_f32_f16_e32 v86, v86
	s_waitcnt lgkmcnt(6)
	v_sub_f32_e32 v16, v18, v16
	ds_bpermute_b32 v18, v2, v5 offset:20
	s_waitcnt vmcnt(8)
	v_cvt_f32_f16_e32 v87, v87
	s_waitcnt vmcnt(6)
	v_cvt_f32_f16_e32 v11, v11
	s_waitcnt lgkmcnt(6)
	v_sub_f32_e32 v10, v86, v10
	ds_bpermute_b32 v86, v2, v5 offset:24
	v_mul_f32_e32 v16, v16, v17
	ds_bpermute_b32 v5, v2, v5 offset:28
	v_cvt_f32_f16_e32 v88, v88
	v_mul_f32_e32 v10, v10, v87
	s_waitcnt vmcnt(5)
	v_cvt_f32_f16_e32 v12, v12
	v_fmac_f32_e32 v83, v16, v90
	s_waitcnt lgkmcnt(5)
	v_sub_f32_e32 v8, v11, v8
	s_waitcnt vmcnt(4)
	v_cvt_f32_f16_e32 v13, v13
	v_add_f32_e32 v11, v15, v17
	v_fmac_f32_e32 v83, v85, v91
	s_waitcnt vmcnt(2)
	v_cvt_f32_f16_e32 v9, v9
	v_mul_f32_e32 v8, v8, v88
	s_waitcnt lgkmcnt(2)
	v_sub_f32_e32 v13, v13, v18
	v_add_f32_e32 v11, v11, v62
	v_fmac_f32_e32 v83, v10, v92
	v_cvt_f32_f16_e32 v10, v14
	s_waitcnt lgkmcnt(1)
	v_sub_f32_e32 v9, v9, v86
	v_mul_f32_e32 v13, v13, v12
	v_add_f32_e32 v11, v11, v87
	v_fmac_f32_e32 v83, v8, v4
	s_waitcnt vmcnt(1)
	v_cvt_f32_f16_e32 v4, v7
	s_waitcnt vmcnt(0)
	v_cvt_f32_f16_e32 v3, v3
	v_mul_f32_e32 v7, v9, v10
	v_add_f32_e32 v8, v11, v88
	v_fmac_f32_e32 v83, v13, v84
	s_waitcnt lgkmcnt(0)
	v_sub_f32_e32 v4, v4, v5
	v_add_f32_e32 v5, v8, v12
	v_fmac_f32_e32 v83, v7, v89
	v_mul_f32_e32 v4, v4, v3
	v_add_f32_e32 v5, v5, v10
	v_fmac_f32_e32 v83, v4, v6
	v_add_f32_e32 v62, v5, v3
	v_mov_b32_e32 v11, v83
.LBB78_81:                              ;   in Loop: Header=BB78_53 Depth=1
	v_add_co_u32 v50, vcc_lo, v50, s22
	v_add_co_ci_u32_e64 v51, null, s23, v51, vcc_lo
	v_add_co_u32 v52, vcc_lo, v52, s22
	v_add_co_ci_u32_e64 v53, null, s23, v53, vcc_lo
	v_add_co_u32 v19, vcc_lo, v19, s22
	v_add_co_ci_u32_e64 v20, null, s23, v20, vcc_lo
	v_add_co_u32 v21, vcc_lo, v21, s22
	v_add_co_ci_u32_e64 v22, null, s23, v22, vcc_lo
	v_add_co_u32 v23, vcc_lo, v23, s22
	v_add_co_ci_u32_e64 v24, null, s23, v24, vcc_lo
	v_add_co_u32 v25, vcc_lo, v25, s22
	v_add_co_ci_u32_e64 v26, null, s23, v26, vcc_lo
	v_add_co_u32 v27, vcc_lo, v27, s22
	v_add_co_ci_u32_e64 v28, null, s23, v28, vcc_lo
	v_add_co_u32 v29, vcc_lo, v29, s22
	v_add_co_ci_u32_e64 v30, null, s23, v30, vcc_lo
	v_add_co_u32 v31, vcc_lo, v31, s22
	v_add_co_ci_u32_e64 v32, null, s23, v32, vcc_lo
	v_add_co_u32 v33, vcc_lo, v33, s22
	v_add_co_ci_u32_e64 v34, null, s23, v34, vcc_lo
	v_add_co_u32 v35, vcc_lo, v35, s22
	v_add_co_ci_u32_e64 v36, null, s23, v36, vcc_lo
	v_add_co_u32 v37, vcc_lo, v37, s22
	v_add_co_ci_u32_e64 v38, null, s23, v38, vcc_lo
	v_add_co_u32 v39, vcc_lo, v39, s22
	v_add_co_ci_u32_e64 v40, null, s23, v40, vcc_lo
	v_add_co_u32 v41, vcc_lo, v41, s22
	v_add_co_ci_u32_e64 v42, null, s23, v42, vcc_lo
	v_add_co_u32 v43, vcc_lo, v43, s22
	v_add_co_ci_u32_e64 v44, null, s23, v44, vcc_lo
	v_add_co_u32 v45, vcc_lo, v45, s22
	v_add_co_ci_u32_e64 v46, null, s23, v46, vcc_lo
	v_add_co_u32 v54, vcc_lo, v54, s22
	v_add_co_ci_u32_e64 v55, null, s23, v55, vcc_lo
	v_add_co_u32 v56, vcc_lo, v56, s22
	v_add_co_ci_u32_e64 v57, null, s23, v57, vcc_lo
	v_add_co_u32 v58, vcc_lo, v58, s22
	v_add_co_ci_u32_e64 v59, null, s23, v59, vcc_lo
	v_add_co_u32 v60, vcc_lo, v60, s22
	v_add_co_ci_u32_e64 v61, null, s23, v61, vcc_lo
	v_add_co_u32 v63, vcc_lo, v63, s22
	v_add_co_ci_u32_e64 v64, null, s23, v64, vcc_lo
	v_add_co_u32 v65, vcc_lo, v65, s22
	v_add_co_ci_u32_e64 v66, null, s23, v66, vcc_lo
	v_add_co_u32 v67, vcc_lo, v67, s22
	v_add_co_ci_u32_e64 v68, null, s23, v68, vcc_lo
	v_add_co_u32 v69, vcc_lo, v69, s22
	v_add_co_ci_u32_e64 v70, null, s23, v70, vcc_lo
	v_add_co_u32 v71, vcc_lo, v71, s22
	v_add_co_ci_u32_e64 v72, null, s23, v72, vcc_lo
	v_add_co_u32 v73, vcc_lo, v73, s22
	v_add_co_ci_u32_e64 v74, null, s23, v74, vcc_lo
	v_add_co_u32 v75, vcc_lo, v75, s22
	s_add_u32 s2, s2, s1
	v_add_co_ci_u32_e64 v76, null, s23, v76, vcc_lo
	v_add_co_u32 v77, vcc_lo, v77, s22
	s_addc_u32 s3, s3, 0
	v_add_co_ci_u32_e64 v78, null, s23, v78, vcc_lo
	v_add_co_u32 v79, vcc_lo, v79, s22
	v_cmp_ge_i64_e64 s0, s[2:3], s[8:9]
	v_add_co_ci_u32_e64 v80, null, s23, v80, vcc_lo
	v_add_co_u32 v81, vcc_lo, v81, s22
	v_add_co_ci_u32_e64 v82, null, s23, v82, vcc_lo
	s_add_u32 s24, s24, s1
	s_addc_u32 s25, s25, 0
	s_and_b32 vcc_lo, exec_lo, s0
	s_cbranch_vccnz .LBB78_83
; %bb.82:                               ;   in Loop: Header=BB78_53 Depth=1
	v_mov_b32_e32 v84, v62
	v_mov_b32_e32 v83, v11
	s_branch .LBB78_53
.LBB78_83:
	v_mad_u32_u24 v2, 0x41, v1, v0
	s_mov_b32 s0, exec_lo
	v_lshl_add_u32 v3, v2, 2, 0
	v_sub_nc_u32_e32 v4, v2, v1
	ds_write_b32 v3, v11
	ds_write_b32 v3, v62 offset:2080
	s_waitcnt lgkmcnt(0)
	s_barrier
	buffer_gl0_inv
	v_cmpx_gt_u32_e32 0x800, v4
	s_cbranch_execz .LBB78_115
; %bb.84:
	s_load_dwordx4 s[12:15], s[4:5], 0x30
	v_and_b32_e32 v1, 31, v0
	v_lshrrev_b32_e32 v3, 5, v4
                                        ; implicit-def: $vgpr2
	v_cmp_gt_u32_e64 s0, 8, v1
	v_mul_u32_u24_e32 v5, 0x41, v1
                                        ; implicit-def: $vgpr1
	s_and_saveexec_b32 s1, s0
	s_cbranch_execz .LBB78_86
; %bb.85:
	v_add_nc_u32_e32 v1, v3, v5
	v_lshl_add_u32 v1, v1, 2, 0
	ds_read_b32 v2, v1
	ds_read_b32 v1, v1 offset:2080
.LBB78_86:
	s_or_b32 exec_lo, exec_lo, s1
	v_mbcnt_lo_u32_b32 v8, -1, 0
	s_mov_b32 s7, 0
	v_cmp_eq_u32_e64 s1, 0, v0
	s_lshl_b64 s[2:3], s[6:7], 6
	s_waitcnt lgkmcnt(0)
	s_cmp_lg_u64 s[12:13], 0
	v_xor_b32_e32 v6, 4, v8
	v_xor_b32_e32 v7, 2, v8
	;; [unrolled: 1-line block ×3, first 2 shown]
	s_cselect_b32 s5, -1, 0
	s_cmp_lg_u64 s[14:15], 0
	v_cmp_gt_i32_e32 vcc_lo, 32, v6
	s_cselect_b32 s4, -1, 0
	v_cndmask_b32_e32 v6, v8, v6, vcc_lo
	v_cmp_gt_i32_e32 vcc_lo, 32, v7
	v_lshlrev_b32_e32 v6, 2, v6
	v_cndmask_b32_e32 v7, v8, v7, vcc_lo
	v_cmp_gt_i32_e32 vcc_lo, 32, v11
	ds_bpermute_b32 v9, v6, v2
	ds_bpermute_b32 v10, v6, v1
	v_lshlrev_b32_e32 v7, 2, v7
	v_cndmask_b32_e32 v8, v8, v11, vcc_lo
	v_lshlrev_b32_e32 v8, 2, v8
	s_waitcnt lgkmcnt(1)
	v_add_f32_e32 v2, v2, v9
	s_waitcnt lgkmcnt(0)
	v_add_f32_e32 v1, v1, v10
	ds_bpermute_b32 v9, v7, v2
	ds_bpermute_b32 v10, v7, v1
	s_waitcnt lgkmcnt(1)
	v_add_f32_e32 v9, v2, v9
	s_waitcnt lgkmcnt(0)
	v_add_f32_e32 v10, v1, v10
	v_or_b32_e32 v1, s2, v3
	v_mov_b32_e32 v2, s3
	ds_bpermute_b32 v11, v8, v9
	ds_bpermute_b32 v12, v8, v10
	v_cmp_gt_i64_e32 vcc_lo, s[10:11], v[1:2]
	s_and_b32 s7, s1, vcc_lo
	s_waitcnt lgkmcnt(1)
	v_add_f32_e32 v9, v9, v11
	s_waitcnt lgkmcnt(0)
	v_add_f32_e32 v10, v10, v12
	s_and_saveexec_b32 s6, s7
	s_cbranch_execz .LBB78_91
; %bb.87:
	v_lshlrev_b64 v[0:1], 1, v[1:2]
	s_andn2_b32 vcc_lo, exec_lo, s5
	s_cbranch_vccnz .LBB78_89
; %bb.88:
	v_add_co_u32 v11, vcc_lo, s12, v0
	v_add_co_ci_u32_e64 v12, null, s13, v1, vcc_lo
	v_cvt_f16_f32_e32 v2, v9
	global_store_short v[11:12], v2, off
.LBB78_89:
	s_andn2_b32 vcc_lo, exec_lo, s4
	s_cbranch_vccnz .LBB78_91
; %bb.90:
	v_add_co_u32 v0, vcc_lo, s14, v0
	v_add_co_ci_u32_e64 v1, null, s15, v1, vcc_lo
	v_cvt_f16_f32_e32 v2, v10
	global_store_short v[0:1], v2, off
.LBB78_91:
	s_or_b32 exec_lo, exec_lo, s6
	v_cmp_gt_u32_e32 vcc_lo, 0x600, v4
	s_and_b32 exec_lo, exec_lo, vcc_lo
	s_cbranch_execz .LBB78_115
; %bb.92:
	s_and_saveexec_b32 s6, s0
	s_cbranch_execz .LBB78_94
; %bb.93:
	v_add_nc_u32_e32 v0, v3, v5
	v_lshl_add_u32 v0, v0, 2, 0
	ds_read_b32 v9, v0 offset:64
	ds_read_b32 v10, v0 offset:2144
.LBB78_94:
	s_or_b32 exec_lo, exec_lo, s6
	s_waitcnt lgkmcnt(1)
	ds_bpermute_b32 v0, v6, v9
	s_waitcnt lgkmcnt(1)
	ds_bpermute_b32 v1, v6, v10
	s_waitcnt lgkmcnt(1)
	v_add_f32_e32 v0, v9, v0
	s_waitcnt lgkmcnt(0)
	v_add_f32_e32 v1, v10, v1
	ds_bpermute_b32 v2, v7, v0
	ds_bpermute_b32 v9, v7, v1
	s_waitcnt lgkmcnt(1)
	v_add_f32_e32 v2, v0, v2
	s_waitcnt lgkmcnt(0)
	v_add_f32_e32 v9, v1, v9
	v_add_nc_u32_e32 v0, 16, v3
	ds_bpermute_b32 v10, v8, v2
	ds_bpermute_b32 v11, v8, v9
	v_add_co_u32 v0, s6, s2, v0
	v_add_co_ci_u32_e64 v1, null, s3, 0, s6
	v_cmp_gt_i64_e32 vcc_lo, s[10:11], v[0:1]
	s_and_b32 s7, s1, vcc_lo
	s_waitcnt lgkmcnt(1)
	v_add_f32_e32 v0, v2, v10
	s_waitcnt lgkmcnt(0)
	v_add_f32_e32 v1, v9, v11
	s_and_saveexec_b32 s6, s7
	s_cbranch_execz .LBB78_99
; %bb.95:
	s_andn2_b32 vcc_lo, exec_lo, s5
	s_cbranch_vccnz .LBB78_97
; %bb.96:
	v_add_co_u32 v9, s7, s2, v3
	v_add_co_ci_u32_e64 v10, null, s3, 0, s7
	v_cvt_f16_f32_e32 v2, v0
	v_lshlrev_b64 v[9:10], 1, v[9:10]
	v_add_co_u32 v9, vcc_lo, s12, v9
	v_add_co_ci_u32_e64 v10, null, s13, v10, vcc_lo
	global_store_short v[9:10], v2, off offset:32
.LBB78_97:
	s_andn2_b32 vcc_lo, exec_lo, s4
	s_cbranch_vccnz .LBB78_99
; %bb.98:
	v_add_co_u32 v9, s7, s2, v3
	v_add_co_ci_u32_e64 v10, null, s3, 0, s7
	v_cvt_f16_f32_e32 v2, v1
	v_lshlrev_b64 v[9:10], 1, v[9:10]
	v_add_co_u32 v9, vcc_lo, s14, v9
	v_add_co_ci_u32_e64 v10, null, s15, v10, vcc_lo
	global_store_short v[9:10], v2, off offset:32
.LBB78_99:
	s_or_b32 exec_lo, exec_lo, s6
	v_cmp_gt_u32_e32 vcc_lo, 0x400, v4
	s_and_b32 exec_lo, exec_lo, vcc_lo
	s_cbranch_execz .LBB78_115
; %bb.100:
	s_and_saveexec_b32 s6, s0
	s_cbranch_execz .LBB78_102
; %bb.101:
	v_add_nc_u32_e32 v0, v3, v5
	v_lshl_add_u32 v1, v0, 2, 0
	ds_read_b32 v0, v1 offset:128
	ds_read_b32 v1, v1 offset:2208
.LBB78_102:
	s_or_b32 exec_lo, exec_lo, s6
	s_waitcnt lgkmcnt(1)
	ds_bpermute_b32 v2, v6, v0
	s_waitcnt lgkmcnt(1)
	ds_bpermute_b32 v9, v6, v1
	s_waitcnt lgkmcnt(1)
	v_add_f32_e32 v0, v0, v2
	s_waitcnt lgkmcnt(0)
	v_add_f32_e32 v1, v1, v9
	ds_bpermute_b32 v2, v7, v0
	ds_bpermute_b32 v9, v7, v1
	s_waitcnt lgkmcnt(1)
	v_add_f32_e32 v2, v0, v2
	s_waitcnt lgkmcnt(0)
	v_add_f32_e32 v9, v1, v9
	v_add_nc_u32_e32 v0, 32, v3
	v_mov_b32_e32 v1, s3
	ds_bpermute_b32 v10, v8, v2
	ds_bpermute_b32 v11, v8, v9
	v_or_b32_e32 v0, s2, v0
	v_cmp_gt_i64_e32 vcc_lo, s[10:11], v[0:1]
	s_and_b32 s7, s1, vcc_lo
	s_waitcnt lgkmcnt(1)
	v_add_f32_e32 v0, v2, v10
	s_waitcnt lgkmcnt(0)
	v_add_f32_e32 v1, v9, v11
	s_and_saveexec_b32 s6, s7
	s_cbranch_execz .LBB78_107
; %bb.103:
	s_andn2_b32 vcc_lo, exec_lo, s5
	s_cbranch_vccnz .LBB78_105
; %bb.104:
	v_add_co_u32 v9, s7, s2, v3
	v_add_co_ci_u32_e64 v10, null, s3, 0, s7
	v_cvt_f16_f32_e32 v2, v0
	v_lshlrev_b64 v[9:10], 1, v[9:10]
	v_add_co_u32 v9, vcc_lo, s12, v9
	v_add_co_ci_u32_e64 v10, null, s13, v10, vcc_lo
	global_store_short v[9:10], v2, off offset:64
.LBB78_105:
	s_andn2_b32 vcc_lo, exec_lo, s4
	s_cbranch_vccnz .LBB78_107
; %bb.106:
	v_add_co_u32 v9, s7, s2, v3
	v_add_co_ci_u32_e64 v10, null, s3, 0, s7
	v_cvt_f16_f32_e32 v2, v1
	v_lshlrev_b64 v[9:10], 1, v[9:10]
	v_add_co_u32 v9, vcc_lo, s14, v9
	v_add_co_ci_u32_e64 v10, null, s15, v10, vcc_lo
	global_store_short v[9:10], v2, off offset:64
.LBB78_107:
	s_or_b32 exec_lo, exec_lo, s6
	v_cmp_gt_u32_e32 vcc_lo, 0x200, v4
	s_and_b32 exec_lo, exec_lo, vcc_lo
	s_cbranch_execz .LBB78_115
; %bb.108:
	s_and_saveexec_b32 s6, s0
	s_cbranch_execz .LBB78_110
; %bb.109:
	v_add_nc_u32_e32 v0, v3, v5
	v_lshl_add_u32 v1, v0, 2, 0
	ds_read_b32 v0, v1 offset:192
	ds_read_b32 v1, v1 offset:2272
.LBB78_110:
	s_or_b32 exec_lo, exec_lo, s6
	s_waitcnt lgkmcnt(1)
	ds_bpermute_b32 v2, v6, v0
	s_waitcnt lgkmcnt(1)
	ds_bpermute_b32 v4, v6, v1
	v_add_nc_u32_e32 v5, 48, v3
	v_mov_b32_e32 v6, s3
	v_or_b32_e32 v5, s2, v5
	v_cmp_gt_i64_e32 vcc_lo, s[10:11], v[5:6]
	s_and_b32 s0, s1, vcc_lo
	s_waitcnt lgkmcnt(1)
	v_add_f32_e32 v0, v0, v2
	s_waitcnt lgkmcnt(0)
	v_add_f32_e32 v1, v1, v4
	ds_bpermute_b32 v2, v7, v0
	ds_bpermute_b32 v4, v7, v1
	s_waitcnt lgkmcnt(1)
	v_add_f32_e32 v2, v0, v2
	s_waitcnt lgkmcnt(0)
	v_add_f32_e32 v0, v1, v4
	ds_bpermute_b32 v4, v8, v2
	ds_bpermute_b32 v1, v8, v0
	s_and_b32 exec_lo, exec_lo, s0
	s_cbranch_execz .LBB78_115
; %bb.111:
	s_andn2_b32 vcc_lo, exec_lo, s5
	s_cbranch_vccnz .LBB78_113
; %bb.112:
	v_add_co_u32 v5, s0, s2, v3
	v_add_co_ci_u32_e64 v6, null, s3, 0, s0
	s_waitcnt lgkmcnt(1)
	v_add_f32_e32 v2, v2, v4
	v_lshlrev_b64 v[5:6], 1, v[5:6]
	v_cvt_f16_f32_e32 v2, v2
	v_add_co_u32 v4, vcc_lo, s12, v5
	v_add_co_ci_u32_e64 v5, null, s13, v6, vcc_lo
	global_store_short v[4:5], v2, off offset:96
.LBB78_113:
	s_andn2_b32 vcc_lo, exec_lo, s4
	s_cbranch_vccnz .LBB78_115
; %bb.114:
	v_add_co_u32 v2, s0, s2, v3
	v_add_co_ci_u32_e64 v3, null, s3, 0, s0
	s_waitcnt lgkmcnt(0)
	v_add_f32_e32 v4, v0, v1
	v_lshlrev_b64 v[2:3], 1, v[2:3]
	v_add_co_u32 v0, vcc_lo, s14, v2
	v_add_co_ci_u32_e64 v1, null, s15, v3, vcc_lo
	v_cvt_f16_f32_e32 v2, v4
	global_store_short v[0:1], v2, off offset:96
.LBB78_115:
	s_endpgm
	.section	.rodata,"a",@progbits
	.p2align	6, 0x0
	.amdhsa_kernel _ZN2at6native12_GLOBAL__N_135GammaBetaBackwardCUDAKernelTemplateIN3c104HalfEfLj64ELj8ELj64ELb0ELb0ELb0EEEvllPKT_S7_PKT0_SA_PS5_SB_
		.amdhsa_group_segment_fixed_size 0
		.amdhsa_private_segment_fixed_size 0
		.amdhsa_kernarg_size 320
		.amdhsa_user_sgpr_count 6
		.amdhsa_user_sgpr_private_segment_buffer 1
		.amdhsa_user_sgpr_dispatch_ptr 0
		.amdhsa_user_sgpr_queue_ptr 0
		.amdhsa_user_sgpr_kernarg_segment_ptr 1
		.amdhsa_user_sgpr_dispatch_id 0
		.amdhsa_user_sgpr_flat_scratch_init 0
		.amdhsa_user_sgpr_private_segment_size 0
		.amdhsa_wavefront_size32 1
		.amdhsa_uses_dynamic_stack 0
		.amdhsa_system_sgpr_private_segment_wavefront_offset 0
		.amdhsa_system_sgpr_workgroup_id_x 1
		.amdhsa_system_sgpr_workgroup_id_y 1
		.amdhsa_system_sgpr_workgroup_id_z 0
		.amdhsa_system_sgpr_workgroup_info 0
		.amdhsa_system_vgpr_workitem_id 1
		.amdhsa_next_free_vgpr 93
		.amdhsa_next_free_sgpr 32
		.amdhsa_reserve_vcc 1
		.amdhsa_reserve_flat_scratch 0
		.amdhsa_float_round_mode_32 0
		.amdhsa_float_round_mode_16_64 0
		.amdhsa_float_denorm_mode_32 3
		.amdhsa_float_denorm_mode_16_64 3
		.amdhsa_dx10_clamp 1
		.amdhsa_ieee_mode 1
		.amdhsa_fp16_overflow 0
		.amdhsa_workgroup_processor_mode 1
		.amdhsa_memory_ordered 1
		.amdhsa_forward_progress 1
		.amdhsa_shared_vgpr_count 0
		.amdhsa_exception_fp_ieee_invalid_op 0
		.amdhsa_exception_fp_denorm_src 0
		.amdhsa_exception_fp_ieee_div_zero 0
		.amdhsa_exception_fp_ieee_overflow 0
		.amdhsa_exception_fp_ieee_underflow 0
		.amdhsa_exception_fp_ieee_inexact 0
		.amdhsa_exception_int_div_zero 0
	.end_amdhsa_kernel
	.section	.text._ZN2at6native12_GLOBAL__N_135GammaBetaBackwardCUDAKernelTemplateIN3c104HalfEfLj64ELj8ELj64ELb0ELb0ELb0EEEvllPKT_S7_PKT0_SA_PS5_SB_,"axG",@progbits,_ZN2at6native12_GLOBAL__N_135GammaBetaBackwardCUDAKernelTemplateIN3c104HalfEfLj64ELj8ELj64ELb0ELb0ELb0EEEvllPKT_S7_PKT0_SA_PS5_SB_,comdat
.Lfunc_end78:
	.size	_ZN2at6native12_GLOBAL__N_135GammaBetaBackwardCUDAKernelTemplateIN3c104HalfEfLj64ELj8ELj64ELb0ELb0ELb0EEEvllPKT_S7_PKT0_SA_PS5_SB_, .Lfunc_end78-_ZN2at6native12_GLOBAL__N_135GammaBetaBackwardCUDAKernelTemplateIN3c104HalfEfLj64ELj8ELj64ELb0ELb0ELb0EEEvllPKT_S7_PKT0_SA_PS5_SB_
                                        ; -- End function
	.set _ZN2at6native12_GLOBAL__N_135GammaBetaBackwardCUDAKernelTemplateIN3c104HalfEfLj64ELj8ELj64ELb0ELb0ELb0EEEvllPKT_S7_PKT0_SA_PS5_SB_.num_vgpr, 93
	.set _ZN2at6native12_GLOBAL__N_135GammaBetaBackwardCUDAKernelTemplateIN3c104HalfEfLj64ELj8ELj64ELb0ELb0ELb0EEEvllPKT_S7_PKT0_SA_PS5_SB_.num_agpr, 0
	.set _ZN2at6native12_GLOBAL__N_135GammaBetaBackwardCUDAKernelTemplateIN3c104HalfEfLj64ELj8ELj64ELb0ELb0ELb0EEEvllPKT_S7_PKT0_SA_PS5_SB_.numbered_sgpr, 32
	.set _ZN2at6native12_GLOBAL__N_135GammaBetaBackwardCUDAKernelTemplateIN3c104HalfEfLj64ELj8ELj64ELb0ELb0ELb0EEEvllPKT_S7_PKT0_SA_PS5_SB_.num_named_barrier, 0
	.set _ZN2at6native12_GLOBAL__N_135GammaBetaBackwardCUDAKernelTemplateIN3c104HalfEfLj64ELj8ELj64ELb0ELb0ELb0EEEvllPKT_S7_PKT0_SA_PS5_SB_.private_seg_size, 0
	.set _ZN2at6native12_GLOBAL__N_135GammaBetaBackwardCUDAKernelTemplateIN3c104HalfEfLj64ELj8ELj64ELb0ELb0ELb0EEEvllPKT_S7_PKT0_SA_PS5_SB_.uses_vcc, 1
	.set _ZN2at6native12_GLOBAL__N_135GammaBetaBackwardCUDAKernelTemplateIN3c104HalfEfLj64ELj8ELj64ELb0ELb0ELb0EEEvllPKT_S7_PKT0_SA_PS5_SB_.uses_flat_scratch, 0
	.set _ZN2at6native12_GLOBAL__N_135GammaBetaBackwardCUDAKernelTemplateIN3c104HalfEfLj64ELj8ELj64ELb0ELb0ELb0EEEvllPKT_S7_PKT0_SA_PS5_SB_.has_dyn_sized_stack, 0
	.set _ZN2at6native12_GLOBAL__N_135GammaBetaBackwardCUDAKernelTemplateIN3c104HalfEfLj64ELj8ELj64ELb0ELb0ELb0EEEvllPKT_S7_PKT0_SA_PS5_SB_.has_recursion, 0
	.set _ZN2at6native12_GLOBAL__N_135GammaBetaBackwardCUDAKernelTemplateIN3c104HalfEfLj64ELj8ELj64ELb0ELb0ELb0EEEvllPKT_S7_PKT0_SA_PS5_SB_.has_indirect_call, 0
	.section	.AMDGPU.csdata,"",@progbits
; Kernel info:
; codeLenInByte = 9696
; TotalNumSgprs: 34
; NumVgprs: 93
; ScratchSize: 0
; MemoryBound: 0
; FloatMode: 240
; IeeeMode: 1
; LDSByteSize: 0 bytes/workgroup (compile time only)
; SGPRBlocks: 0
; VGPRBlocks: 11
; NumSGPRsForWavesPerEU: 34
; NumVGPRsForWavesPerEU: 93
; Occupancy: 10
; WaveLimiterHint : 0
; COMPUTE_PGM_RSRC2:SCRATCH_EN: 0
; COMPUTE_PGM_RSRC2:USER_SGPR: 6
; COMPUTE_PGM_RSRC2:TRAP_HANDLER: 0
; COMPUTE_PGM_RSRC2:TGID_X_EN: 1
; COMPUTE_PGM_RSRC2:TGID_Y_EN: 1
; COMPUTE_PGM_RSRC2:TGID_Z_EN: 0
; COMPUTE_PGM_RSRC2:TIDIG_COMP_CNT: 1
	.section	.text._ZN2at6native12_GLOBAL__N_135GammaBetaBackwardCUDAKernelTemplateIN3c104HalfEfLj64ELj16ELj128ELb0ELb1ELb0EEEvllPKT_S7_PKT0_SA_PS5_SB_,"axG",@progbits,_ZN2at6native12_GLOBAL__N_135GammaBetaBackwardCUDAKernelTemplateIN3c104HalfEfLj64ELj16ELj128ELb0ELb1ELb0EEEvllPKT_S7_PKT0_SA_PS5_SB_,comdat
	.globl	_ZN2at6native12_GLOBAL__N_135GammaBetaBackwardCUDAKernelTemplateIN3c104HalfEfLj64ELj16ELj128ELb0ELb1ELb0EEEvllPKT_S7_PKT0_SA_PS5_SB_ ; -- Begin function _ZN2at6native12_GLOBAL__N_135GammaBetaBackwardCUDAKernelTemplateIN3c104HalfEfLj64ELj16ELj128ELb0ELb1ELb0EEEvllPKT_S7_PKT0_SA_PS5_SB_
	.p2align	8
	.type	_ZN2at6native12_GLOBAL__N_135GammaBetaBackwardCUDAKernelTemplateIN3c104HalfEfLj64ELj16ELj128ELb0ELb1ELb0EEEvllPKT_S7_PKT0_SA_PS5_SB_,@function
_ZN2at6native12_GLOBAL__N_135GammaBetaBackwardCUDAKernelTemplateIN3c104HalfEfLj64ELj16ELj128ELb0ELb1ELb0EEEvllPKT_S7_PKT0_SA_PS5_SB_: ; @_ZN2at6native12_GLOBAL__N_135GammaBetaBackwardCUDAKernelTemplateIN3c104HalfEfLj64ELj16ELj128ELb0ELb1ELb0EEEvllPKT_S7_PKT0_SA_PS5_SB_
; %bb.0:
	s_load_dwordx4 s[20:23], s[4:5], 0x0
	s_lshl_b32 s2, s7, 7
	s_mov_b32 s3, 0
	s_waitcnt lgkmcnt(0)
	v_cmp_gt_i64_e64 s0, s[20:21], s[2:3]
	s_and_b32 vcc_lo, exec_lo, s0
	s_cbranch_vccnz .LBB79_2
; %bb.1:
	s_mov_b32 s0, s3
	s_branch .LBB79_3
.LBB79_2:
	s_mov_b32 s0, -1
.LBB79_3:
	s_load_dwordx4 s[16:19], s[4:5], 0x30
	v_mov_b32_e32 v2, 0
	v_mov_b32_e32 v17, 0
	s_andn2_b32 vcc_lo, exec_lo, s0
	s_cbranch_vccnz .LBB79_10
; %bb.4:
	s_clause 0x2
	s_load_dword s0, s[4:5], 0x4c
	s_load_dword s1, s[4:5], 0x44
	s_load_dwordx8 s[8:15], s[4:5], 0x10
	v_lshlrev_b32_e32 v2, 3, v1
	v_mov_b32_e32 v3, 0
	v_mov_b32_e32 v8, 8
	;; [unrolled: 1-line block ×4, first 2 shown]
	v_add_co_u32 v4, s4, v2, s2
	v_add_co_ci_u32_e64 v5, null, 0, 0, s4
	v_lshl_add_u32 v2, s6, 6, v0
	v_mul_lo_u32 v17, s23, v4
	v_mad_u64_u32 v[6:7], null, s22, v4, 0
	v_mul_lo_u32 v18, s22, v5
	v_mov_b32_e32 v11, 16
	v_mov_b32_e32 v12, 20
	;; [unrolled: 1-line block ×3, first 2 shown]
	s_waitcnt lgkmcnt(0)
	s_and_b32 s0, s0, 0xffff
	s_lshl_b32 s4, s1, 7
	v_mad_u32_u24 v15, v1, s0, v0
	s_mul_i32 s1, s23, s4
	v_add3_u32 v7, v7, v18, v17
	s_mul_hi_u32 s7, s22, s4
	v_mov_b32_e32 v14, 28
	v_and_b32_e32 v19, 31, v15
	v_lshlrev_b64 v[15:16], 1, v[2:3]
	v_lshlrev_b64 v[17:18], 1, v[6:7]
	v_mov_b32_e32 v2, 0
	s_mov_b32 s5, 0
	v_add_co_u32 v4, vcc_lo, v4, v19
	v_add_co_ci_u32_e64 v5, null, 0, v5, vcc_lo
	v_add_co_u32 v15, vcc_lo, v17, v15
	v_cmp_gt_u32_e64 s0, 8, v19
	v_lshlrev_b64 v[6:7], 2, v[4:5]
	v_add_co_ci_u32_e64 v16, null, v18, v16, vcc_lo
	v_mov_b32_e32 v17, 0
	s_add_i32 s27, s7, s1
	s_mul_i32 s26, s22, s4
	s_lshl_b64 s[24:25], s[4:5], 2
	s_lshl_b64 s[26:27], s[26:27], 1
	;; [unrolled: 1-line block ×3, first 2 shown]
	s_branch .LBB79_7
.LBB79_5:                               ;   in Loop: Header=BB79_7 Depth=1
	s_or_b32 exec_lo, exec_lo, s5
.LBB79_6:                               ;   in Loop: Header=BB79_7 Depth=1
	s_or_b32 exec_lo, exec_lo, s1
	v_add_co_u32 v20, vcc_lo, s8, v15
	v_add_co_ci_u32_e64 v21, null, s9, v16, vcc_lo
	v_add_co_u32 v22, vcc_lo, s10, v15
	v_add_co_ci_u32_e64 v23, null, s11, v16, vcc_lo
	;; [unrolled: 2-line block ×5, first 2 shown]
	global_load_ushort v30, v[20:21], off
	global_load_ushort v31, v[22:23], off
	;; [unrolled: 1-line block ×5, first 2 shown]
	v_add_co_u32 v20, vcc_lo, v26, s22
	v_add_co_ci_u32_e64 v21, null, s23, v27, vcc_lo
	v_add_co_u32 v22, vcc_lo, v28, s22
	v_add_co_ci_u32_e64 v23, null, s23, v29, vcc_lo
	;; [unrolled: 2-line block ×5, first 2 shown]
	global_load_ushort v35, v[20:21], off
	global_load_ushort v36, v[22:23], off
	;; [unrolled: 1-line block ×5, first 2 shown]
	v_add_co_u32 v20, vcc_lo, v26, s22
	v_add_co_ci_u32_e64 v21, null, s23, v27, vcc_lo
	v_add_co_u32 v22, vcc_lo, v28, s22
	v_add_co_ci_u32_e64 v23, null, s23, v29, vcc_lo
	;; [unrolled: 2-line block ×4, first 2 shown]
	global_load_ushort v28, v[20:21], off
	global_load_ushort v29, v[22:23], off
	;; [unrolled: 1-line block ×4, first 2 shown]
	v_add_co_u32 v20, vcc_lo, v26, s22
	v_add_co_ci_u32_e64 v21, null, s23, v27, vcc_lo
	v_add_co_u32 v22, vcc_lo, v24, s22
	v_add_co_ci_u32_e64 v23, null, s23, v25, vcc_lo
	global_load_ushort v20, v[20:21], off
	global_load_ushort v21, v[22:23], off
	s_waitcnt vmcnt(17)
	ds_bpermute_b32 v22, v3, v18
	ds_bpermute_b32 v25, v9, v18
	s_waitcnt vmcnt(16)
	ds_bpermute_b32 v23, v3, v19
	ds_bpermute_b32 v27, v8, v18
	;; [unrolled: 1-line block ×14, first 2 shown]
	s_add_u32 s2, s2, s4
	v_add_co_u32 v6, vcc_lo, v6, s24
	s_addc_u32 s3, s3, 0
	v_add_co_ci_u32_e64 v7, null, s25, v7, vcc_lo
	v_add_co_u32 v4, vcc_lo, v4, s4
	v_cmp_lt_i64_e64 s1, s[2:3], s[20:21]
	v_add_co_ci_u32_e64 v5, null, 0, v5, vcc_lo
	v_add_co_u32 v15, vcc_lo, v15, s26
	v_add_co_ci_u32_e64 v16, null, s27, v16, vcc_lo
	s_and_b32 vcc_lo, exec_lo, s1
	s_waitcnt vmcnt(15)
	v_cvt_f32_f16_e32 v30, v30
	s_waitcnt vmcnt(14)
	v_cvt_f32_f16_e32 v31, v31
	s_waitcnt vmcnt(12)
	v_cvt_f32_f16_e32 v33, v33
	v_add_f32_e32 v17, v17, v30
	s_waitcnt lgkmcnt(15)
	v_sub_f32_e32 v22, v31, v22
	v_cvt_f32_f16_e32 v31, v32
	s_waitcnt lgkmcnt(14)
	v_sub_f32_e32 v25, v33, v25
	v_mul_f32_e32 v22, v22, v30
	s_waitcnt vmcnt(11)
	v_cvt_f32_f16_e32 v30, v34
	v_add_f32_e32 v17, v17, v31
	s_waitcnt lgkmcnt(13)
	v_fmac_f32_e32 v2, v22, v23
	v_mul_f32_e32 v22, v25, v31
	v_add_f32_e32 v17, v17, v30
	s_waitcnt vmcnt(10)
	v_cvt_f32_f16_e32 v32, v35
	s_waitcnt lgkmcnt(11)
	v_fmac_f32_e32 v2, v22, v24
	s_waitcnt vmcnt(8)
	v_cvt_f32_f16_e32 v25, v37
	s_waitcnt vmcnt(6)
	v_cvt_f32_f16_e32 v24, v39
	v_sub_f32_e32 v23, v32, v27
	v_cvt_f32_f16_e32 v27, v36
	v_mul_f32_e32 v22, v23, v30
	s_waitcnt lgkmcnt(10)
	v_sub_f32_e32 v23, v25, v43
	v_cvt_f32_f16_e32 v25, v38
	v_add_f32_e32 v17, v17, v27
	s_waitcnt lgkmcnt(9)
	v_fmac_f32_e32 v2, v22, v26
	v_mul_f32_e32 v22, v23, v27
	s_waitcnt lgkmcnt(8)
	v_sub_f32_e32 v23, v24, v45
	s_waitcnt vmcnt(5)
	v_cvt_f32_f16_e32 v26, v28
	s_waitcnt vmcnt(4)
	v_cvt_f32_f16_e32 v24, v29
	v_add_f32_e32 v17, v17, v25
	s_waitcnt lgkmcnt(7)
	v_fmac_f32_e32 v2, v22, v42
	v_mul_f32_e32 v22, v23, v25
	s_waitcnt vmcnt(3)
	v_cvt_f32_f16_e32 v25, v40
	s_waitcnt lgkmcnt(6)
	v_sub_f32_e32 v23, v24, v47
	s_waitcnt vmcnt(2)
	v_cvt_f32_f16_e32 v24, v41
	v_add_f32_e32 v17, v17, v26
	s_waitcnt lgkmcnt(5)
	v_fmac_f32_e32 v2, v22, v44
	v_mul_f32_e32 v22, v23, v26
	s_waitcnt lgkmcnt(4)
	v_sub_f32_e32 v23, v24, v49
	s_waitcnt vmcnt(1)
	v_cvt_f32_f16_e32 v20, v20
	s_waitcnt vmcnt(0)
	v_cvt_f32_f16_e32 v21, v21
	v_add_f32_e32 v17, v17, v25
	s_waitcnt lgkmcnt(3)
	v_fmac_f32_e32 v2, v22, v46
	v_mul_f32_e32 v22, v23, v25
	s_waitcnt lgkmcnt(2)
	v_sub_f32_e32 v18, v20, v18
	v_add_f32_e32 v17, v17, v21
	s_waitcnt lgkmcnt(1)
	v_fmac_f32_e32 v2, v22, v48
	v_mul_f32_e32 v18, v18, v21
	s_waitcnt lgkmcnt(0)
	v_fmac_f32_e32 v2, v18, v19
	s_cbranch_vccz .LBB79_10
.LBB79_7:                               ; =>This Inner Loop Header: Depth=1
	v_mov_b32_e32 v19, 0
	v_mov_b32_e32 v18, 0
	s_and_saveexec_b32 s1, s0
	s_cbranch_execz .LBB79_6
; %bb.8:                                ;   in Loop: Header=BB79_7 Depth=1
	v_mov_b32_e32 v18, 0
	v_mov_b32_e32 v19, 0
	s_mov_b32 s5, exec_lo
	v_cmpx_gt_i64_e64 s[20:21], v[4:5]
	s_cbranch_execz .LBB79_5
; %bb.9:                                ;   in Loop: Header=BB79_7 Depth=1
	v_add_co_u32 v18, vcc_lo, s12, v6
	v_add_co_ci_u32_e64 v19, null, s13, v7, vcc_lo
	v_add_co_u32 v20, vcc_lo, s14, v6
	v_add_co_ci_u32_e64 v21, null, s15, v7, vcc_lo
	global_load_dword v18, v[18:19], off
	global_load_dword v19, v[20:21], off
	s_branch .LBB79_5
.LBB79_10:
	v_mad_u32_u24 v3, 0x41, v1, v0
	s_mov_b32 s0, exec_lo
	v_lshl_add_u32 v4, v3, 2, 0
	v_sub_nc_u32_e32 v3, v3, v1
	ds_write_b32 v4, v2
	ds_write_b32 v4, v17 offset:4160
	s_waitcnt lgkmcnt(0)
	s_barrier
	buffer_gl0_inv
	v_cmpx_gt_u32_e32 0x800, v3
	s_cbranch_execz .LBB79_26
; %bb.11:
	v_and_b32_e32 v1, 31, v0
	v_lshrrev_b32_e32 v2, 5, v3
                                        ; implicit-def: $vgpr7
	v_cmp_gt_u32_e64 s0, 16, v1
	v_mul_u32_u24_e32 v4, 0x41, v1
                                        ; implicit-def: $vgpr1
	s_and_saveexec_b32 s1, s0
	s_cbranch_execz .LBB79_13
; %bb.12:
	v_add_nc_u32_e32 v1, v2, v4
	v_lshl_add_u32 v1, v1, 2, 0
	ds_read_b32 v7, v1
	ds_read_b32 v1, v1 offset:4160
.LBB79_13:
	s_or_b32 exec_lo, exec_lo, s1
	v_mbcnt_lo_u32_b32 v8, -1, 0
	s_mov_b32 s7, 0
	v_cmp_eq_u32_e64 s1, 0, v0
	s_lshl_b64 s[2:3], s[6:7], 6
	s_cmp_lg_u64 s[16:17], 0
	v_xor_b32_e32 v5, 8, v8
	v_xor_b32_e32 v6, 4, v8
	;; [unrolled: 1-line block ×3, first 2 shown]
	s_cselect_b32 s5, -1, 0
	s_cmp_lg_u64 s[18:19], 0
	v_cmp_gt_i32_e32 vcc_lo, 32, v5
	s_cselect_b32 s4, -1, 0
	v_cndmask_b32_e32 v5, v8, v5, vcc_lo
	v_cmp_gt_i32_e32 vcc_lo, 32, v6
	v_lshlrev_b32_e32 v5, 2, v5
	v_cndmask_b32_e32 v6, v8, v6, vcc_lo
	s_waitcnt lgkmcnt(1)
	ds_bpermute_b32 v9, v5, v7
	s_waitcnt lgkmcnt(1)
	ds_bpermute_b32 v10, v5, v1
	v_lshlrev_b32_e32 v6, 2, v6
	s_waitcnt lgkmcnt(1)
	v_add_f32_e32 v9, v7, v9
	s_waitcnt lgkmcnt(0)
	v_add_f32_e32 v1, v1, v10
	v_xor_b32_e32 v7, 2, v8
	ds_bpermute_b32 v10, v6, v9
	ds_bpermute_b32 v11, v6, v1
	v_cmp_gt_i32_e32 vcc_lo, 32, v7
	v_cndmask_b32_e32 v7, v8, v7, vcc_lo
	v_cmp_gt_i32_e32 vcc_lo, 32, v12
	v_lshlrev_b32_e32 v7, 2, v7
	v_cndmask_b32_e32 v8, v8, v12, vcc_lo
	v_lshlrev_b32_e32 v8, 2, v8
	s_waitcnt lgkmcnt(1)
	v_add_f32_e32 v9, v9, v10
	s_waitcnt lgkmcnt(0)
	v_add_f32_e32 v1, v1, v11
	ds_bpermute_b32 v10, v7, v9
	ds_bpermute_b32 v11, v7, v1
	s_waitcnt lgkmcnt(1)
	v_add_f32_e32 v9, v9, v10
	s_waitcnt lgkmcnt(0)
	v_add_f32_e32 v1, v1, v11
	ds_bpermute_b32 v10, v8, v9
	ds_bpermute_b32 v11, v8, v1
	s_waitcnt lgkmcnt(1)
	v_add_f32_e32 v9, v9, v10
	s_waitcnt lgkmcnt(0)
	v_add_f32_e32 v10, v1, v11
	s_and_saveexec_b32 s6, s1
	s_cbranch_execz .LBB79_18
; %bb.14:
	v_mov_b32_e32 v1, s3
	v_or_b32_e32 v0, s2, v2
	s_andn2_b32 vcc_lo, exec_lo, s5
	v_lshlrev_b64 v[0:1], 1, v[0:1]
	s_cbranch_vccnz .LBB79_16
; %bb.15:
	v_add_co_u32 v11, vcc_lo, s16, v0
	v_add_co_ci_u32_e64 v12, null, s17, v1, vcc_lo
	v_cvt_f16_f32_e32 v13, v9
	global_store_short v[11:12], v13, off
.LBB79_16:
	s_andn2_b32 vcc_lo, exec_lo, s4
	s_cbranch_vccnz .LBB79_18
; %bb.17:
	v_add_co_u32 v0, vcc_lo, s18, v0
	v_add_co_ci_u32_e64 v1, null, s19, v1, vcc_lo
	v_cvt_f16_f32_e32 v11, v10
	global_store_short v[0:1], v11, off
.LBB79_18:
	s_or_b32 exec_lo, exec_lo, s6
	v_cmp_gt_u32_e32 vcc_lo, 0x400, v3
	s_and_b32 exec_lo, exec_lo, vcc_lo
	s_cbranch_execz .LBB79_26
; %bb.19:
	s_and_saveexec_b32 s6, s0
	s_cbranch_execz .LBB79_21
; %bb.20:
	v_add_nc_u32_e32 v0, v2, v4
	v_lshl_add_u32 v0, v0, 2, 0
	ds_read_b32 v9, v0 offset:128
	ds_read_b32 v10, v0 offset:4288
.LBB79_21:
	s_or_b32 exec_lo, exec_lo, s6
	s_waitcnt lgkmcnt(1)
	ds_bpermute_b32 v0, v5, v9
	s_waitcnt lgkmcnt(1)
	ds_bpermute_b32 v1, v5, v10
	s_waitcnt lgkmcnt(1)
	v_add_f32_e32 v0, v9, v0
	s_waitcnt lgkmcnt(0)
	v_add_f32_e32 v1, v10, v1
	ds_bpermute_b32 v3, v6, v0
	ds_bpermute_b32 v4, v6, v1
	s_waitcnt lgkmcnt(1)
	v_add_f32_e32 v0, v0, v3
	s_waitcnt lgkmcnt(0)
	v_add_f32_e32 v1, v1, v4
	ds_bpermute_b32 v3, v7, v0
	;; [unrolled: 6-line block ×3, first 2 shown]
	ds_bpermute_b32 v1, v8, v0
	s_and_b32 exec_lo, exec_lo, s1
	s_cbranch_execz .LBB79_26
; %bb.22:
	s_andn2_b32 vcc_lo, exec_lo, s5
	s_cbranch_vccnz .LBB79_24
; %bb.23:
	v_add_co_u32 v5, s0, s2, v2
	v_add_co_ci_u32_e64 v6, null, s3, 0, s0
	s_waitcnt lgkmcnt(1)
	v_add_f32_e32 v7, v3, v4
	v_lshlrev_b64 v[5:6], 1, v[5:6]
	v_add_co_u32 v3, vcc_lo, s16, v5
	v_add_co_ci_u32_e64 v4, null, s17, v6, vcc_lo
	v_cvt_f16_f32_e32 v5, v7
	global_store_short v[3:4], v5, off offset:64
.LBB79_24:
	s_andn2_b32 vcc_lo, exec_lo, s4
	s_cbranch_vccnz .LBB79_26
; %bb.25:
	v_add_co_u32 v2, s0, s2, v2
	v_add_co_ci_u32_e64 v3, null, s3, 0, s0
	s_waitcnt lgkmcnt(0)
	v_add_f32_e32 v4, v0, v1
	v_lshlrev_b64 v[2:3], 1, v[2:3]
	v_add_co_u32 v0, vcc_lo, s18, v2
	v_add_co_ci_u32_e64 v1, null, s19, v3, vcc_lo
	v_cvt_f16_f32_e32 v2, v4
	global_store_short v[0:1], v2, off offset:64
.LBB79_26:
	s_endpgm
	.section	.rodata,"a",@progbits
	.p2align	6, 0x0
	.amdhsa_kernel _ZN2at6native12_GLOBAL__N_135GammaBetaBackwardCUDAKernelTemplateIN3c104HalfEfLj64ELj16ELj128ELb0ELb1ELb0EEEvllPKT_S7_PKT0_SA_PS5_SB_
		.amdhsa_group_segment_fixed_size 0
		.amdhsa_private_segment_fixed_size 0
		.amdhsa_kernarg_size 320
		.amdhsa_user_sgpr_count 6
		.amdhsa_user_sgpr_private_segment_buffer 1
		.amdhsa_user_sgpr_dispatch_ptr 0
		.amdhsa_user_sgpr_queue_ptr 0
		.amdhsa_user_sgpr_kernarg_segment_ptr 1
		.amdhsa_user_sgpr_dispatch_id 0
		.amdhsa_user_sgpr_flat_scratch_init 0
		.amdhsa_user_sgpr_private_segment_size 0
		.amdhsa_wavefront_size32 1
		.amdhsa_uses_dynamic_stack 0
		.amdhsa_system_sgpr_private_segment_wavefront_offset 0
		.amdhsa_system_sgpr_workgroup_id_x 1
		.amdhsa_system_sgpr_workgroup_id_y 1
		.amdhsa_system_sgpr_workgroup_id_z 0
		.amdhsa_system_sgpr_workgroup_info 0
		.amdhsa_system_vgpr_workitem_id 1
		.amdhsa_next_free_vgpr 50
		.amdhsa_next_free_sgpr 28
		.amdhsa_reserve_vcc 1
		.amdhsa_reserve_flat_scratch 0
		.amdhsa_float_round_mode_32 0
		.amdhsa_float_round_mode_16_64 0
		.amdhsa_float_denorm_mode_32 3
		.amdhsa_float_denorm_mode_16_64 3
		.amdhsa_dx10_clamp 1
		.amdhsa_ieee_mode 1
		.amdhsa_fp16_overflow 0
		.amdhsa_workgroup_processor_mode 1
		.amdhsa_memory_ordered 1
		.amdhsa_forward_progress 1
		.amdhsa_shared_vgpr_count 0
		.amdhsa_exception_fp_ieee_invalid_op 0
		.amdhsa_exception_fp_denorm_src 0
		.amdhsa_exception_fp_ieee_div_zero 0
		.amdhsa_exception_fp_ieee_overflow 0
		.amdhsa_exception_fp_ieee_underflow 0
		.amdhsa_exception_fp_ieee_inexact 0
		.amdhsa_exception_int_div_zero 0
	.end_amdhsa_kernel
	.section	.text._ZN2at6native12_GLOBAL__N_135GammaBetaBackwardCUDAKernelTemplateIN3c104HalfEfLj64ELj16ELj128ELb0ELb1ELb0EEEvllPKT_S7_PKT0_SA_PS5_SB_,"axG",@progbits,_ZN2at6native12_GLOBAL__N_135GammaBetaBackwardCUDAKernelTemplateIN3c104HalfEfLj64ELj16ELj128ELb0ELb1ELb0EEEvllPKT_S7_PKT0_SA_PS5_SB_,comdat
.Lfunc_end79:
	.size	_ZN2at6native12_GLOBAL__N_135GammaBetaBackwardCUDAKernelTemplateIN3c104HalfEfLj64ELj16ELj128ELb0ELb1ELb0EEEvllPKT_S7_PKT0_SA_PS5_SB_, .Lfunc_end79-_ZN2at6native12_GLOBAL__N_135GammaBetaBackwardCUDAKernelTemplateIN3c104HalfEfLj64ELj16ELj128ELb0ELb1ELb0EEEvllPKT_S7_PKT0_SA_PS5_SB_
                                        ; -- End function
	.set _ZN2at6native12_GLOBAL__N_135GammaBetaBackwardCUDAKernelTemplateIN3c104HalfEfLj64ELj16ELj128ELb0ELb1ELb0EEEvllPKT_S7_PKT0_SA_PS5_SB_.num_vgpr, 50
	.set _ZN2at6native12_GLOBAL__N_135GammaBetaBackwardCUDAKernelTemplateIN3c104HalfEfLj64ELj16ELj128ELb0ELb1ELb0EEEvllPKT_S7_PKT0_SA_PS5_SB_.num_agpr, 0
	.set _ZN2at6native12_GLOBAL__N_135GammaBetaBackwardCUDAKernelTemplateIN3c104HalfEfLj64ELj16ELj128ELb0ELb1ELb0EEEvllPKT_S7_PKT0_SA_PS5_SB_.numbered_sgpr, 28
	.set _ZN2at6native12_GLOBAL__N_135GammaBetaBackwardCUDAKernelTemplateIN3c104HalfEfLj64ELj16ELj128ELb0ELb1ELb0EEEvllPKT_S7_PKT0_SA_PS5_SB_.num_named_barrier, 0
	.set _ZN2at6native12_GLOBAL__N_135GammaBetaBackwardCUDAKernelTemplateIN3c104HalfEfLj64ELj16ELj128ELb0ELb1ELb0EEEvllPKT_S7_PKT0_SA_PS5_SB_.private_seg_size, 0
	.set _ZN2at6native12_GLOBAL__N_135GammaBetaBackwardCUDAKernelTemplateIN3c104HalfEfLj64ELj16ELj128ELb0ELb1ELb0EEEvllPKT_S7_PKT0_SA_PS5_SB_.uses_vcc, 1
	.set _ZN2at6native12_GLOBAL__N_135GammaBetaBackwardCUDAKernelTemplateIN3c104HalfEfLj64ELj16ELj128ELb0ELb1ELb0EEEvllPKT_S7_PKT0_SA_PS5_SB_.uses_flat_scratch, 0
	.set _ZN2at6native12_GLOBAL__N_135GammaBetaBackwardCUDAKernelTemplateIN3c104HalfEfLj64ELj16ELj128ELb0ELb1ELb0EEEvllPKT_S7_PKT0_SA_PS5_SB_.has_dyn_sized_stack, 0
	.set _ZN2at6native12_GLOBAL__N_135GammaBetaBackwardCUDAKernelTemplateIN3c104HalfEfLj64ELj16ELj128ELb0ELb1ELb0EEEvllPKT_S7_PKT0_SA_PS5_SB_.has_recursion, 0
	.set _ZN2at6native12_GLOBAL__N_135GammaBetaBackwardCUDAKernelTemplateIN3c104HalfEfLj64ELj16ELj128ELb0ELb1ELb0EEEvllPKT_S7_PKT0_SA_PS5_SB_.has_indirect_call, 0
	.section	.AMDGPU.csdata,"",@progbits
; Kernel info:
; codeLenInByte = 2124
; TotalNumSgprs: 30
; NumVgprs: 50
; ScratchSize: 0
; MemoryBound: 0
; FloatMode: 240
; IeeeMode: 1
; LDSByteSize: 0 bytes/workgroup (compile time only)
; SGPRBlocks: 0
; VGPRBlocks: 6
; NumSGPRsForWavesPerEU: 30
; NumVGPRsForWavesPerEU: 50
; Occupancy: 16
; WaveLimiterHint : 0
; COMPUTE_PGM_RSRC2:SCRATCH_EN: 0
; COMPUTE_PGM_RSRC2:USER_SGPR: 6
; COMPUTE_PGM_RSRC2:TRAP_HANDLER: 0
; COMPUTE_PGM_RSRC2:TGID_X_EN: 1
; COMPUTE_PGM_RSRC2:TGID_Y_EN: 1
; COMPUTE_PGM_RSRC2:TGID_Z_EN: 0
; COMPUTE_PGM_RSRC2:TIDIG_COMP_CNT: 1
	.section	.text._ZN2at6native12_GLOBAL__N_135GammaBetaBackwardCUDAKernelTemplateIN3c104HalfEfLj64ELj16ELj128ELb0ELb0ELb0EEEvllPKT_S7_PKT0_SA_PS5_SB_,"axG",@progbits,_ZN2at6native12_GLOBAL__N_135GammaBetaBackwardCUDAKernelTemplateIN3c104HalfEfLj64ELj16ELj128ELb0ELb0ELb0EEEvllPKT_S7_PKT0_SA_PS5_SB_,comdat
	.globl	_ZN2at6native12_GLOBAL__N_135GammaBetaBackwardCUDAKernelTemplateIN3c104HalfEfLj64ELj16ELj128ELb0ELb0ELb0EEEvllPKT_S7_PKT0_SA_PS5_SB_ ; -- Begin function _ZN2at6native12_GLOBAL__N_135GammaBetaBackwardCUDAKernelTemplateIN3c104HalfEfLj64ELj16ELj128ELb0ELb0ELb0EEEvllPKT_S7_PKT0_SA_PS5_SB_
	.p2align	8
	.type	_ZN2at6native12_GLOBAL__N_135GammaBetaBackwardCUDAKernelTemplateIN3c104HalfEfLj64ELj16ELj128ELb0ELb0ELb0EEEvllPKT_S7_PKT0_SA_PS5_SB_,@function
_ZN2at6native12_GLOBAL__N_135GammaBetaBackwardCUDAKernelTemplateIN3c104HalfEfLj64ELj16ELj128ELb0ELb0ELb0EEEvllPKT_S7_PKT0_SA_PS5_SB_: ; @_ZN2at6native12_GLOBAL__N_135GammaBetaBackwardCUDAKernelTemplateIN3c104HalfEfLj64ELj16ELj128ELb0ELb0ELb0EEEvllPKT_S7_PKT0_SA_PS5_SB_
; %bb.0:
	s_clause 0x1
	s_load_dwordx8 s[8:15], s[4:5], 0x0
	s_load_dwordx4 s[16:19], s[4:5], 0x20
	s_lshl_b32 s28, s6, 6
	s_mov_b32 s3, 0
	s_or_b32 s2, s28, 63
	s_waitcnt lgkmcnt(0)
	v_cmp_le_i64_e64 s0, s[10:11], s[2:3]
	s_lshl_b32 s2, s7, 7
	v_cmp_gt_i64_e64 s7, s[8:9], s[2:3]
	s_and_b32 vcc_lo, exec_lo, s0
	v_cndmask_b32_e64 v2, 0, 1, s7
	v_cmp_ne_u32_e64 s0, 1, v2
	s_cbranch_vccz .LBB80_49
; %bb.1:
	v_mov_b32_e32 v11, 0
	v_mov_b32_e32 v62, 0
	s_and_b32 vcc_lo, exec_lo, s0
	s_cbranch_vccnz .LBB80_50
; %bb.2:
	v_lshlrev_b32_e32 v21, 3, v1
	v_mov_b32_e32 v2, 0
	v_add_nc_u32_e32 v5, s28, v0
	s_load_dword s1, s[4:5], 0x44
	s_add_u32 s20, s4, 64
	v_add_co_u32 v11, s0, v21, s2
	v_add_co_ci_u32_e64 v12, null, 0, 0, s0
	v_mov_b32_e32 v6, v2
	v_mul_lo_u32 v7, s11, v11
	v_mad_u64_u32 v[3:4], null, s10, v11, 0
	v_mul_lo_u32 v8, s10, v12
	v_cmp_gt_i64_e64 s0, s[10:11], v[5:6]
	v_lshlrev_b64 v[19:20], 1, v[5:6]
	s_addc_u32 s21, s5, 0
	v_mov_b32_e32 v62, 0
	v_mov_b32_e32 v54, 0
	s_mov_b64 s[26:27], s[2:3]
	v_add3_u32 v4, v4, v8, v7
	v_add_co_u32 v7, vcc_lo, v11, 7
	v_add_co_ci_u32_e64 v8, null, 0, v12, vcc_lo
	v_lshlrev_b64 v[5:6], 1, v[3:4]
	v_mul_lo_u32 v13, s11, v7
	s_waitcnt lgkmcnt(0)
	s_lshl_b32 s29, s1, 7
	v_mul_lo_u32 v14, s10, v8
	v_mad_u64_u32 v[7:8], null, s10, v7, 0
	v_add_co_u32 v22, vcc_lo, s12, v5
	v_add_co_ci_u32_e64 v23, null, s13, v6, vcc_lo
	v_add_co_u32 v9, vcc_lo, v11, 6
	v_add_co_ci_u32_e64 v10, null, 0, v12, vcc_lo
	v_add_co_u32 v24, vcc_lo, s14, v5
	v_mul_lo_u32 v15, s11, v9
	v_mul_lo_u32 v16, s10, v10
	v_mad_u64_u32 v[9:10], null, s10, v9, 0
	v_add3_u32 v8, v8, v14, v13
	v_add_co_ci_u32_e64 v25, null, s15, v6, vcc_lo
	v_add_co_u32 v13, vcc_lo, v11, 5
	v_add_co_ci_u32_e64 v14, null, 0, v12, vcc_lo
	v_add3_u32 v10, v10, v16, v15
	v_lshlrev_b64 v[5:6], 1, v[7:8]
	v_mul_lo_u32 v15, s11, v13
	v_mul_lo_u32 v14, s10, v14
	s_mul_i32 s1, s11, s29
	v_lshlrev_b64 v[7:8], 1, v[9:10]
	v_mad_u64_u32 v[9:10], null, s10, v13, 0
	v_add_co_u32 v26, vcc_lo, s12, v5
	v_add_co_ci_u32_e64 v27, null, s13, v6, vcc_lo
	v_add_co_u32 v28, vcc_lo, s14, v5
	v_add_co_ci_u32_e64 v29, null, s15, v6, vcc_lo
	v_add_co_u32 v30, vcc_lo, s12, v7
	v_add3_u32 v10, v10, v14, v15
	s_mul_hi_u32 s22, s10, s29
	v_add_co_ci_u32_e64 v31, null, s13, v8, vcc_lo
	v_add_co_u32 v13, vcc_lo, v11, 4
	s_add_i32 s23, s22, s1
	v_add_co_u32 v32, s1, s14, v7
	v_add_co_ci_u32_e64 v7, null, 0, v12, vcc_lo
	v_lshlrev_b64 v[5:6], 1, v[9:10]
	v_add_co_u32 v9, vcc_lo, v11, 3
	v_add_co_ci_u32_e64 v10, null, 0, v12, vcc_lo
	v_add_co_ci_u32_e64 v33, null, s15, v8, s1
	v_mul_lo_u32 v14, s11, v13
	v_mul_lo_u32 v15, s10, v7
	v_mad_u64_u32 v[7:8], null, s10, v13, 0
	v_mul_lo_u32 v13, s11, v9
	v_mul_lo_u32 v16, s10, v10
	v_mad_u64_u32 v[9:10], null, s10, v9, 0
	v_add_co_u32 v34, vcc_lo, s12, v5
	v_add_co_ci_u32_e64 v35, null, s13, v6, vcc_lo
	v_add3_u32 v8, v8, v15, v14
	v_add_co_u32 v36, vcc_lo, s14, v5
	v_add_co_ci_u32_e64 v37, null, s15, v6, vcc_lo
	v_add_co_u32 v11, vcc_lo, v11, 2
	v_add3_u32 v10, v10, v16, v13
	v_add_co_ci_u32_e64 v12, null, 0, v12, vcc_lo
	v_lshlrev_b64 v[5:6], 1, v[7:8]
	v_mul_lo_u32 v13, s11, v11
	v_lshlrev_b64 v[7:8], 1, v[9:10]
	v_mul_lo_u32 v12, s10, v12
	v_mad_u64_u32 v[9:10], null, s10, v11, 0
	v_add_co_u32 v38, vcc_lo, s12, v5
	v_add_co_ci_u32_e64 v39, null, s13, v6, vcc_lo
	v_add_co_u32 v40, vcc_lo, s14, v5
	v_add_co_ci_u32_e64 v41, null, s15, v6, vcc_lo
	;; [unrolled: 2-line block ×3, first 2 shown]
	v_add3_u32 v10, v10, v12, v13
	v_add_co_u32 v44, vcc_lo, s14, v7
	v_add_co_ci_u32_e64 v45, null, s15, v8, vcc_lo
	v_add_co_u32 v3, vcc_lo, v3, s10
	v_add_co_ci_u32_e64 v4, null, s11, v4, vcc_lo
	v_lshlrev_b64 v[5:6], 1, v[9:10]
	s_mul_i32 s22, s10, s29
	v_lshlrev_b64 v[3:4], 1, v[3:4]
	s_lshl_b64 s[22:23], s[22:23], 1
	s_add_u32 s24, s2, 0x7f
	v_add_co_u32 v46, vcc_lo, s12, v5
	v_add_co_ci_u32_e64 v47, null, s13, v6, vcc_lo
	v_add_co_u32 v48, vcc_lo, s14, v5
	v_add_co_ci_u32_e64 v49, null, s15, v6, vcc_lo
	;; [unrolled: 2-line block ×4, first 2 shown]
	s_addc_u32 s25, 0, 0
.LBB80_3:                               ; =>This Inner Loop Header: Depth=1
	v_cmp_ge_i64_e64 s1, s[24:25], s[8:9]
	v_add_co_u32 v55, s30, v21, s24
	v_add_co_ci_u32_e64 v56, null, 0, s25, s30
                                        ; implicit-def: $vgpr11_vgpr12_vgpr13_vgpr14_vgpr15_vgpr16_vgpr17_vgpr18
                                        ; implicit-def: $vgpr3_vgpr4_vgpr5_vgpr6_vgpr7_vgpr8_vgpr9_vgpr10
                                        ; implicit-def: $vgpr58
                                        ; implicit-def: $vgpr3
	s_and_b32 vcc_lo, exec_lo, s1
	s_mov_b32 s1, -1
                                        ; implicit-def: $vgpr11
                                        ; implicit-def: $vgpr4
	s_cbranch_vccz .LBB80_25
; %bb.4:                                ;   in Loop: Header=BB80_3 Depth=1
	s_load_dword s1, s[20:21], 0xc
	v_mov_b32_e32 v58, 0
	v_mov_b32_e32 v57, 0
	s_waitcnt lgkmcnt(0)
	s_and_b32 s1, s1, 0xffff
	v_mad_u32_u24 v3, v1, s1, v0
	s_mov_b32 s1, exec_lo
	v_and_b32_e32 v3, 31, v3
	v_cmpx_gt_u32_e32 8, v3
	s_cbranch_execz .LBB80_8
; %bb.5:                                ;   in Loop: Header=BB80_3 Depth=1
	v_add_co_u32 v3, vcc_lo, v55, v3
	v_add_co_ci_u32_e64 v4, null, 0, v56, vcc_lo
	v_mov_b32_e32 v57, 0
	v_add_co_u32 v3, vcc_lo, 0xffffff81, v3
	v_add_co_ci_u32_e64 v4, null, -1, v4, vcc_lo
	v_mov_b32_e32 v58, 0
	s_mov_b32 s30, exec_lo
	v_cmpx_gt_i64_e64 s[8:9], v[3:4]
	s_cbranch_execz .LBB80_7
; %bb.6:                                ;   in Loop: Header=BB80_3 Depth=1
	v_lshlrev_b64 v[3:4], 2, v[3:4]
	v_add_co_u32 v5, vcc_lo, s16, v3
	v_add_co_ci_u32_e64 v6, null, s17, v4, vcc_lo
	v_add_co_u32 v3, vcc_lo, s18, v3
	v_add_co_ci_u32_e64 v4, null, s19, v4, vcc_lo
	global_load_dword v57, v[5:6], off
	global_load_dword v58, v[3:4], off
.LBB80_7:                               ;   in Loop: Header=BB80_3 Depth=1
	s_or_b32 exec_lo, exec_lo, s30
.LBB80_8:                               ;   in Loop: Header=BB80_3 Depth=1
	s_or_b32 exec_lo, exec_lo, s1
	v_add_co_u32 v10, vcc_lo, 0xffffff81, v55
	v_add_co_ci_u32_e64 v11, null, -1, v56, vcc_lo
	v_mov_b32_e32 v9, v2
	v_mov_b32_e32 v3, v2
	;; [unrolled: 1-line block ×7, first 2 shown]
	v_cmp_gt_i64_e32 vcc_lo, s[8:9], v[10:11]
	v_mov_b32_e32 v18, v9
	v_mov_b32_e32 v15, v6
	;; [unrolled: 1-line block ×16, first 2 shown]
	s_and_b32 s30, s0, vcc_lo
	s_and_saveexec_b32 s1, s30
	s_cbranch_execz .LBB80_10
; %bb.9:                                ;   in Loop: Header=BB80_3 Depth=1
	v_add_co_u32 v3, vcc_lo, v22, v19
	v_add_co_ci_u32_e64 v4, null, v23, v20, vcc_lo
	v_add_co_u32 v5, vcc_lo, v24, v19
	v_add_co_ci_u32_e64 v6, null, v25, v20, vcc_lo
	global_load_ushort v3, v[3:4], off
	global_load_ushort v11, v[5:6], off
	v_mov_b32_e32 v4, v2
	v_mov_b32_e32 v5, v2
	;; [unrolled: 1-line block ×14, first 2 shown]
	s_waitcnt vmcnt(1)
	v_cvt_f32_f16_e32 v3, v3
	s_waitcnt vmcnt(0)
	v_cvt_f32_f16_e32 v11, v11
.LBB80_10:                              ;   in Loop: Header=BB80_3 Depth=1
	s_or_b32 exec_lo, exec_lo, s1
	v_add_co_u32 v59, vcc_lo, 0xffffff82, v55
	v_add_co_ci_u32_e64 v60, null, -1, v56, vcc_lo
	v_cmp_gt_i64_e32 vcc_lo, s[8:9], v[59:60]
	s_and_b32 s30, s0, vcc_lo
	s_and_saveexec_b32 s1, s30
	s_cbranch_execz .LBB80_12
; %bb.11:                               ;   in Loop: Header=BB80_3 Depth=1
	v_add_co_u32 v59, vcc_lo, v50, v19
	v_add_co_ci_u32_e64 v60, null, v51, v20, vcc_lo
	v_add_co_u32 v63, vcc_lo, v52, v19
	v_add_co_ci_u32_e64 v64, null, v53, v20, vcc_lo
	global_load_ushort v4, v[59:60], off
	global_load_ushort v12, v[63:64], off
	s_waitcnt vmcnt(1)
	v_cvt_f32_f16_e32 v4, v4
	s_waitcnt vmcnt(0)
	v_cvt_f32_f16_e32 v12, v12
.LBB80_12:                              ;   in Loop: Header=BB80_3 Depth=1
	s_or_b32 exec_lo, exec_lo, s1
	v_add_co_u32 v59, vcc_lo, 0xffffff83, v55
	v_add_co_ci_u32_e64 v60, null, -1, v56, vcc_lo
	v_cmp_gt_i64_e32 vcc_lo, s[8:9], v[59:60]
	s_and_b32 s30, s0, vcc_lo
	s_and_saveexec_b32 s1, s30
	s_cbranch_execz .LBB80_14
; %bb.13:                               ;   in Loop: Header=BB80_3 Depth=1
	v_add_co_u32 v59, vcc_lo, v46, v19
	v_add_co_ci_u32_e64 v60, null, v47, v20, vcc_lo
	v_add_co_u32 v63, vcc_lo, v48, v19
	v_add_co_ci_u32_e64 v64, null, v49, v20, vcc_lo
	global_load_ushort v5, v[59:60], off
	global_load_ushort v13, v[63:64], off
	s_waitcnt vmcnt(1)
	v_cvt_f32_f16_e32 v5, v5
	s_waitcnt vmcnt(0)
	v_cvt_f32_f16_e32 v13, v13
.LBB80_14:                              ;   in Loop: Header=BB80_3 Depth=1
	s_or_b32 exec_lo, exec_lo, s1
	v_add_co_u32 v59, vcc_lo, 0xffffff84, v55
	v_add_co_ci_u32_e64 v60, null, -1, v56, vcc_lo
	v_cmp_gt_i64_e32 vcc_lo, s[8:9], v[59:60]
	s_and_b32 s30, s0, vcc_lo
	s_and_saveexec_b32 s1, s30
	s_cbranch_execz .LBB80_16
; %bb.15:                               ;   in Loop: Header=BB80_3 Depth=1
	v_add_co_u32 v59, vcc_lo, v42, v19
	v_add_co_ci_u32_e64 v60, null, v43, v20, vcc_lo
	v_add_co_u32 v63, vcc_lo, v44, v19
	v_add_co_ci_u32_e64 v64, null, v45, v20, vcc_lo
	global_load_ushort v6, v[59:60], off
	global_load_ushort v14, v[63:64], off
	s_waitcnt vmcnt(1)
	v_cvt_f32_f16_e32 v6, v6
	s_waitcnt vmcnt(0)
	v_cvt_f32_f16_e32 v14, v14
.LBB80_16:                              ;   in Loop: Header=BB80_3 Depth=1
	s_or_b32 exec_lo, exec_lo, s1
	v_add_co_u32 v59, vcc_lo, 0xffffff85, v55
	v_add_co_ci_u32_e64 v60, null, -1, v56, vcc_lo
	v_cmp_gt_i64_e32 vcc_lo, s[8:9], v[59:60]
	s_and_b32 s30, s0, vcc_lo
	s_and_saveexec_b32 s1, s30
	s_cbranch_execz .LBB80_18
; %bb.17:                               ;   in Loop: Header=BB80_3 Depth=1
	v_add_co_u32 v59, vcc_lo, v38, v19
	v_add_co_ci_u32_e64 v60, null, v39, v20, vcc_lo
	v_add_co_u32 v63, vcc_lo, v40, v19
	v_add_co_ci_u32_e64 v64, null, v41, v20, vcc_lo
	global_load_ushort v7, v[59:60], off
	global_load_ushort v15, v[63:64], off
	s_waitcnt vmcnt(1)
	v_cvt_f32_f16_e32 v7, v7
	s_waitcnt vmcnt(0)
	v_cvt_f32_f16_e32 v15, v15
.LBB80_18:                              ;   in Loop: Header=BB80_3 Depth=1
	s_or_b32 exec_lo, exec_lo, s1
	v_add_co_u32 v59, vcc_lo, 0xffffff86, v55
	v_add_co_ci_u32_e64 v60, null, -1, v56, vcc_lo
	v_cmp_gt_i64_e32 vcc_lo, s[8:9], v[59:60]
	s_and_b32 s30, s0, vcc_lo
	s_and_saveexec_b32 s1, s30
	s_cbranch_execz .LBB80_20
; %bb.19:                               ;   in Loop: Header=BB80_3 Depth=1
	v_add_co_u32 v59, vcc_lo, v34, v19
	v_add_co_ci_u32_e64 v60, null, v35, v20, vcc_lo
	v_add_co_u32 v63, vcc_lo, v36, v19
	v_add_co_ci_u32_e64 v64, null, v37, v20, vcc_lo
	global_load_ushort v8, v[59:60], off
	global_load_ushort v16, v[63:64], off
	s_waitcnt vmcnt(1)
	v_cvt_f32_f16_e32 v8, v8
	s_waitcnt vmcnt(0)
	v_cvt_f32_f16_e32 v16, v16
.LBB80_20:                              ;   in Loop: Header=BB80_3 Depth=1
	s_or_b32 exec_lo, exec_lo, s1
	v_add_co_u32 v59, vcc_lo, 0xffffff87, v55
	v_add_co_ci_u32_e64 v60, null, -1, v56, vcc_lo
	v_cmp_gt_i64_e32 vcc_lo, s[8:9], v[59:60]
	s_and_b32 s30, s0, vcc_lo
	s_and_saveexec_b32 s1, s30
	s_cbranch_execz .LBB80_22
; %bb.21:                               ;   in Loop: Header=BB80_3 Depth=1
	v_add_co_u32 v59, vcc_lo, v30, v19
	v_add_co_ci_u32_e64 v60, null, v31, v20, vcc_lo
	v_add_co_u32 v63, vcc_lo, v32, v19
	v_add_co_ci_u32_e64 v64, null, v33, v20, vcc_lo
	global_load_ushort v9, v[59:60], off
	global_load_ushort v17, v[63:64], off
	s_waitcnt vmcnt(1)
	v_cvt_f32_f16_e32 v9, v9
	s_waitcnt vmcnt(0)
	v_cvt_f32_f16_e32 v17, v17
.LBB80_22:                              ;   in Loop: Header=BB80_3 Depth=1
	s_or_b32 exec_lo, exec_lo, s1
	v_add_co_u32 v59, vcc_lo, 0xffffff88, v55
	v_add_co_ci_u32_e64 v60, null, -1, v56, vcc_lo
	v_cmp_gt_i64_e32 vcc_lo, s[8:9], v[59:60]
	s_and_b32 s30, s0, vcc_lo
	s_and_saveexec_b32 s1, s30
	s_cbranch_execz .LBB80_24
; %bb.23:                               ;   in Loop: Header=BB80_3 Depth=1
	v_add_co_u32 v59, vcc_lo, v26, v19
	v_add_co_ci_u32_e64 v60, null, v27, v20, vcc_lo
	v_add_co_u32 v63, vcc_lo, v28, v19
	v_add_co_ci_u32_e64 v64, null, v29, v20, vcc_lo
	global_load_ushort v10, v[59:60], off
	global_load_ushort v18, v[63:64], off
	s_waitcnt vmcnt(1)
	v_cvt_f32_f16_e32 v10, v10
	s_waitcnt vmcnt(0)
	v_cvt_f32_f16_e32 v18, v18
.LBB80_24:                              ;   in Loop: Header=BB80_3 Depth=1
	s_or_b32 exec_lo, exec_lo, s1
	s_waitcnt vmcnt(1)
	ds_bpermute_b32 v59, v2, v57
	ds_bpermute_b32 v60, v2, v57 offset:4
	ds_bpermute_b32 v61, v2, v57 offset:8
	s_waitcnt vmcnt(0)
	ds_bpermute_b32 v63, v2, v58
	ds_bpermute_b32 v64, v2, v57 offset:12
	ds_bpermute_b32 v65, v2, v58 offset:4
	;; [unrolled: 1-line block ×7, first 2 shown]
	s_mov_b32 s1, 0
	s_waitcnt lgkmcnt(10)
	v_sub_f32_e32 v11, v11, v59
	v_add_f32_e32 v59, v62, v3
	s_waitcnt lgkmcnt(9)
	v_sub_f32_e32 v12, v12, v60
	ds_bpermute_b32 v60, v2, v58 offset:16
	s_waitcnt lgkmcnt(9)
	v_sub_f32_e32 v13, v13, v61
	v_mul_f32_e32 v3, v3, v11
	ds_bpermute_b32 v61, v2, v58 offset:20
	v_mul_f32_e32 v12, v4, v12
	v_add_f32_e32 v4, v4, v59
	v_mul_f32_e32 v13, v5, v13
	s_waitcnt lgkmcnt(9)
	v_fma_f32 v11, v3, v63, v54
	s_waitcnt lgkmcnt(8)
	v_sub_f32_e32 v3, v14, v64
	ds_bpermute_b32 v63, v2, v58 offset:24
	v_add_f32_e32 v4, v5, v4
	ds_bpermute_b32 v58, v2, v58 offset:28
	s_waitcnt lgkmcnt(9)
	v_fmac_f32_e32 v11, v12, v65
	s_waitcnt lgkmcnt(8)
	v_sub_f32_e32 v12, v15, v66
	v_mul_f32_e32 v14, v6, v3
	ds_bpermute_b32 v3, v2, v57 offset:28
	s_waitcnt lgkmcnt(6)
	v_sub_f32_e32 v5, v16, v69
	v_fmac_f32_e32 v11, v13, v67
	v_mul_f32_e32 v12, v7, v12
	v_add_f32_e32 v4, v6, v4
	s_waitcnt lgkmcnt(5)
	v_sub_f32_e32 v6, v17, v70
	v_mul_f32_e32 v5, v8, v5
	v_fmac_f32_e32 v11, v14, v68
	v_add_f32_e32 v4, v7, v4
	v_mul_f32_e32 v6, v9, v6
	s_waitcnt lgkmcnt(4)
	v_fmac_f32_e32 v11, v12, v60
	v_add_f32_e32 v4, v8, v4
	s_waitcnt lgkmcnt(3)
	v_fmac_f32_e32 v11, v5, v61
	v_add_f32_e32 v4, v9, v4
	s_waitcnt lgkmcnt(2)
	v_fmac_f32_e32 v11, v6, v63
.LBB80_25:                              ;   in Loop: Header=BB80_3 Depth=1
	s_and_b32 vcc_lo, exec_lo, s1
	s_cbranch_vccz .LBB80_40
; %bb.26:                               ;   in Loop: Header=BB80_3 Depth=1
	s_load_dword s1, s[20:21], 0x0
	s_waitcnt lgkmcnt(0)
	v_mov_b32_e32 v58, 0
	v_mov_b32_e32 v57, 0
	s_cmp_lt_u32 s6, s1
	s_cselect_b32 s1, 12, 18
	s_add_u32 s30, s20, s1
	s_addc_u32 s31, s21, 0
	s_mov_b32 s1, exec_lo
	global_load_ushort v3, v2, s[30:31]
	s_waitcnt vmcnt(0)
	v_mad_u32_u24 v3, v1, v3, v0
	v_and_b32_e32 v3, 31, v3
	v_cmpx_gt_u32_e32 8, v3
	s_cbranch_execz .LBB80_30
; %bb.27:                               ;   in Loop: Header=BB80_3 Depth=1
	v_add_co_u32 v3, vcc_lo, v55, v3
	v_add_co_ci_u32_e64 v4, null, 0, v56, vcc_lo
	v_mov_b32_e32 v57, 0
	v_add_co_u32 v3, vcc_lo, 0xffffff81, v3
	v_add_co_ci_u32_e64 v4, null, -1, v4, vcc_lo
	v_mov_b32_e32 v58, 0
	s_mov_b32 s30, exec_lo
	v_cmpx_gt_i64_e64 s[8:9], v[3:4]
	s_cbranch_execz .LBB80_29
; %bb.28:                               ;   in Loop: Header=BB80_3 Depth=1
	v_lshlrev_b64 v[3:4], 2, v[3:4]
	v_add_co_u32 v5, vcc_lo, s16, v3
	v_add_co_ci_u32_e64 v6, null, s17, v4, vcc_lo
	v_add_co_u32 v3, vcc_lo, s18, v3
	v_add_co_ci_u32_e64 v4, null, s19, v4, vcc_lo
	global_load_dword v57, v[5:6], off
	global_load_dword v58, v[3:4], off
.LBB80_29:                              ;   in Loop: Header=BB80_3 Depth=1
	s_or_b32 exec_lo, exec_lo, s30
.LBB80_30:                              ;   in Loop: Header=BB80_3 Depth=1
	s_or_b32 exec_lo, exec_lo, s1
	v_mov_b32_e32 v9, v2
	v_mov_b32_e32 v3, v2
	;; [unrolled: 1-line block ×23, first 2 shown]
	s_and_saveexec_b32 s1, s0
	s_cbranch_execnz .LBB80_42
; %bb.31:                               ;   in Loop: Header=BB80_3 Depth=1
	s_or_b32 exec_lo, exec_lo, s1
	s_and_saveexec_b32 s1, s0
	s_cbranch_execnz .LBB80_43
.LBB80_32:                              ;   in Loop: Header=BB80_3 Depth=1
	s_or_b32 exec_lo, exec_lo, s1
	s_and_saveexec_b32 s1, s0
	s_cbranch_execnz .LBB80_44
.LBB80_33:                              ;   in Loop: Header=BB80_3 Depth=1
	s_or_b32 exec_lo, exec_lo, s1
	s_and_saveexec_b32 s1, s0
	s_cbranch_execnz .LBB80_45
.LBB80_34:                              ;   in Loop: Header=BB80_3 Depth=1
	s_or_b32 exec_lo, exec_lo, s1
	s_and_saveexec_b32 s1, s0
	s_cbranch_execnz .LBB80_46
.LBB80_35:                              ;   in Loop: Header=BB80_3 Depth=1
	s_or_b32 exec_lo, exec_lo, s1
	s_and_saveexec_b32 s1, s0
	s_cbranch_execnz .LBB80_47
.LBB80_36:                              ;   in Loop: Header=BB80_3 Depth=1
	s_or_b32 exec_lo, exec_lo, s1
	s_and_saveexec_b32 s1, s0
	s_cbranch_execnz .LBB80_48
.LBB80_37:                              ;   in Loop: Header=BB80_3 Depth=1
	s_or_b32 exec_lo, exec_lo, s1
	s_and_saveexec_b32 s1, s0
	s_cbranch_execz .LBB80_39
.LBB80_38:                              ;   in Loop: Header=BB80_3 Depth=1
	v_add_co_u32 v55, vcc_lo, v26, v19
	v_add_co_ci_u32_e64 v56, null, v27, v20, vcc_lo
	v_add_co_u32 v59, vcc_lo, v28, v19
	v_add_co_ci_u32_e64 v60, null, v29, v20, vcc_lo
	global_load_ushort v10, v[55:56], off
	global_load_ushort v18, v[59:60], off
	s_waitcnt vmcnt(1)
	v_cvt_f32_f16_e32 v10, v10
	s_waitcnt vmcnt(0)
	v_cvt_f32_f16_e32 v18, v18
.LBB80_39:                              ;   in Loop: Header=BB80_3 Depth=1
	s_or_b32 exec_lo, exec_lo, s1
	s_waitcnt vmcnt(1)
	ds_bpermute_b32 v55, v2, v57
	ds_bpermute_b32 v56, v2, v57 offset:4
	ds_bpermute_b32 v59, v2, v57 offset:8
	s_waitcnt vmcnt(0)
	ds_bpermute_b32 v60, v2, v58
	ds_bpermute_b32 v61, v2, v57 offset:12
	ds_bpermute_b32 v63, v2, v58 offset:4
	ds_bpermute_b32 v64, v2, v57 offset:16
	ds_bpermute_b32 v65, v2, v58 offset:8
	ds_bpermute_b32 v66, v2, v57 offset:20
	s_waitcnt lgkmcnt(8)
	v_sub_f32_e32 v11, v11, v55
	ds_bpermute_b32 v55, v2, v58 offset:12
	s_waitcnt lgkmcnt(8)
	v_sub_f32_e32 v12, v12, v56
	ds_bpermute_b32 v56, v2, v58 offset:16
	s_waitcnt lgkmcnt(8)
	v_sub_f32_e32 v13, v13, v59
	v_mul_f32_e32 v11, v3, v11
	v_add_f32_e32 v3, v62, v3
	v_mul_f32_e32 v12, v4, v12
	ds_bpermute_b32 v59, v2, v58 offset:20
	s_waitcnt lgkmcnt(7)
	v_sub_f32_e32 v14, v14, v61
	v_fmac_f32_e32 v54, v11, v60
	ds_bpermute_b32 v11, v2, v57 offset:24
	v_mul_f32_e32 v13, v5, v13
	v_add_f32_e32 v3, v4, v3
	s_waitcnt lgkmcnt(6)
	v_sub_f32_e32 v4, v15, v64
	v_fmac_f32_e32 v54, v12, v63
	v_mul_f32_e32 v12, v6, v14
	s_waitcnt lgkmcnt(4)
	v_sub_f32_e32 v14, v16, v66
	v_add_f32_e32 v5, v5, v3
	v_mul_f32_e32 v4, v7, v4
	v_fmac_f32_e32 v54, v13, v65
	ds_bpermute_b32 v13, v2, v58 offset:24
	ds_bpermute_b32 v58, v2, v58 offset:28
	;; [unrolled: 1-line block ×3, first 2 shown]
	v_add_f32_e32 v5, v6, v5
	s_waitcnt lgkmcnt(6)
	v_fmac_f32_e32 v54, v12, v55
	v_mul_f32_e32 v6, v8, v14
	v_add_f32_e32 v5, v7, v5
	s_waitcnt lgkmcnt(5)
	v_fmac_f32_e32 v54, v4, v56
	s_waitcnt lgkmcnt(3)
	v_sub_f32_e32 v4, v17, v11
	v_add_f32_e32 v5, v8, v5
	v_fmac_f32_e32 v54, v6, v59
	v_mul_f32_e32 v4, v9, v4
	s_waitcnt lgkmcnt(2)
	v_fmac_f32_e32 v54, v4, v13
	v_add_f32_e32 v4, v9, v5
	v_mov_b32_e32 v11, v54
.LBB80_40:                              ;   in Loop: Header=BB80_3 Depth=1
	v_add_co_u32 v22, vcc_lo, v22, s22
	v_add_co_ci_u32_e64 v23, null, s23, v23, vcc_lo
	v_add_co_u32 v24, vcc_lo, v24, s22
	v_add_co_ci_u32_e64 v25, null, s23, v25, vcc_lo
	;; [unrolled: 2-line block ×10, first 2 shown]
	v_add_co_u32 v42, vcc_lo, v42, s22
	s_waitcnt lgkmcnt(0)
	v_sub_f32_e32 v3, v18, v3
	v_add_co_ci_u32_e64 v43, null, s23, v43, vcc_lo
	v_add_co_u32 v44, vcc_lo, v44, s22
	v_add_co_ci_u32_e64 v45, null, s23, v45, vcc_lo
	v_add_co_u32 v46, vcc_lo, v46, s22
	s_add_u32 s26, s26, s29
	v_add_co_ci_u32_e64 v47, null, s23, v47, vcc_lo
	v_add_co_u32 v48, vcc_lo, v48, s22
	v_mul_f32_e32 v3, v10, v3
	s_addc_u32 s27, s27, 0
	v_add_co_ci_u32_e64 v49, null, s23, v49, vcc_lo
	v_add_co_u32 v50, vcc_lo, v50, s22
	v_cmp_lt_i64_e64 s1, s[26:27], s[8:9]
	v_add_co_ci_u32_e64 v51, null, s23, v51, vcc_lo
	v_add_co_u32 v52, vcc_lo, v52, s22
	v_add_f32_e32 v62, v4, v10
	v_fmac_f32_e32 v11, v3, v58
	v_add_co_ci_u32_e64 v53, null, s23, v53, vcc_lo
	s_add_u32 s24, s24, s29
	s_addc_u32 s25, s25, 0
	s_and_b32 vcc_lo, exec_lo, s1
	s_cbranch_vccz .LBB80_50
; %bb.41:                               ;   in Loop: Header=BB80_3 Depth=1
	v_mov_b32_e32 v54, v11
	s_branch .LBB80_3
.LBB80_42:                              ;   in Loop: Header=BB80_3 Depth=1
	v_add_co_u32 v3, vcc_lo, v22, v19
	v_add_co_ci_u32_e64 v4, null, v23, v20, vcc_lo
	v_add_co_u32 v5, vcc_lo, v24, v19
	v_add_co_ci_u32_e64 v6, null, v25, v20, vcc_lo
	global_load_ushort v3, v[3:4], off
	global_load_ushort v11, v[5:6], off
	v_mov_b32_e32 v4, v2
	v_mov_b32_e32 v5, v2
	;; [unrolled: 1-line block ×14, first 2 shown]
	s_waitcnt vmcnt(1)
	v_cvt_f32_f16_e32 v3, v3
	s_waitcnt vmcnt(0)
	v_cvt_f32_f16_e32 v11, v11
	s_or_b32 exec_lo, exec_lo, s1
	s_and_saveexec_b32 s1, s0
	s_cbranch_execz .LBB80_32
.LBB80_43:                              ;   in Loop: Header=BB80_3 Depth=1
	v_add_co_u32 v55, vcc_lo, v50, v19
	v_add_co_ci_u32_e64 v56, null, v51, v20, vcc_lo
	v_add_co_u32 v59, vcc_lo, v52, v19
	v_add_co_ci_u32_e64 v60, null, v53, v20, vcc_lo
	global_load_ushort v4, v[55:56], off
	global_load_ushort v12, v[59:60], off
	s_waitcnt vmcnt(1)
	v_cvt_f32_f16_e32 v4, v4
	s_waitcnt vmcnt(0)
	v_cvt_f32_f16_e32 v12, v12
	s_or_b32 exec_lo, exec_lo, s1
	s_and_saveexec_b32 s1, s0
	s_cbranch_execz .LBB80_33
.LBB80_44:                              ;   in Loop: Header=BB80_3 Depth=1
	v_add_co_u32 v55, vcc_lo, v46, v19
	v_add_co_ci_u32_e64 v56, null, v47, v20, vcc_lo
	v_add_co_u32 v59, vcc_lo, v48, v19
	v_add_co_ci_u32_e64 v60, null, v49, v20, vcc_lo
	global_load_ushort v5, v[55:56], off
	global_load_ushort v13, v[59:60], off
	s_waitcnt vmcnt(1)
	v_cvt_f32_f16_e32 v5, v5
	s_waitcnt vmcnt(0)
	v_cvt_f32_f16_e32 v13, v13
	s_or_b32 exec_lo, exec_lo, s1
	s_and_saveexec_b32 s1, s0
	s_cbranch_execz .LBB80_34
.LBB80_45:                              ;   in Loop: Header=BB80_3 Depth=1
	v_add_co_u32 v55, vcc_lo, v42, v19
	v_add_co_ci_u32_e64 v56, null, v43, v20, vcc_lo
	v_add_co_u32 v59, vcc_lo, v44, v19
	v_add_co_ci_u32_e64 v60, null, v45, v20, vcc_lo
	global_load_ushort v6, v[55:56], off
	global_load_ushort v14, v[59:60], off
	s_waitcnt vmcnt(1)
	v_cvt_f32_f16_e32 v6, v6
	s_waitcnt vmcnt(0)
	v_cvt_f32_f16_e32 v14, v14
	s_or_b32 exec_lo, exec_lo, s1
	s_and_saveexec_b32 s1, s0
	s_cbranch_execz .LBB80_35
.LBB80_46:                              ;   in Loop: Header=BB80_3 Depth=1
	v_add_co_u32 v55, vcc_lo, v38, v19
	v_add_co_ci_u32_e64 v56, null, v39, v20, vcc_lo
	v_add_co_u32 v59, vcc_lo, v40, v19
	v_add_co_ci_u32_e64 v60, null, v41, v20, vcc_lo
	global_load_ushort v7, v[55:56], off
	global_load_ushort v15, v[59:60], off
	s_waitcnt vmcnt(1)
	v_cvt_f32_f16_e32 v7, v7
	s_waitcnt vmcnt(0)
	v_cvt_f32_f16_e32 v15, v15
	s_or_b32 exec_lo, exec_lo, s1
	s_and_saveexec_b32 s1, s0
	s_cbranch_execz .LBB80_36
.LBB80_47:                              ;   in Loop: Header=BB80_3 Depth=1
	v_add_co_u32 v55, vcc_lo, v34, v19
	v_add_co_ci_u32_e64 v56, null, v35, v20, vcc_lo
	v_add_co_u32 v59, vcc_lo, v36, v19
	v_add_co_ci_u32_e64 v60, null, v37, v20, vcc_lo
	global_load_ushort v8, v[55:56], off
	global_load_ushort v16, v[59:60], off
	s_waitcnt vmcnt(1)
	v_cvt_f32_f16_e32 v8, v8
	s_waitcnt vmcnt(0)
	v_cvt_f32_f16_e32 v16, v16
	s_or_b32 exec_lo, exec_lo, s1
	s_and_saveexec_b32 s1, s0
	s_cbranch_execz .LBB80_37
.LBB80_48:                              ;   in Loop: Header=BB80_3 Depth=1
	v_add_co_u32 v55, vcc_lo, v30, v19
	v_add_co_ci_u32_e64 v56, null, v31, v20, vcc_lo
	v_add_co_u32 v59, vcc_lo, v32, v19
	v_add_co_ci_u32_e64 v60, null, v33, v20, vcc_lo
	global_load_ushort v9, v[55:56], off
	global_load_ushort v17, v[59:60], off
	s_waitcnt vmcnt(1)
	v_cvt_f32_f16_e32 v9, v9
	s_waitcnt vmcnt(0)
	v_cvt_f32_f16_e32 v17, v17
	s_or_b32 exec_lo, exec_lo, s1
	s_and_saveexec_b32 s1, s0
	s_cbranch_execnz .LBB80_38
	s_branch .LBB80_39
.LBB80_49:
                                        ; implicit-def: $vgpr11
                                        ; implicit-def: $vgpr62
	s_branch .LBB80_51
.LBB80_50:
	s_cbranch_execnz .LBB80_83
.LBB80_51:
	v_mov_b32_e32 v11, 0
	v_mov_b32_e32 v62, 0
	s_andn2_b32 vcc_lo, exec_lo, s7
	s_cbranch_vccnz .LBB80_83
; %bb.52:
	s_load_dword s0, s[4:5], 0x44
	v_lshlrev_b32_e32 v49, 3, v1
	s_add_u32 s20, s4, 64
	s_addc_u32 s21, s5, 0
	v_lshlrev_b32_e32 v8, 4, v1
	v_mov_b32_e32 v84, 0
	v_add_co_u32 v4, s1, v49, s2
	v_add_co_ci_u32_e64 v5, null, 0, 0, s1
	v_mov_b32_e32 v83, 0
	v_mul_lo_u32 v6, s11, v4
	v_mad_u64_u32 v[2:3], null, s10, v4, 0
	v_mul_lo_u32 v7, s10, v5
	s_waitcnt lgkmcnt(0)
	s_lshl_b32 s1, s0, 7
	v_add3_u32 v3, v3, v7, v6
	s_mul_i32 s0, s11, s1
	s_mul_hi_u32 s7, s10, s1
	s_mul_i32 s22, s10, s1
	s_add_i32 s23, s7, s0
	v_lshlrev_b64 v[6:7], 1, v[2:3]
	s_lshl_b64 s[22:23], s[22:23], 1
	s_add_u32 s24, s2, 0x7f
	s_addc_u32 s25, 0, 0
	s_lshl_b64 s[26:27], s[2:3], 1
	v_add_co_u32 v8, s0, v8, s26
	v_add_co_ci_u32_e64 v9, null, 0, s27, s0
	v_add_co_u32 v10, vcc_lo, v8, 2
	v_add_co_ci_u32_e64 v11, null, 0, v9, vcc_lo
	v_add_co_u32 v50, vcc_lo, s12, v6
	v_add_co_ci_u32_e64 v51, null, s13, v7, vcc_lo
	;; [unrolled: 2-line block ×6, first 2 shown]
	v_add_co_u32 v41, vcc_lo, v8, 10
	v_mad_u64_u32 v[21:22], null, s10, v6, s[12:13]
	v_mul_lo_u32 v7, s10, v7
	v_mul_lo_u32 v15, s11, v6
	v_mad_u64_u32 v[35:36], null, s10, v6, s[14:15]
	v_add_co_ci_u32_e64 v29, null, 0, v9, vcc_lo
	v_add_co_u32 v43, vcc_lo, v8, 12
	v_add_co_ci_u32_e64 v31, null, 0, v9, vcc_lo
	v_add_co_u32 v8, vcc_lo, v8, 14
	v_mad_u64_u32 v[19:20], null, s10, v10, s[12:13]
	v_mul_lo_u32 v11, s10, v11
	v_mul_lo_u32 v12, s11, v10
	v_mad_u64_u32 v[33:34], null, s10, v10, s[14:15]
	v_add_co_ci_u32_e64 v9, null, 0, v9, vcc_lo
	v_add_co_u32 v6, vcc_lo, v4, 7
	v_add3_u32 v22, v15, v22, v7
	v_add3_u32 v36, v15, v36, v7
	v_add_co_ci_u32_e64 v7, null, 0, v5, vcc_lo
	v_mul_lo_u32 v57, s10, v9
	v_add_co_u32 v9, vcc_lo, v4, 6
	v_add3_u32 v20, v12, v20, v11
	v_add3_u32 v34, v12, v34, v11
	v_add_co_ci_u32_e64 v12, null, 0, v5, vcc_lo
	v_mul_lo_u32 v10, s11, v6
	v_mul_lo_u32 v11, s10, v7
	v_mad_u64_u32 v[6:7], null, s10, v6, 0
	v_mad_u64_u32 v[23:24], null, s10, v13, s[12:13]
	v_mul_lo_u32 v17, s11, v13
	v_mul_lo_u32 v55, s10, v31
	v_mad_u64_u32 v[31:32], null, s10, v8, s[12:13]
	v_mul_lo_u32 v58, s11, v8
	v_mad_u64_u32 v[37:38], null, s10, v13, s[14:15]
	v_mad_u64_u32 v[45:46], null, s10, v8, s[14:15]
	v_mul_lo_u32 v13, s11, v9
	v_mul_lo_u32 v12, s10, v12
	v_mad_u64_u32 v[8:9], null, s10, v9, 0
	v_add3_u32 v7, v7, v11, v10
	v_add_co_u32 v10, vcc_lo, v4, 5
	v_mad_u64_u32 v[27:28], null, s10, v41, s[12:13]
	v_mul_lo_u32 v48, s10, v29
	v_mul_lo_u32 v54, s11, v41
	v_mad_u64_u32 v[41:42], null, s10, v41, s[14:15]
	v_add3_u32 v9, v9, v12, v13
	v_add_co_ci_u32_e64 v11, null, 0, v5, vcc_lo
	v_mad_u64_u32 v[29:30], null, s10, v43, s[12:13]
	v_mul_lo_u32 v56, s11, v43
	v_mad_u64_u32 v[43:44], null, s10, v43, s[14:15]
	v_lshlrev_b64 v[6:7], 1, v[6:7]
	v_lshlrev_b64 v[8:9], 1, v[8:9]
	v_mul_lo_u32 v12, s11, v10
	v_mul_lo_u32 v13, s10, v11
	v_mad_u64_u32 v[10:11], null, s10, v10, 0
	v_add3_u32 v28, v54, v28, v48
	v_add3_u32 v42, v54, v42, v48
	v_add_co_u32 v54, vcc_lo, s12, v6
	v_add3_u32 v30, v56, v30, v55
	v_add3_u32 v44, v56, v44, v55
	v_add_co_ci_u32_e64 v55, null, s13, v7, vcc_lo
	v_add_co_u32 v56, vcc_lo, s14, v6
	v_add3_u32 v32, v58, v32, v57
	v_add3_u32 v46, v58, v46, v57
	v_add_co_ci_u32_e64 v57, null, s15, v7, vcc_lo
	v_add_co_u32 v58, vcc_lo, s12, v8
	v_add_co_ci_u32_e64 v59, null, s13, v9, vcc_lo
	v_add3_u32 v11, v11, v13, v12
	v_add_co_u32 v12, vcc_lo, v4, 4
	v_add_co_ci_u32_e64 v13, null, 0, v5, vcc_lo
	v_add_co_u32 v60, vcc_lo, s14, v8
	v_mul_lo_u32 v14, s10, v14
	v_add_co_ci_u32_e64 v61, null, s15, v9, vcc_lo
	v_lshlrev_b64 v[6:7], 1, v[10:11]
	v_mul_lo_u32 v10, s11, v12
	v_mul_lo_u32 v11, s10, v13
	v_mad_u64_u32 v[8:9], null, s10, v12, 0
	v_add_co_u32 v12, vcc_lo, v4, 3
	v_add_co_ci_u32_e64 v13, null, 0, v5, vcc_lo
	v_add_co_u32 v63, vcc_lo, s12, v6
	v_add3_u32 v24, v17, v24, v14
	v_add3_u32 v38, v17, v38, v14
	v_add_co_ci_u32_e64 v64, null, s13, v7, vcc_lo
	v_add3_u32 v9, v9, v11, v10
	v_mul_lo_u32 v14, s11, v12
	v_mad_u64_u32 v[10:11], null, s10, v12, 0
	v_add_co_u32 v12, vcc_lo, v4, 2
	v_mul_lo_u32 v13, s10, v13
	v_add_co_ci_u32_e64 v15, null, 0, v5, vcc_lo
	v_add_co_u32 v65, vcc_lo, s14, v6
	v_lshlrev_b64 v[4:5], 1, v[8:9]
	v_add_co_ci_u32_e64 v66, null, s15, v7, vcc_lo
	v_mul_lo_u32 v8, s11, v12
	v_mul_lo_u32 v9, s10, v15
	v_mad_u64_u32 v[6:7], null, s10, v12, 0
	v_add3_u32 v11, v11, v13, v14
	v_add_co_u32 v67, vcc_lo, s12, v4
	v_add_co_ci_u32_e64 v68, null, s13, v5, vcc_lo
	v_add_co_u32 v69, vcc_lo, s14, v4
	v_add_co_ci_u32_e64 v70, null, s15, v5, vcc_lo
	v_lshlrev_b64 v[4:5], 1, v[10:11]
	v_add3_u32 v7, v7, v9, v8
	v_add_co_u32 v2, vcc_lo, v2, s10
	v_add_co_ci_u32_e64 v3, null, s11, v3, vcc_lo
	v_lshlrev_b64 v[6:7], 1, v[6:7]
	v_add_co_u32 v71, vcc_lo, s12, v4
	v_add_co_ci_u32_e64 v72, null, s13, v5, vcc_lo
	v_add_co_u32 v73, vcc_lo, s14, v4
	v_lshlrev_b64 v[3:4], 1, v[2:3]
	v_mov_b32_e32 v2, 0
	v_mad_u64_u32 v[25:26], null, s10, v16, s[12:13]
	v_mul_lo_u32 v18, s10, v18
	v_mul_lo_u32 v47, s11, v16
	v_mad_u64_u32 v[39:40], null, s10, v16, s[14:15]
	v_add_co_ci_u32_e64 v74, null, s15, v5, vcc_lo
	v_add_co_u32 v75, vcc_lo, s12, v6
	v_add_co_ci_u32_e64 v76, null, s13, v7, vcc_lo
	v_add_co_u32 v77, vcc_lo, s14, v6
	v_add_nc_u32_e32 v5, s28, v0
	v_mov_b32_e32 v6, v2
	v_add_co_ci_u32_e64 v78, null, s15, v7, vcc_lo
	v_add_co_u32 v79, vcc_lo, s12, v3
	v_add_co_ci_u32_e64 v80, null, s13, v4, vcc_lo
	v_add_co_u32 v81, vcc_lo, s14, v3
	v_add3_u32 v26, v47, v26, v18
	v_add3_u32 v40, v47, v40, v18
	v_lshlrev_b64 v[47:48], 1, v[5:6]
	v_add_co_ci_u32_e64 v82, null, s15, v4, vcc_lo
.LBB80_53:                              ; =>This Inner Loop Header: Depth=1
	v_cmp_ge_i64_e64 s0, s[24:25], s[8:9]
	v_add_co_u32 v85, s7, v49, s24
	v_add_co_ci_u32_e64 v86, null, 0, s25, s7
                                        ; implicit-def: $vgpr62
                                        ; implicit-def: $vgpr11
	s_and_b32 vcc_lo, exec_lo, s0
	s_mov_b32 s0, -1
	s_cbranch_vccz .LBB80_75
; %bb.54:                               ;   in Loop: Header=BB80_53 Depth=1
	s_load_dword s0, s[20:21], 0xc
	v_mov_b32_e32 v87, 0
	v_mov_b32_e32 v62, 0
	s_waitcnt lgkmcnt(0)
	s_and_b32 s0, s0, 0xffff
	v_mad_u32_u24 v3, v1, s0, v0
	s_mov_b32 s0, exec_lo
	v_and_b32_e32 v3, 31, v3
	v_cmpx_gt_u32_e32 8, v3
	s_cbranch_execz .LBB80_58
; %bb.55:                               ;   in Loop: Header=BB80_53 Depth=1
	v_add_co_u32 v3, vcc_lo, v85, v3
	v_add_co_ci_u32_e64 v4, null, 0, v86, vcc_lo
	v_mov_b32_e32 v62, 0
	v_add_co_u32 v3, vcc_lo, 0xffffff81, v3
	v_add_co_ci_u32_e64 v4, null, -1, v4, vcc_lo
	v_mov_b32_e32 v87, 0
	s_mov_b32 s7, exec_lo
	v_cmpx_gt_i64_e64 s[8:9], v[3:4]
	s_cbranch_execz .LBB80_57
; %bb.56:                               ;   in Loop: Header=BB80_53 Depth=1
	v_lshlrev_b64 v[3:4], 2, v[3:4]
	v_add_co_u32 v5, vcc_lo, s16, v3
	v_add_co_ci_u32_e64 v6, null, s17, v4, vcc_lo
	v_add_co_u32 v3, vcc_lo, s18, v3
	v_add_co_ci_u32_e64 v4, null, s19, v4, vcc_lo
	global_load_dword v62, v[5:6], off
	global_load_dword v87, v[3:4], off
.LBB80_57:                              ;   in Loop: Header=BB80_53 Depth=1
	s_or_b32 exec_lo, exec_lo, s7
.LBB80_58:                              ;   in Loop: Header=BB80_53 Depth=1
	s_or_b32 exec_lo, exec_lo, s0
	v_add_co_u32 v10, vcc_lo, 0xffffff81, v85
	v_add_co_ci_u32_e64 v11, null, -1, v86, vcc_lo
	v_mov_b32_e32 v9, v2
	v_mov_b32_e32 v3, v2
	;; [unrolled: 1-line block ×7, first 2 shown]
	v_cmp_gt_i64_e32 vcc_lo, s[8:9], v[10:11]
	v_mov_b32_e32 v18, v9
	v_mov_b32_e32 v15, v6
	;; [unrolled: 1-line block ×16, first 2 shown]
	s_and_saveexec_b32 s0, vcc_lo
	s_cbranch_execz .LBB80_60
; %bb.59:                               ;   in Loop: Header=BB80_53 Depth=1
	v_add_co_u32 v3, vcc_lo, v50, v47
	v_add_co_ci_u32_e64 v4, null, v51, v48, vcc_lo
	v_add_co_u32 v5, vcc_lo, v52, v47
	v_add_co_ci_u32_e64 v6, null, v53, v48, vcc_lo
	global_load_ushort v3, v[3:4], off
	global_load_ushort v11, v[5:6], off
	v_mov_b32_e32 v4, v2
	v_mov_b32_e32 v5, v2
	;; [unrolled: 1-line block ×14, first 2 shown]
	s_waitcnt vmcnt(1)
	v_cvt_f32_f16_e32 v3, v3
	s_waitcnt vmcnt(0)
	v_cvt_f32_f16_e32 v11, v11
.LBB80_60:                              ;   in Loop: Header=BB80_53 Depth=1
	s_or_b32 exec_lo, exec_lo, s0
	v_add_co_u32 v88, vcc_lo, 0xffffff82, v85
	v_add_co_ci_u32_e64 v89, null, -1, v86, vcc_lo
	s_mov_b32 s0, exec_lo
	v_cmpx_gt_i64_e64 s[8:9], v[88:89]
	s_cbranch_execz .LBB80_62
; %bb.61:                               ;   in Loop: Header=BB80_53 Depth=1
	v_add_co_u32 v88, vcc_lo, v79, v47
	v_add_co_ci_u32_e64 v89, null, v80, v48, vcc_lo
	v_add_co_u32 v90, vcc_lo, v81, v47
	v_add_co_ci_u32_e64 v91, null, v82, v48, vcc_lo
	global_load_ushort v4, v[88:89], off
	global_load_ushort v12, v[90:91], off
	s_waitcnt vmcnt(1)
	v_cvt_f32_f16_e32 v4, v4
	s_waitcnt vmcnt(0)
	v_cvt_f32_f16_e32 v12, v12
.LBB80_62:                              ;   in Loop: Header=BB80_53 Depth=1
	s_or_b32 exec_lo, exec_lo, s0
	v_add_co_u32 v88, vcc_lo, 0xffffff83, v85
	v_add_co_ci_u32_e64 v89, null, -1, v86, vcc_lo
	s_mov_b32 s0, exec_lo
	v_cmpx_gt_i64_e64 s[8:9], v[88:89]
	s_cbranch_execz .LBB80_64
; %bb.63:                               ;   in Loop: Header=BB80_53 Depth=1
	v_add_co_u32 v88, vcc_lo, v75, v47
	v_add_co_ci_u32_e64 v89, null, v76, v48, vcc_lo
	v_add_co_u32 v90, vcc_lo, v77, v47
	v_add_co_ci_u32_e64 v91, null, v78, v48, vcc_lo
	global_load_ushort v5, v[88:89], off
	global_load_ushort v13, v[90:91], off
	s_waitcnt vmcnt(1)
	v_cvt_f32_f16_e32 v5, v5
	s_waitcnt vmcnt(0)
	v_cvt_f32_f16_e32 v13, v13
.LBB80_64:                              ;   in Loop: Header=BB80_53 Depth=1
	;; [unrolled: 18-line block ×7, first 2 shown]
	s_or_b32 exec_lo, exec_lo, s0
	s_waitcnt vmcnt(1)
	ds_bpermute_b32 v89, v2, v62
	s_waitcnt vmcnt(0)
	ds_bpermute_b32 v88, v2, v87
	s_mov_b32 s0, 0
	s_waitcnt lgkmcnt(1)
	v_sub_f32_e32 v11, v11, v89
	ds_bpermute_b32 v89, v2, v62 offset:4
	v_mul_f32_e32 v11, v3, v11
	v_add_f32_e32 v3, v84, v3
	s_waitcnt lgkmcnt(1)
	v_fma_f32 v11, v11, v88, v83
	ds_bpermute_b32 v88, v2, v87 offset:4
	v_add_f32_e32 v3, v4, v3
	v_add_f32_e32 v3, v5, v3
	s_waitcnt lgkmcnt(1)
	v_sub_f32_e32 v12, v12, v89
	v_add_f32_e32 v3, v6, v3
	v_mul_f32_e32 v12, v4, v12
	ds_bpermute_b32 v4, v2, v87 offset:8
	v_add_f32_e32 v3, v7, v3
	s_waitcnt lgkmcnt(1)
	v_fmac_f32_e32 v11, v12, v88
	ds_bpermute_b32 v12, v2, v62 offset:8
	v_add_f32_e32 v3, v8, v3
	v_add_f32_e32 v3, v9, v3
	s_waitcnt lgkmcnt(0)
	v_sub_f32_e32 v12, v13, v12
	v_mul_f32_e32 v12, v5, v12
	ds_bpermute_b32 v5, v2, v62 offset:12
	v_fmac_f32_e32 v11, v12, v4
	ds_bpermute_b32 v4, v2, v87 offset:12
	s_waitcnt lgkmcnt(1)
	v_sub_f32_e32 v5, v14, v5
	v_mul_f32_e32 v5, v6, v5
	s_waitcnt lgkmcnt(0)
	v_fmac_f32_e32 v11, v5, v4
	ds_bpermute_b32 v5, v2, v62 offset:16
	ds_bpermute_b32 v4, v2, v87 offset:16
	s_waitcnt lgkmcnt(1)
	v_sub_f32_e32 v5, v15, v5
	v_mul_f32_e32 v5, v7, v5
	s_waitcnt lgkmcnt(0)
	v_fmac_f32_e32 v11, v5, v4
	ds_bpermute_b32 v5, v2, v62 offset:20
	ds_bpermute_b32 v4, v2, v87 offset:20
	s_waitcnt lgkmcnt(1)
	v_sub_f32_e32 v5, v16, v5
	v_mul_f32_e32 v5, v8, v5
	s_waitcnt lgkmcnt(0)
	v_fmac_f32_e32 v11, v5, v4
	ds_bpermute_b32 v5, v2, v62 offset:24
	ds_bpermute_b32 v4, v2, v87 offset:24
	s_waitcnt lgkmcnt(1)
	v_sub_f32_e32 v5, v17, v5
	v_mul_f32_e32 v5, v9, v5
	s_waitcnt lgkmcnt(0)
	v_fmac_f32_e32 v11, v5, v4
	ds_bpermute_b32 v5, v2, v62 offset:28
	ds_bpermute_b32 v4, v2, v87 offset:28
	v_add_f32_e32 v62, v10, v3
	s_waitcnt lgkmcnt(1)
	v_sub_f32_e32 v5, v18, v5
	v_mul_f32_e32 v5, v10, v5
	s_waitcnt lgkmcnt(0)
	v_fmac_f32_e32 v11, v5, v4
.LBB80_75:                              ;   in Loop: Header=BB80_53 Depth=1
	s_and_b32 vcc_lo, exec_lo, s0
	s_cbranch_vccz .LBB80_81
; %bb.76:                               ;   in Loop: Header=BB80_53 Depth=1
	s_load_dword s0, s[20:21], 0x0
	v_mov_b32_e32 v6, 0
	v_mov_b32_e32 v5, 0
	s_waitcnt lgkmcnt(0)
	s_cmp_lt_u32 s6, s0
	s_cselect_b32 s0, 12, 18
	s_add_u32 s12, s20, s0
	s_addc_u32 s13, s21, 0
	s_mov_b32 s0, exec_lo
	global_load_ushort v3, v2, s[12:13]
	s_waitcnt vmcnt(0)
	v_mad_u32_u24 v3, v1, v3, v0
	v_and_b32_e32 v3, 31, v3
	v_cmpx_gt_u32_e32 8, v3
	s_cbranch_execz .LBB80_80
; %bb.77:                               ;   in Loop: Header=BB80_53 Depth=1
	v_add_co_u32 v3, vcc_lo, v85, v3
	v_add_co_ci_u32_e64 v4, null, 0, v86, vcc_lo
	v_mov_b32_e32 v5, 0
	v_add_co_u32 v3, vcc_lo, 0xffffff81, v3
	v_add_co_ci_u32_e64 v4, null, -1, v4, vcc_lo
	v_mov_b32_e32 v6, 0
	s_mov_b32 s7, exec_lo
	v_cmpx_gt_i64_e64 s[8:9], v[3:4]
	s_cbranch_execz .LBB80_79
; %bb.78:                               ;   in Loop: Header=BB80_53 Depth=1
	v_lshlrev_b64 v[3:4], 2, v[3:4]
	v_add_co_u32 v5, vcc_lo, s16, v3
	v_add_co_ci_u32_e64 v6, null, s17, v4, vcc_lo
	v_add_co_u32 v3, vcc_lo, s18, v3
	v_add_co_ci_u32_e64 v4, null, s19, v4, vcc_lo
	global_load_dword v5, v[5:6], off
	global_load_dword v6, v[3:4], off
.LBB80_79:                              ;   in Loop: Header=BB80_53 Depth=1
	s_or_b32 exec_lo, exec_lo, s7
.LBB80_80:                              ;   in Loop: Header=BB80_53 Depth=1
	s_or_b32 exec_lo, exec_lo, s0
	v_add_co_u32 v3, vcc_lo, v50, v47
	v_add_co_ci_u32_e64 v4, null, v51, v48, vcc_lo
	v_add_co_u32 v7, vcc_lo, v52, v47
	v_add_co_ci_u32_e64 v8, null, v53, v48, vcc_lo
	global_load_ushort v15, v[3:4], off
	v_add_co_u32 v3, vcc_lo, v19, v47
	v_add_co_ci_u32_e64 v4, null, v20, v48, vcc_lo
	v_add_co_u32 v9, vcc_lo, v33, v47
	v_add_co_ci_u32_e64 v10, null, v34, v48, vcc_lo
	;; [unrolled: 2-line block ×4, first 2 shown]
	global_load_ushort v16, v[7:8], off
	global_load_ushort v17, v[3:4], off
	;; [unrolled: 1-line block ×5, first 2 shown]
	v_add_co_u32 v3, vcc_lo, v23, v47
	v_add_co_ci_u32_e64 v4, null, v24, v48, vcc_lo
	v_add_co_u32 v7, vcc_lo, v37, v47
	v_add_co_ci_u32_e64 v8, null, v38, v48, vcc_lo
	;; [unrolled: 2-line block ×5, first 2 shown]
	global_load_ushort v86, v[7:8], off
	global_load_ushort v87, v[3:4], off
	;; [unrolled: 1-line block ×5, first 2 shown]
	v_add_co_u32 v3, vcc_lo, v41, v47
	v_add_co_ci_u32_e64 v4, null, v42, v48, vcc_lo
	v_add_co_u32 v7, vcc_lo, v29, v47
	v_add_co_ci_u32_e64 v8, null, v30, v48, vcc_lo
	;; [unrolled: 2-line block ×3, first 2 shown]
	global_load_ushort v13, v[3:4], off
	global_load_ushort v14, v[7:8], off
	;; [unrolled: 1-line block ×3, first 2 shown]
	v_add_co_u32 v7, s0, v45, v47
	v_add_co_u32 v3, vcc_lo, v31, v47
	v_add_co_ci_u32_e64 v8, null, v46, v48, s0
	v_add_co_ci_u32_e64 v4, null, v32, v48, vcc_lo
	global_load_ushort v7, v[7:8], off
	global_load_ushort v3, v[3:4], off
	s_waitcnt vmcnt(17)
	ds_bpermute_b32 v4, v2, v5
	s_waitcnt vmcnt(16)
	ds_bpermute_b32 v8, v2, v6
	ds_bpermute_b32 v89, v2, v5 offset:8
	ds_bpermute_b32 v90, v2, v6 offset:4
	;; [unrolled: 1-line block ×4, first 2 shown]
	s_waitcnt vmcnt(15)
	v_cvt_f32_f16_e32 v15, v15
	s_waitcnt vmcnt(14)
	v_cvt_f32_f16_e32 v10, v16
	ds_bpermute_b32 v16, v2, v5 offset:4
	s_waitcnt vmcnt(12)
	v_cvt_f32_f16_e32 v18, v18
	v_cvt_f32_f16_e32 v17, v17
	s_waitcnt vmcnt(10)
	v_cvt_f32_f16_e32 v85, v85
	s_waitcnt lgkmcnt(6)
	v_sub_f32_e32 v4, v10, v4
	ds_bpermute_b32 v10, v2, v5 offset:12
	v_cvt_f32_f16_e32 v62, v62
	s_waitcnt lgkmcnt(5)
	v_sub_f32_e32 v85, v85, v89
	v_mul_f32_e32 v4, v4, v15
	v_add_f32_e32 v15, v84, v15
	ds_bpermute_b32 v84, v2, v6 offset:20
	ds_bpermute_b32 v89, v2, v6 offset:24
	v_mul_f32_e32 v85, v85, v62
	v_fmac_f32_e32 v83, v4, v8
	ds_bpermute_b32 v8, v2, v5 offset:16
	ds_bpermute_b32 v4, v2, v6 offset:16
	;; [unrolled: 1-line block ×3, first 2 shown]
	s_waitcnt vmcnt(9)
	v_cvt_f32_f16_e32 v86, v86
	s_waitcnt lgkmcnt(6)
	v_sub_f32_e32 v16, v18, v16
	ds_bpermute_b32 v18, v2, v5 offset:20
	s_waitcnt vmcnt(8)
	v_cvt_f32_f16_e32 v87, v87
	s_waitcnt vmcnt(6)
	v_cvt_f32_f16_e32 v11, v11
	s_waitcnt lgkmcnt(6)
	v_sub_f32_e32 v10, v86, v10
	ds_bpermute_b32 v86, v2, v5 offset:24
	v_mul_f32_e32 v16, v16, v17
	ds_bpermute_b32 v5, v2, v5 offset:28
	v_cvt_f32_f16_e32 v88, v88
	v_mul_f32_e32 v10, v10, v87
	s_waitcnt vmcnt(5)
	v_cvt_f32_f16_e32 v12, v12
	v_fmac_f32_e32 v83, v16, v90
	s_waitcnt lgkmcnt(5)
	v_sub_f32_e32 v8, v11, v8
	s_waitcnt vmcnt(4)
	v_cvt_f32_f16_e32 v13, v13
	v_add_f32_e32 v11, v15, v17
	v_fmac_f32_e32 v83, v85, v91
	s_waitcnt vmcnt(2)
	v_cvt_f32_f16_e32 v9, v9
	v_mul_f32_e32 v8, v8, v88
	s_waitcnt lgkmcnt(2)
	v_sub_f32_e32 v13, v13, v18
	v_add_f32_e32 v11, v11, v62
	v_fmac_f32_e32 v83, v10, v92
	v_cvt_f32_f16_e32 v10, v14
	s_waitcnt lgkmcnt(1)
	v_sub_f32_e32 v9, v9, v86
	v_mul_f32_e32 v13, v13, v12
	v_add_f32_e32 v11, v11, v87
	v_fmac_f32_e32 v83, v8, v4
	s_waitcnt vmcnt(1)
	v_cvt_f32_f16_e32 v4, v7
	s_waitcnt vmcnt(0)
	v_cvt_f32_f16_e32 v3, v3
	v_mul_f32_e32 v7, v9, v10
	v_add_f32_e32 v8, v11, v88
	v_fmac_f32_e32 v83, v13, v84
	s_waitcnt lgkmcnt(0)
	v_sub_f32_e32 v4, v4, v5
	v_add_f32_e32 v5, v8, v12
	v_fmac_f32_e32 v83, v7, v89
	v_mul_f32_e32 v4, v4, v3
	v_add_f32_e32 v5, v5, v10
	v_fmac_f32_e32 v83, v4, v6
	v_add_f32_e32 v62, v5, v3
	v_mov_b32_e32 v11, v83
.LBB80_81:                              ;   in Loop: Header=BB80_53 Depth=1
	v_add_co_u32 v50, vcc_lo, v50, s22
	v_add_co_ci_u32_e64 v51, null, s23, v51, vcc_lo
	v_add_co_u32 v52, vcc_lo, v52, s22
	v_add_co_ci_u32_e64 v53, null, s23, v53, vcc_lo
	;; [unrolled: 2-line block ×26, first 2 shown]
	v_add_co_u32 v75, vcc_lo, v75, s22
	s_add_u32 s2, s2, s1
	v_add_co_ci_u32_e64 v76, null, s23, v76, vcc_lo
	v_add_co_u32 v77, vcc_lo, v77, s22
	s_addc_u32 s3, s3, 0
	v_add_co_ci_u32_e64 v78, null, s23, v78, vcc_lo
	v_add_co_u32 v79, vcc_lo, v79, s22
	v_cmp_ge_i64_e64 s0, s[2:3], s[8:9]
	v_add_co_ci_u32_e64 v80, null, s23, v80, vcc_lo
	v_add_co_u32 v81, vcc_lo, v81, s22
	v_add_co_ci_u32_e64 v82, null, s23, v82, vcc_lo
	s_add_u32 s24, s24, s1
	s_addc_u32 s25, s25, 0
	s_and_b32 vcc_lo, exec_lo, s0
	s_cbranch_vccnz .LBB80_83
; %bb.82:                               ;   in Loop: Header=BB80_53 Depth=1
	v_mov_b32_e32 v84, v62
	v_mov_b32_e32 v83, v11
	s_branch .LBB80_53
.LBB80_83:
	v_mad_u32_u24 v2, 0x41, v1, v0
	s_mov_b32 s0, exec_lo
	v_lshl_add_u32 v3, v2, 2, 0
	v_sub_nc_u32_e32 v4, v2, v1
	ds_write_b32 v3, v11
	ds_write_b32 v3, v62 offset:4160
	s_waitcnt lgkmcnt(0)
	s_barrier
	buffer_gl0_inv
	v_cmpx_gt_u32_e32 0x800, v4
	s_cbranch_execz .LBB80_99
; %bb.84:
	s_load_dwordx4 s[12:15], s[4:5], 0x30
	v_and_b32_e32 v1, 31, v0
	v_lshrrev_b32_e32 v3, 5, v4
                                        ; implicit-def: $vgpr2
	v_cmp_gt_u32_e64 s0, 16, v1
	v_mul_u32_u24_e32 v5, 0x41, v1
                                        ; implicit-def: $vgpr1
	s_and_saveexec_b32 s1, s0
	s_cbranch_execz .LBB80_86
; %bb.85:
	v_add_nc_u32_e32 v1, v3, v5
	v_lshl_add_u32 v1, v1, 2, 0
	ds_read_b32 v2, v1
	ds_read_b32 v1, v1 offset:4160
.LBB80_86:
	s_or_b32 exec_lo, exec_lo, s1
	v_mbcnt_lo_u32_b32 v9, -1, 0
	s_mov_b32 s7, 0
	v_cmp_eq_u32_e64 s1, 0, v0
	s_lshl_b64 s[2:3], s[6:7], 6
	s_waitcnt lgkmcnt(0)
	s_cmp_lg_u64 s[12:13], 0
	v_xor_b32_e32 v6, 8, v9
	v_xor_b32_e32 v7, 4, v9
	;; [unrolled: 1-line block ×3, first 2 shown]
	s_cselect_b32 s5, -1, 0
	s_cmp_lg_u64 s[14:15], 0
	v_cmp_gt_i32_e32 vcc_lo, 32, v6
	s_cselect_b32 s4, -1, 0
	v_cndmask_b32_e32 v6, v9, v6, vcc_lo
	v_cmp_gt_i32_e32 vcc_lo, 32, v7
	v_lshlrev_b32_e32 v6, 2, v6
	v_cndmask_b32_e32 v7, v9, v7, vcc_lo
	ds_bpermute_b32 v8, v6, v2
	ds_bpermute_b32 v10, v6, v1
	v_lshlrev_b32_e32 v7, 2, v7
	s_waitcnt lgkmcnt(1)
	v_add_f32_e32 v2, v2, v8
	s_waitcnt lgkmcnt(0)
	v_add_f32_e32 v1, v1, v10
	v_xor_b32_e32 v8, 2, v9
	ds_bpermute_b32 v10, v7, v2
	ds_bpermute_b32 v11, v7, v1
	v_cmp_gt_i32_e32 vcc_lo, 32, v8
	v_cndmask_b32_e32 v8, v9, v8, vcc_lo
	v_cmp_gt_i32_e32 vcc_lo, 32, v12
	v_lshlrev_b32_e32 v8, 2, v8
	v_cndmask_b32_e32 v9, v9, v12, vcc_lo
	v_lshlrev_b32_e32 v9, 2, v9
	s_waitcnt lgkmcnt(1)
	v_add_f32_e32 v2, v2, v10
	s_waitcnt lgkmcnt(0)
	v_add_f32_e32 v1, v1, v11
	ds_bpermute_b32 v10, v8, v2
	ds_bpermute_b32 v11, v8, v1
	s_waitcnt lgkmcnt(1)
	v_add_f32_e32 v10, v2, v10
	s_waitcnt lgkmcnt(0)
	v_add_f32_e32 v11, v1, v11
	v_or_b32_e32 v1, s2, v3
	v_mov_b32_e32 v2, s3
	ds_bpermute_b32 v12, v9, v10
	ds_bpermute_b32 v13, v9, v11
	v_cmp_gt_i64_e32 vcc_lo, s[10:11], v[1:2]
	s_and_b32 s7, s1, vcc_lo
	s_waitcnt lgkmcnt(1)
	v_add_f32_e32 v10, v10, v12
	s_waitcnt lgkmcnt(0)
	v_add_f32_e32 v11, v11, v13
	s_and_saveexec_b32 s6, s7
	s_cbranch_execz .LBB80_91
; %bb.87:
	v_lshlrev_b64 v[0:1], 1, v[1:2]
	s_andn2_b32 vcc_lo, exec_lo, s5
	s_cbranch_vccnz .LBB80_89
; %bb.88:
	v_add_co_u32 v12, vcc_lo, s12, v0
	v_add_co_ci_u32_e64 v13, null, s13, v1, vcc_lo
	v_cvt_f16_f32_e32 v2, v10
	global_store_short v[12:13], v2, off
.LBB80_89:
	s_andn2_b32 vcc_lo, exec_lo, s4
	s_cbranch_vccnz .LBB80_91
; %bb.90:
	v_add_co_u32 v0, vcc_lo, s14, v0
	v_add_co_ci_u32_e64 v1, null, s15, v1, vcc_lo
	v_cvt_f16_f32_e32 v2, v11
	global_store_short v[0:1], v2, off
.LBB80_91:
	s_or_b32 exec_lo, exec_lo, s6
	v_cmp_gt_u32_e32 vcc_lo, 0x400, v4
	s_and_b32 exec_lo, exec_lo, vcc_lo
	s_cbranch_execz .LBB80_99
; %bb.92:
	s_and_saveexec_b32 s6, s0
	s_cbranch_execz .LBB80_94
; %bb.93:
	v_add_nc_u32_e32 v0, v3, v5
	v_lshl_add_u32 v0, v0, 2, 0
	ds_read_b32 v10, v0 offset:128
	ds_read_b32 v11, v0 offset:4288
.LBB80_94:
	s_or_b32 exec_lo, exec_lo, s6
	s_waitcnt lgkmcnt(1)
	ds_bpermute_b32 v0, v6, v10
	s_waitcnt lgkmcnt(1)
	ds_bpermute_b32 v1, v6, v11
	v_add_nc_u32_e32 v5, 32, v3
	v_mov_b32_e32 v6, s3
	v_or_b32_e32 v5, s2, v5
	v_cmp_gt_i64_e32 vcc_lo, s[10:11], v[5:6]
	s_and_b32 s0, s1, vcc_lo
	s_waitcnt lgkmcnt(1)
	v_add_f32_e32 v0, v10, v0
	s_waitcnt lgkmcnt(0)
	v_add_f32_e32 v1, v11, v1
	ds_bpermute_b32 v2, v7, v0
	ds_bpermute_b32 v4, v7, v1
	s_waitcnt lgkmcnt(1)
	v_add_f32_e32 v0, v0, v2
	s_waitcnt lgkmcnt(0)
	v_add_f32_e32 v1, v1, v4
	ds_bpermute_b32 v2, v8, v0
	ds_bpermute_b32 v4, v8, v1
	;; [unrolled: 6-line block ×3, first 2 shown]
	s_and_b32 exec_lo, exec_lo, s0
	s_cbranch_execz .LBB80_99
; %bb.95:
	s_andn2_b32 vcc_lo, exec_lo, s5
	s_cbranch_vccnz .LBB80_97
; %bb.96:
	v_add_co_u32 v5, s0, s2, v3
	v_add_co_ci_u32_e64 v6, null, s3, 0, s0
	s_waitcnt lgkmcnt(1)
	v_add_f32_e32 v2, v2, v4
	v_lshlrev_b64 v[5:6], 1, v[5:6]
	v_cvt_f16_f32_e32 v2, v2
	v_add_co_u32 v4, vcc_lo, s12, v5
	v_add_co_ci_u32_e64 v5, null, s13, v6, vcc_lo
	global_store_short v[4:5], v2, off offset:64
.LBB80_97:
	s_andn2_b32 vcc_lo, exec_lo, s4
	s_cbranch_vccnz .LBB80_99
; %bb.98:
	v_add_co_u32 v2, s0, s2, v3
	v_add_co_ci_u32_e64 v3, null, s3, 0, s0
	s_waitcnt lgkmcnt(0)
	v_add_f32_e32 v4, v0, v1
	v_lshlrev_b64 v[2:3], 1, v[2:3]
	v_add_co_u32 v0, vcc_lo, s14, v2
	v_add_co_ci_u32_e64 v1, null, s15, v3, vcc_lo
	v_cvt_f16_f32_e32 v2, v4
	global_store_short v[0:1], v2, off offset:64
.LBB80_99:
	s_endpgm
	.section	.rodata,"a",@progbits
	.p2align	6, 0x0
	.amdhsa_kernel _ZN2at6native12_GLOBAL__N_135GammaBetaBackwardCUDAKernelTemplateIN3c104HalfEfLj64ELj16ELj128ELb0ELb0ELb0EEEvllPKT_S7_PKT0_SA_PS5_SB_
		.amdhsa_group_segment_fixed_size 0
		.amdhsa_private_segment_fixed_size 0
		.amdhsa_kernarg_size 320
		.amdhsa_user_sgpr_count 6
		.amdhsa_user_sgpr_private_segment_buffer 1
		.amdhsa_user_sgpr_dispatch_ptr 0
		.amdhsa_user_sgpr_queue_ptr 0
		.amdhsa_user_sgpr_kernarg_segment_ptr 1
		.amdhsa_user_sgpr_dispatch_id 0
		.amdhsa_user_sgpr_flat_scratch_init 0
		.amdhsa_user_sgpr_private_segment_size 0
		.amdhsa_wavefront_size32 1
		.amdhsa_uses_dynamic_stack 0
		.amdhsa_system_sgpr_private_segment_wavefront_offset 0
		.amdhsa_system_sgpr_workgroup_id_x 1
		.amdhsa_system_sgpr_workgroup_id_y 1
		.amdhsa_system_sgpr_workgroup_id_z 0
		.amdhsa_system_sgpr_workgroup_info 0
		.amdhsa_system_vgpr_workitem_id 1
		.amdhsa_next_free_vgpr 93
		.amdhsa_next_free_sgpr 32
		.amdhsa_reserve_vcc 1
		.amdhsa_reserve_flat_scratch 0
		.amdhsa_float_round_mode_32 0
		.amdhsa_float_round_mode_16_64 0
		.amdhsa_float_denorm_mode_32 3
		.amdhsa_float_denorm_mode_16_64 3
		.amdhsa_dx10_clamp 1
		.amdhsa_ieee_mode 1
		.amdhsa_fp16_overflow 0
		.amdhsa_workgroup_processor_mode 1
		.amdhsa_memory_ordered 1
		.amdhsa_forward_progress 1
		.amdhsa_shared_vgpr_count 0
		.amdhsa_exception_fp_ieee_invalid_op 0
		.amdhsa_exception_fp_denorm_src 0
		.amdhsa_exception_fp_ieee_div_zero 0
		.amdhsa_exception_fp_ieee_overflow 0
		.amdhsa_exception_fp_ieee_underflow 0
		.amdhsa_exception_fp_ieee_inexact 0
		.amdhsa_exception_int_div_zero 0
	.end_amdhsa_kernel
	.section	.text._ZN2at6native12_GLOBAL__N_135GammaBetaBackwardCUDAKernelTemplateIN3c104HalfEfLj64ELj16ELj128ELb0ELb0ELb0EEEvllPKT_S7_PKT0_SA_PS5_SB_,"axG",@progbits,_ZN2at6native12_GLOBAL__N_135GammaBetaBackwardCUDAKernelTemplateIN3c104HalfEfLj64ELj16ELj128ELb0ELb0ELb0EEEvllPKT_S7_PKT0_SA_PS5_SB_,comdat
.Lfunc_end80:
	.size	_ZN2at6native12_GLOBAL__N_135GammaBetaBackwardCUDAKernelTemplateIN3c104HalfEfLj64ELj16ELj128ELb0ELb0ELb0EEEvllPKT_S7_PKT0_SA_PS5_SB_, .Lfunc_end80-_ZN2at6native12_GLOBAL__N_135GammaBetaBackwardCUDAKernelTemplateIN3c104HalfEfLj64ELj16ELj128ELb0ELb0ELb0EEEvllPKT_S7_PKT0_SA_PS5_SB_
                                        ; -- End function
	.set _ZN2at6native12_GLOBAL__N_135GammaBetaBackwardCUDAKernelTemplateIN3c104HalfEfLj64ELj16ELj128ELb0ELb0ELb0EEEvllPKT_S7_PKT0_SA_PS5_SB_.num_vgpr, 93
	.set _ZN2at6native12_GLOBAL__N_135GammaBetaBackwardCUDAKernelTemplateIN3c104HalfEfLj64ELj16ELj128ELb0ELb0ELb0EEEvllPKT_S7_PKT0_SA_PS5_SB_.num_agpr, 0
	.set _ZN2at6native12_GLOBAL__N_135GammaBetaBackwardCUDAKernelTemplateIN3c104HalfEfLj64ELj16ELj128ELb0ELb0ELb0EEEvllPKT_S7_PKT0_SA_PS5_SB_.numbered_sgpr, 32
	.set _ZN2at6native12_GLOBAL__N_135GammaBetaBackwardCUDAKernelTemplateIN3c104HalfEfLj64ELj16ELj128ELb0ELb0ELb0EEEvllPKT_S7_PKT0_SA_PS5_SB_.num_named_barrier, 0
	.set _ZN2at6native12_GLOBAL__N_135GammaBetaBackwardCUDAKernelTemplateIN3c104HalfEfLj64ELj16ELj128ELb0ELb0ELb0EEEvllPKT_S7_PKT0_SA_PS5_SB_.private_seg_size, 0
	.set _ZN2at6native12_GLOBAL__N_135GammaBetaBackwardCUDAKernelTemplateIN3c104HalfEfLj64ELj16ELj128ELb0ELb0ELb0EEEvllPKT_S7_PKT0_SA_PS5_SB_.uses_vcc, 1
	.set _ZN2at6native12_GLOBAL__N_135GammaBetaBackwardCUDAKernelTemplateIN3c104HalfEfLj64ELj16ELj128ELb0ELb0ELb0EEEvllPKT_S7_PKT0_SA_PS5_SB_.uses_flat_scratch, 0
	.set _ZN2at6native12_GLOBAL__N_135GammaBetaBackwardCUDAKernelTemplateIN3c104HalfEfLj64ELj16ELj128ELb0ELb0ELb0EEEvllPKT_S7_PKT0_SA_PS5_SB_.has_dyn_sized_stack, 0
	.set _ZN2at6native12_GLOBAL__N_135GammaBetaBackwardCUDAKernelTemplateIN3c104HalfEfLj64ELj16ELj128ELb0ELb0ELb0EEEvllPKT_S7_PKT0_SA_PS5_SB_.has_recursion, 0
	.set _ZN2at6native12_GLOBAL__N_135GammaBetaBackwardCUDAKernelTemplateIN3c104HalfEfLj64ELj16ELj128ELb0ELb0ELb0EEEvllPKT_S7_PKT0_SA_PS5_SB_.has_indirect_call, 0
	.section	.AMDGPU.csdata,"",@progbits
; Kernel info:
; codeLenInByte = 9152
; TotalNumSgprs: 34
; NumVgprs: 93
; ScratchSize: 0
; MemoryBound: 0
; FloatMode: 240
; IeeeMode: 1
; LDSByteSize: 0 bytes/workgroup (compile time only)
; SGPRBlocks: 0
; VGPRBlocks: 11
; NumSGPRsForWavesPerEU: 34
; NumVGPRsForWavesPerEU: 93
; Occupancy: 10
; WaveLimiterHint : 0
; COMPUTE_PGM_RSRC2:SCRATCH_EN: 0
; COMPUTE_PGM_RSRC2:USER_SGPR: 6
; COMPUTE_PGM_RSRC2:TRAP_HANDLER: 0
; COMPUTE_PGM_RSRC2:TGID_X_EN: 1
; COMPUTE_PGM_RSRC2:TGID_Y_EN: 1
; COMPUTE_PGM_RSRC2:TGID_Z_EN: 0
; COMPUTE_PGM_RSRC2:TIDIG_COMP_CNT: 1
	.section	.text._ZN2at6native12_GLOBAL__N_135GammaBetaBackwardCUDAKernelTemplateIN3c104HalfEfLj64ELj16ELj256ELb0ELb1ELb0EEEvllPKT_S7_PKT0_SA_PS5_SB_,"axG",@progbits,_ZN2at6native12_GLOBAL__N_135GammaBetaBackwardCUDAKernelTemplateIN3c104HalfEfLj64ELj16ELj256ELb0ELb1ELb0EEEvllPKT_S7_PKT0_SA_PS5_SB_,comdat
	.globl	_ZN2at6native12_GLOBAL__N_135GammaBetaBackwardCUDAKernelTemplateIN3c104HalfEfLj64ELj16ELj256ELb0ELb1ELb0EEEvllPKT_S7_PKT0_SA_PS5_SB_ ; -- Begin function _ZN2at6native12_GLOBAL__N_135GammaBetaBackwardCUDAKernelTemplateIN3c104HalfEfLj64ELj16ELj256ELb0ELb1ELb0EEEvllPKT_S7_PKT0_SA_PS5_SB_
	.p2align	8
	.type	_ZN2at6native12_GLOBAL__N_135GammaBetaBackwardCUDAKernelTemplateIN3c104HalfEfLj64ELj16ELj256ELb0ELb1ELb0EEEvllPKT_S7_PKT0_SA_PS5_SB_,@function
_ZN2at6native12_GLOBAL__N_135GammaBetaBackwardCUDAKernelTemplateIN3c104HalfEfLj64ELj16ELj256ELb0ELb1ELb0EEEvllPKT_S7_PKT0_SA_PS5_SB_: ; @_ZN2at6native12_GLOBAL__N_135GammaBetaBackwardCUDAKernelTemplateIN3c104HalfEfLj64ELj16ELj256ELb0ELb1ELb0EEEvllPKT_S7_PKT0_SA_PS5_SB_
; %bb.0:
	s_load_dwordx4 s[20:23], s[4:5], 0x0
	s_lshl_b32 s2, s7, 8
	s_mov_b32 s3, 0
	s_waitcnt lgkmcnt(0)
	v_cmp_gt_i64_e64 s0, s[20:21], s[2:3]
	s_and_b32 vcc_lo, exec_lo, s0
	s_cbranch_vccnz .LBB81_2
; %bb.1:
	s_mov_b32 s0, s3
	s_branch .LBB81_3
.LBB81_2:
	s_mov_b32 s0, -1
.LBB81_3:
	s_load_dwordx4 s[16:19], s[4:5], 0x30
	v_mov_b32_e32 v2, 0
	v_mov_b32_e32 v27, 0
	s_andn2_b32 vcc_lo, exec_lo, s0
	s_cbranch_vccnz .LBB81_10
; %bb.4:
	s_clause 0x2
	s_load_dword s0, s[4:5], 0x4c
	s_load_dword s1, s[4:5], 0x44
	s_load_dwordx8 s[8:15], s[4:5], 0x10
	v_lshlrev_b32_e32 v4, 4, v1
	v_mov_b32_e32 v3, 0
	v_lshl_add_u32 v2, s6, 6, v0
	v_mov_b32_e32 v8, 16
	v_mov_b32_e32 v9, 4
	v_add_co_u32 v4, s4, v4, s2
	v_add_co_ci_u32_e64 v5, null, 0, 0, s4
	v_lshlrev_b64 v[25:26], 1, v[2:3]
	v_mul_lo_u32 v22, s23, v4
	v_mad_u64_u32 v[6:7], null, s22, v4, 0
	v_mul_lo_u32 v23, s22, v5
	v_mov_b32_e32 v10, 8
	v_mov_b32_e32 v11, 12
	;; [unrolled: 1-line block ×3, first 2 shown]
	s_waitcnt lgkmcnt(0)
	s_and_b32 s0, s0, 0xffff
	s_lshl_b32 s4, s1, 8
	v_mad_u32_u24 v18, v1, s0, v0
	s_mul_i32 s1, s23, s4
	v_add3_u32 v7, v7, v23, v22
	s_mul_hi_u32 s7, s22, s4
	v_mov_b32_e32 v13, 24
	v_and_b32_e32 v24, 31, v18
	v_mov_b32_e32 v14, 28
	v_mov_b32_e32 v15, 32
	;; [unrolled: 1-line block ×4, first 2 shown]
	v_cmp_gt_u32_e64 s0, 16, v24
	v_add_co_u32 v4, vcc_lo, v4, v24
	v_lshlrev_b64 v[23:24], 1, v[6:7]
	v_add_co_ci_u32_e64 v5, null, 0, v5, vcc_lo
	v_mov_b32_e32 v18, 44
	v_mov_b32_e32 v19, 48
	;; [unrolled: 1-line block ×3, first 2 shown]
	v_add_co_u32 v23, vcc_lo, v23, v25
	v_lshlrev_b64 v[6:7], 2, v[4:5]
	v_mov_b32_e32 v21, 56
	v_mov_b32_e32 v22, 60
	v_add_co_ci_u32_e64 v24, null, v24, v26, vcc_lo
	v_mov_b32_e32 v27, 0
	v_mov_b32_e32 v2, 0
	s_mov_b32 s5, 0
	s_add_i32 s27, s7, s1
	s_mul_i32 s26, s22, s4
	s_lshl_b64 s[24:25], s[4:5], 2
	s_lshl_b64 s[26:27], s[26:27], 1
	;; [unrolled: 1-line block ×3, first 2 shown]
	s_branch .LBB81_7
.LBB81_5:                               ;   in Loop: Header=BB81_7 Depth=1
	s_or_b32 exec_lo, exec_lo, s5
.LBB81_6:                               ;   in Loop: Header=BB81_7 Depth=1
	s_or_b32 exec_lo, exec_lo, s1
	v_add_co_u32 v28, vcc_lo, s10, v23
	v_add_co_ci_u32_e64 v29, null, s11, v24, vcc_lo
	v_add_co_u32 v30, vcc_lo, s8, v23
	v_add_co_ci_u32_e64 v31, null, s9, v24, vcc_lo
	global_load_ushort v42, v[28:29], off
	s_add_u32 s2, s2, s4
	s_addc_u32 s3, s3, 0
	global_load_ushort v43, v[30:31], off
	v_add_co_u32 v30, vcc_lo, v30, s22
	v_add_co_ci_u32_e64 v31, null, s23, v31, vcc_lo
	v_add_co_u32 v28, vcc_lo, v28, s22
	v_add_co_ci_u32_e64 v29, null, s23, v29, vcc_lo
	global_load_ushort v44, v[30:31], off
	global_load_ushort v45, v[28:29], off
	v_add_co_u32 v28, vcc_lo, v28, s22
	v_add_co_ci_u32_e64 v29, null, s23, v29, vcc_lo
	v_add_co_u32 v30, vcc_lo, v30, s22
	v_add_co_ci_u32_e64 v31, null, s23, v31, vcc_lo
	global_load_ushort v46, v[28:29], off
	v_add_co_u32 v32, vcc_lo, v30, s22
	v_add_co_ci_u32_e64 v33, null, s23, v31, vcc_lo
	v_add_co_u32 v28, vcc_lo, v28, s22
	v_add_co_ci_u32_e64 v29, null, s23, v29, vcc_lo
	s_clause 0x1
	global_load_ushort v47, v[30:31], off
	global_load_ushort v48, v[32:33], off
	global_load_ushort v49, v[28:29], off
	v_add_co_u32 v30, vcc_lo, v32, s22
	v_add_co_ci_u32_e64 v31, null, s23, v33, vcc_lo
	v_add_co_u32 v28, vcc_lo, v28, s22
	v_add_co_ci_u32_e64 v29, null, s23, v29, vcc_lo
	global_load_ushort v50, v[30:31], off
	v_add_co_u32 v30, vcc_lo, v30, s22
	v_add_co_ci_u32_e64 v31, null, s23, v31, vcc_lo
	v_add_co_u32 v32, vcc_lo, v28, s22
	v_add_co_ci_u32_e64 v33, null, s23, v29, vcc_lo
	v_add_co_u32 v34, vcc_lo, v30, s22
	v_add_co_ci_u32_e64 v35, null, s23, v31, vcc_lo
	v_add_co_u32 v36, vcc_lo, v32, s22
	v_add_co_ci_u32_e64 v37, null, s23, v33, vcc_lo
	global_load_ushort v51, v[28:29], off
	global_load_ushort v52, v[30:31], off
	global_load_ushort v53, v[32:33], off
	global_load_ushort v54, v[34:35], off
	global_load_ushort v55, v[36:37], off
	v_add_co_u32 v29, vcc_lo, v34, s22
	v_add_co_ci_u32_e64 v30, null, s23, v35, vcc_lo
	v_add_co_u32 v31, vcc_lo, v36, s22
	v_add_co_ci_u32_e64 v32, null, s23, v37, vcc_lo
	global_load_ushort v28, v[29:30], off
	v_add_co_u32 v29, vcc_lo, v29, s22
	v_add_co_ci_u32_e64 v30, null, s23, v30, vcc_lo
	v_add_co_u32 v33, vcc_lo, v31, s22
	v_add_co_ci_u32_e64 v34, null, s23, v32, vcc_lo
	v_add_co_u32 v35, vcc_lo, v29, s22
	v_add_co_ci_u32_e64 v36, null, s23, v30, vcc_lo
	v_add_co_u32 v37, vcc_lo, v33, s22
	v_add_co_ci_u32_e64 v38, null, s23, v34, vcc_lo
	global_load_ushort v56, v[31:32], off
	global_load_ushort v30, v[29:30], off
	;; [unrolled: 18-line block ×3, first 2 shown]
	global_load_ushort v61, v[36:37], off
	global_load_ushort v62, v[38:39], off
	;; [unrolled: 1-line block ×3, first 2 shown]
	v_add_co_u32 v32, vcc_lo, v38, s22
	v_add_co_ci_u32_e64 v33, null, s23, v39, vcc_lo
	v_add_co_u32 v34, vcc_lo, v40, s22
	v_add_co_ci_u32_e64 v35, null, s23, v41, vcc_lo
	global_load_ushort v38, v[32:33], off
	v_add_co_u32 v32, vcc_lo, v32, s22
	v_add_co_ci_u32_e64 v33, null, s23, v33, vcc_lo
	v_add_co_u32 v36, vcc_lo, v34, s22
	v_add_co_ci_u32_e64 v37, null, s23, v35, vcc_lo
	global_load_ushort v39, v[34:35], off
	v_add_co_u32 v34, vcc_lo, v36, s22
	global_load_ushort v40, v[36:37], off
	v_add_co_ci_u32_e64 v35, null, s23, v37, vcc_lo
	v_add_co_u32 v36, vcc_lo, v32, s22
	v_add_co_ci_u32_e64 v37, null, s23, v33, vcc_lo
	global_load_ushort v32, v[32:33], off
	global_load_ushort v33, v[34:35], off
	;; [unrolled: 1-line block ×3, first 2 shown]
	s_waitcnt vmcnt(33)
	ds_bpermute_b32 v35, v3, v25
	v_add_co_u32 v6, vcc_lo, v6, s24
	v_add_co_ci_u32_e64 v7, null, s25, v7, vcc_lo
	v_add_co_u32 v4, vcc_lo, v4, s4
	v_cmp_lt_i64_e64 s1, s[2:3], s[20:21]
	v_add_co_ci_u32_e64 v5, null, 0, v5, vcc_lo
	v_add_co_u32 v23, vcc_lo, v23, s26
	v_add_co_ci_u32_e64 v24, null, s27, v24, vcc_lo
	s_and_b32 vcc_lo, exec_lo, s1
	s_waitcnt vmcnt(31)
	v_cvt_f32_f16_e32 v36, v42
	s_waitcnt vmcnt(30)
	v_cvt_f32_f16_e32 v37, v43
	s_waitcnt lgkmcnt(0)
	v_sub_f32_e32 v35, v36, v35
	ds_bpermute_b32 v36, v3, v26
	v_add_f32_e32 v27, v27, v37
	v_mul_f32_e32 v35, v35, v37
	ds_bpermute_b32 v37, v13, v25
	s_waitcnt vmcnt(29)
	v_cvt_f32_f16_e32 v43, v44
	s_waitcnt vmcnt(28)
	v_cvt_f32_f16_e32 v41, v45
	ds_bpermute_b32 v45, v8, v26
	v_add_f32_e32 v27, v27, v43
	s_waitcnt vmcnt(27)
	v_cvt_f32_f16_e32 v42, v46
	s_waitcnt lgkmcnt(2)
	v_fmac_f32_e32 v2, v35, v36
	ds_bpermute_b32 v35, v9, v25
	ds_bpermute_b32 v36, v10, v25
	s_waitcnt vmcnt(26)
	v_cvt_f32_f16_e32 v44, v47
	s_waitcnt vmcnt(25)
	v_cvt_f32_f16_e32 v46, v48
	ds_bpermute_b32 v47, v12, v25
	v_add_f32_e32 v27, v27, v44
	v_add_f32_e32 v27, v27, v46
	s_waitcnt vmcnt(23)
	v_cvt_f32_f16_e32 v48, v50
	v_add_f32_e32 v27, v27, v48
	s_waitcnt lgkmcnt(2)
	v_sub_f32_e32 v35, v41, v35
	ds_bpermute_b32 v41, v9, v26
	s_waitcnt lgkmcnt(2)
	v_sub_f32_e32 v36, v42, v36
	ds_bpermute_b32 v42, v10, v26
	v_mul_f32_e32 v35, v35, v43
	ds_bpermute_b32 v43, v14, v25
	v_mul_f32_e32 v36, v36, v44
	s_waitcnt vmcnt(21)
	v_cvt_f32_f16_e32 v50, v52
	ds_bpermute_b32 v44, v16, v26
	s_waitcnt vmcnt(19)
	v_cvt_f32_f16_e32 v52, v54
	v_add_f32_e32 v27, v27, v50
	v_add_f32_e32 v27, v27, v52
	s_waitcnt vmcnt(17)
	v_cvt_f32_f16_e32 v28, v28
	s_waitcnt lgkmcnt(3)
	v_fmac_f32_e32 v2, v35, v41
	ds_bpermute_b32 v35, v11, v25
	ds_bpermute_b32 v41, v8, v25
	v_add_f32_e32 v27, v27, v28
	s_waitcnt lgkmcnt(4)
	v_fmac_f32_e32 v2, v36, v42
	ds_bpermute_b32 v36, v11, v26
	v_cvt_f32_f16_e32 v42, v49
	ds_bpermute_b32 v49, v15, v25
	s_waitcnt vmcnt(15)
	v_cvt_f32_f16_e32 v30, v30
	s_waitcnt vmcnt(14)
	v_cvt_f32_f16_e32 v54, v57
	;; [unrolled: 2-line block ×3, first 2 shown]
	v_add_f32_e32 v27, v27, v30
	s_waitcnt lgkmcnt(3)
	v_sub_f32_e32 v35, v42, v35
	v_cvt_f32_f16_e32 v42, v51
	ds_bpermute_b32 v51, v16, v25
	v_mul_f32_e32 v35, v35, v46
	s_waitcnt lgkmcnt(3)
	v_sub_f32_e32 v41, v42, v41
	ds_bpermute_b32 v42, v12, v26
	ds_bpermute_b32 v46, v17, v26
	s_waitcnt lgkmcnt(3)
	v_sub_f32_e32 v49, v54, v49
	v_fmac_f32_e32 v2, v35, v36
	v_mul_f32_e32 v35, v41, v48
	ds_bpermute_b32 v36, v13, v26
	ds_bpermute_b32 v41, v14, v26
	;; [unrolled: 1-line block ×3, first 2 shown]
	v_fmac_f32_e32 v2, v35, v45
	v_cvt_f32_f16_e32 v45, v53
	ds_bpermute_b32 v35, v15, v26
	v_cvt_f32_f16_e32 v53, v56
	v_sub_f32_e32 v45, v45, v47
	v_cvt_f32_f16_e32 v47, v55
	v_sub_f32_e32 v43, v53, v43
	s_waitcnt lgkmcnt(6)
	v_sub_f32_e32 v31, v31, v51
	ds_bpermute_b32 v53, v21, v25
	v_mul_f32_e32 v45, v45, v50
	v_sub_f32_e32 v37, v47, v37
	ds_bpermute_b32 v47, v17, v25
	ds_bpermute_b32 v50, v19, v25
	v_mul_f32_e32 v43, v43, v28
	s_waitcnt lgkmcnt(8)
	v_fmac_f32_e32 v2, v45, v42
	ds_bpermute_b32 v42, v18, v25
	v_mul_f32_e32 v37, v37, v52
	v_cvt_f32_f16_e32 v28, v29
	v_mul_f32_e32 v29, v49, v30
	ds_bpermute_b32 v45, v19, v26
	s_waitcnt vmcnt(11)
	v_cvt_f32_f16_e32 v30, v58
	s_waitcnt lgkmcnt(8)
	v_fmac_f32_e32 v2, v37, v36
	ds_bpermute_b32 v37, v20, v25
	ds_bpermute_b32 v36, v20, v26
	;; [unrolled: 1-line block ×3, first 2 shown]
	v_add_f32_e32 v27, v27, v28
	s_waitcnt lgkmcnt(10)
	v_fmac_f32_e32 v2, v43, v41
	s_waitcnt vmcnt(10)
	v_cvt_f32_f16_e32 v41, v59
	ds_bpermute_b32 v52, v21, v26
	ds_bpermute_b32 v26, v22, v26
	v_add_f32_e32 v27, v27, v30
	s_waitcnt lgkmcnt(10)
	v_fmac_f32_e32 v2, v29, v35
	v_mul_f32_e32 v29, v31, v28
	s_waitcnt lgkmcnt(8)
	v_sub_f32_e32 v31, v41, v47
	s_waitcnt vmcnt(8)
	v_cvt_f32_f16_e32 v35, v61
	v_cvt_f32_f16_e32 v28, v60
	v_fmac_f32_e32 v2, v29, v44
	v_mul_f32_e32 v29, v31, v30
	s_waitcnt lgkmcnt(6)
	v_sub_f32_e32 v31, v35, v42
	s_waitcnt vmcnt(6)
	v_cvt_f32_f16_e32 v35, v63
	v_cvt_f32_f16_e32 v30, v62
	v_add_f32_e32 v27, v27, v28
	v_fmac_f32_e32 v2, v29, v46
	v_mul_f32_e32 v29, v31, v28
	v_sub_f32_e32 v31, v35, v50
	s_waitcnt vmcnt(4)
	v_cvt_f32_f16_e32 v35, v39
	v_cvt_f32_f16_e32 v28, v38
	v_add_f32_e32 v27, v27, v30
	v_fmac_f32_e32 v2, v29, v48
	v_mul_f32_e32 v29, v31, v30
	s_waitcnt lgkmcnt(4)
	v_sub_f32_e32 v31, v35, v37
	s_waitcnt vmcnt(3)
	v_cvt_f32_f16_e32 v35, v40
	s_waitcnt vmcnt(2)
	v_cvt_f32_f16_e32 v30, v32
	;; [unrolled: 2-line block ×3, first 2 shown]
	v_fmac_f32_e32 v2, v29, v45
	v_mul_f32_e32 v29, v31, v28
	v_sub_f32_e32 v31, v35, v53
	v_add_f32_e32 v27, v27, v28
	s_waitcnt vmcnt(0)
	v_cvt_f32_f16_e32 v28, v34
	s_waitcnt lgkmcnt(2)
	v_sub_f32_e32 v25, v32, v25
	v_fmac_f32_e32 v2, v29, v36
	v_mul_f32_e32 v29, v31, v30
	v_add_f32_e32 v27, v27, v30
	v_mul_f32_e32 v25, v25, v28
	s_waitcnt lgkmcnt(1)
	v_fmac_f32_e32 v2, v29, v52
	v_add_f32_e32 v27, v27, v28
	s_waitcnt lgkmcnt(0)
	v_fmac_f32_e32 v2, v25, v26
	s_cbranch_vccz .LBB81_10
.LBB81_7:                               ; =>This Inner Loop Header: Depth=1
	v_mov_b32_e32 v26, 0
	v_mov_b32_e32 v25, 0
	s_and_saveexec_b32 s1, s0
	s_cbranch_execz .LBB81_6
; %bb.8:                                ;   in Loop: Header=BB81_7 Depth=1
	v_mov_b32_e32 v25, 0
	v_mov_b32_e32 v26, 0
	s_mov_b32 s5, exec_lo
	v_cmpx_gt_i64_e64 s[20:21], v[4:5]
	s_cbranch_execz .LBB81_5
; %bb.9:                                ;   in Loop: Header=BB81_7 Depth=1
	v_add_co_u32 v25, vcc_lo, s12, v6
	v_add_co_ci_u32_e64 v26, null, s13, v7, vcc_lo
	v_add_co_u32 v28, vcc_lo, s14, v6
	v_add_co_ci_u32_e64 v29, null, s15, v7, vcc_lo
	global_load_dword v25, v[25:26], off
	global_load_dword v26, v[28:29], off
	s_branch .LBB81_5
.LBB81_10:
	v_mad_u32_u24 v3, 0x41, v1, v0
	s_mov_b32 s0, exec_lo
	v_lshl_add_u32 v4, v3, 2, 0
	v_sub_nc_u32_e32 v3, v3, v1
	ds_write_b32 v4, v2
	ds_write_b32 v4, v27 offset:4160
	s_waitcnt lgkmcnt(0)
	s_barrier
	buffer_gl0_inv
	v_cmpx_gt_u32_e32 0x800, v3
	s_cbranch_execz .LBB81_26
; %bb.11:
	v_and_b32_e32 v1, 31, v0
	v_lshrrev_b32_e32 v2, 5, v3
                                        ; implicit-def: $vgpr7
	v_cmp_gt_u32_e64 s0, 16, v1
	v_mul_u32_u24_e32 v4, 0x41, v1
                                        ; implicit-def: $vgpr1
	s_and_saveexec_b32 s1, s0
	s_cbranch_execz .LBB81_13
; %bb.12:
	v_add_nc_u32_e32 v1, v2, v4
	v_lshl_add_u32 v1, v1, 2, 0
	ds_read_b32 v7, v1
	ds_read_b32 v1, v1 offset:4160
.LBB81_13:
	s_or_b32 exec_lo, exec_lo, s1
	v_mbcnt_lo_u32_b32 v8, -1, 0
	s_mov_b32 s7, 0
	v_cmp_eq_u32_e64 s1, 0, v0
	s_lshl_b64 s[2:3], s[6:7], 6
	s_cmp_lg_u64 s[16:17], 0
	v_xor_b32_e32 v5, 8, v8
	v_xor_b32_e32 v6, 4, v8
	;; [unrolled: 1-line block ×3, first 2 shown]
	s_cselect_b32 s5, -1, 0
	s_cmp_lg_u64 s[18:19], 0
	v_cmp_gt_i32_e32 vcc_lo, 32, v5
	s_cselect_b32 s4, -1, 0
	v_cndmask_b32_e32 v5, v8, v5, vcc_lo
	v_cmp_gt_i32_e32 vcc_lo, 32, v6
	v_lshlrev_b32_e32 v5, 2, v5
	v_cndmask_b32_e32 v6, v8, v6, vcc_lo
	s_waitcnt lgkmcnt(1)
	ds_bpermute_b32 v9, v5, v7
	s_waitcnt lgkmcnt(1)
	ds_bpermute_b32 v10, v5, v1
	v_lshlrev_b32_e32 v6, 2, v6
	s_waitcnt lgkmcnt(1)
	v_add_f32_e32 v9, v7, v9
	s_waitcnt lgkmcnt(0)
	v_add_f32_e32 v1, v1, v10
	v_xor_b32_e32 v7, 2, v8
	ds_bpermute_b32 v10, v6, v9
	ds_bpermute_b32 v11, v6, v1
	v_cmp_gt_i32_e32 vcc_lo, 32, v7
	v_cndmask_b32_e32 v7, v8, v7, vcc_lo
	v_cmp_gt_i32_e32 vcc_lo, 32, v12
	v_lshlrev_b32_e32 v7, 2, v7
	v_cndmask_b32_e32 v8, v8, v12, vcc_lo
	v_lshlrev_b32_e32 v8, 2, v8
	s_waitcnt lgkmcnt(1)
	v_add_f32_e32 v9, v9, v10
	s_waitcnt lgkmcnt(0)
	v_add_f32_e32 v1, v1, v11
	ds_bpermute_b32 v10, v7, v9
	ds_bpermute_b32 v11, v7, v1
	s_waitcnt lgkmcnt(1)
	v_add_f32_e32 v9, v9, v10
	s_waitcnt lgkmcnt(0)
	v_add_f32_e32 v1, v1, v11
	ds_bpermute_b32 v10, v8, v9
	ds_bpermute_b32 v11, v8, v1
	s_waitcnt lgkmcnt(1)
	v_add_f32_e32 v9, v9, v10
	s_waitcnt lgkmcnt(0)
	v_add_f32_e32 v10, v1, v11
	s_and_saveexec_b32 s6, s1
	s_cbranch_execz .LBB81_18
; %bb.14:
	v_mov_b32_e32 v1, s3
	v_or_b32_e32 v0, s2, v2
	s_andn2_b32 vcc_lo, exec_lo, s5
	v_lshlrev_b64 v[0:1], 1, v[0:1]
	s_cbranch_vccnz .LBB81_16
; %bb.15:
	v_add_co_u32 v11, vcc_lo, s16, v0
	v_add_co_ci_u32_e64 v12, null, s17, v1, vcc_lo
	v_cvt_f16_f32_e32 v13, v9
	global_store_short v[11:12], v13, off
.LBB81_16:
	s_andn2_b32 vcc_lo, exec_lo, s4
	s_cbranch_vccnz .LBB81_18
; %bb.17:
	v_add_co_u32 v0, vcc_lo, s18, v0
	v_add_co_ci_u32_e64 v1, null, s19, v1, vcc_lo
	v_cvt_f16_f32_e32 v11, v10
	global_store_short v[0:1], v11, off
.LBB81_18:
	s_or_b32 exec_lo, exec_lo, s6
	v_cmp_gt_u32_e32 vcc_lo, 0x400, v3
	s_and_b32 exec_lo, exec_lo, vcc_lo
	s_cbranch_execz .LBB81_26
; %bb.19:
	s_and_saveexec_b32 s6, s0
	s_cbranch_execz .LBB81_21
; %bb.20:
	v_add_nc_u32_e32 v0, v2, v4
	v_lshl_add_u32 v0, v0, 2, 0
	ds_read_b32 v9, v0 offset:128
	ds_read_b32 v10, v0 offset:4288
.LBB81_21:
	s_or_b32 exec_lo, exec_lo, s6
	s_waitcnt lgkmcnt(1)
	ds_bpermute_b32 v0, v5, v9
	s_waitcnt lgkmcnt(1)
	ds_bpermute_b32 v1, v5, v10
	s_waitcnt lgkmcnt(1)
	v_add_f32_e32 v0, v9, v0
	s_waitcnt lgkmcnt(0)
	v_add_f32_e32 v1, v10, v1
	ds_bpermute_b32 v3, v6, v0
	ds_bpermute_b32 v4, v6, v1
	s_waitcnt lgkmcnt(1)
	v_add_f32_e32 v0, v0, v3
	s_waitcnt lgkmcnt(0)
	v_add_f32_e32 v1, v1, v4
	ds_bpermute_b32 v3, v7, v0
	;; [unrolled: 6-line block ×3, first 2 shown]
	ds_bpermute_b32 v1, v8, v0
	s_and_b32 exec_lo, exec_lo, s1
	s_cbranch_execz .LBB81_26
; %bb.22:
	s_andn2_b32 vcc_lo, exec_lo, s5
	s_cbranch_vccnz .LBB81_24
; %bb.23:
	v_add_co_u32 v5, s0, s2, v2
	v_add_co_ci_u32_e64 v6, null, s3, 0, s0
	s_waitcnt lgkmcnt(1)
	v_add_f32_e32 v7, v3, v4
	v_lshlrev_b64 v[5:6], 1, v[5:6]
	v_add_co_u32 v3, vcc_lo, s16, v5
	v_add_co_ci_u32_e64 v4, null, s17, v6, vcc_lo
	v_cvt_f16_f32_e32 v5, v7
	global_store_short v[3:4], v5, off offset:64
.LBB81_24:
	s_andn2_b32 vcc_lo, exec_lo, s4
	s_cbranch_vccnz .LBB81_26
; %bb.25:
	v_add_co_u32 v2, s0, s2, v2
	v_add_co_ci_u32_e64 v3, null, s3, 0, s0
	s_waitcnt lgkmcnt(0)
	v_add_f32_e32 v4, v0, v1
	v_lshlrev_b64 v[2:3], 1, v[2:3]
	v_add_co_u32 v0, vcc_lo, s18, v2
	v_add_co_ci_u32_e64 v1, null, s19, v3, vcc_lo
	v_cvt_f16_f32_e32 v2, v4
	global_store_short v[0:1], v2, off offset:64
.LBB81_26:
	s_endpgm
	.section	.rodata,"a",@progbits
	.p2align	6, 0x0
	.amdhsa_kernel _ZN2at6native12_GLOBAL__N_135GammaBetaBackwardCUDAKernelTemplateIN3c104HalfEfLj64ELj16ELj256ELb0ELb1ELb0EEEvllPKT_S7_PKT0_SA_PS5_SB_
		.amdhsa_group_segment_fixed_size 0
		.amdhsa_private_segment_fixed_size 0
		.amdhsa_kernarg_size 320
		.amdhsa_user_sgpr_count 6
		.amdhsa_user_sgpr_private_segment_buffer 1
		.amdhsa_user_sgpr_dispatch_ptr 0
		.amdhsa_user_sgpr_queue_ptr 0
		.amdhsa_user_sgpr_kernarg_segment_ptr 1
		.amdhsa_user_sgpr_dispatch_id 0
		.amdhsa_user_sgpr_flat_scratch_init 0
		.amdhsa_user_sgpr_private_segment_size 0
		.amdhsa_wavefront_size32 1
		.amdhsa_uses_dynamic_stack 0
		.amdhsa_system_sgpr_private_segment_wavefront_offset 0
		.amdhsa_system_sgpr_workgroup_id_x 1
		.amdhsa_system_sgpr_workgroup_id_y 1
		.amdhsa_system_sgpr_workgroup_id_z 0
		.amdhsa_system_sgpr_workgroup_info 0
		.amdhsa_system_vgpr_workitem_id 1
		.amdhsa_next_free_vgpr 64
		.amdhsa_next_free_sgpr 28
		.amdhsa_reserve_vcc 1
		.amdhsa_reserve_flat_scratch 0
		.amdhsa_float_round_mode_32 0
		.amdhsa_float_round_mode_16_64 0
		.amdhsa_float_denorm_mode_32 3
		.amdhsa_float_denorm_mode_16_64 3
		.amdhsa_dx10_clamp 1
		.amdhsa_ieee_mode 1
		.amdhsa_fp16_overflow 0
		.amdhsa_workgroup_processor_mode 1
		.amdhsa_memory_ordered 1
		.amdhsa_forward_progress 1
		.amdhsa_shared_vgpr_count 0
		.amdhsa_exception_fp_ieee_invalid_op 0
		.amdhsa_exception_fp_denorm_src 0
		.amdhsa_exception_fp_ieee_div_zero 0
		.amdhsa_exception_fp_ieee_overflow 0
		.amdhsa_exception_fp_ieee_underflow 0
		.amdhsa_exception_fp_ieee_inexact 0
		.amdhsa_exception_int_div_zero 0
	.end_amdhsa_kernel
	.section	.text._ZN2at6native12_GLOBAL__N_135GammaBetaBackwardCUDAKernelTemplateIN3c104HalfEfLj64ELj16ELj256ELb0ELb1ELb0EEEvllPKT_S7_PKT0_SA_PS5_SB_,"axG",@progbits,_ZN2at6native12_GLOBAL__N_135GammaBetaBackwardCUDAKernelTemplateIN3c104HalfEfLj64ELj16ELj256ELb0ELb1ELb0EEEvllPKT_S7_PKT0_SA_PS5_SB_,comdat
.Lfunc_end81:
	.size	_ZN2at6native12_GLOBAL__N_135GammaBetaBackwardCUDAKernelTemplateIN3c104HalfEfLj64ELj16ELj256ELb0ELb1ELb0EEEvllPKT_S7_PKT0_SA_PS5_SB_, .Lfunc_end81-_ZN2at6native12_GLOBAL__N_135GammaBetaBackwardCUDAKernelTemplateIN3c104HalfEfLj64ELj16ELj256ELb0ELb1ELb0EEEvllPKT_S7_PKT0_SA_PS5_SB_
                                        ; -- End function
	.set _ZN2at6native12_GLOBAL__N_135GammaBetaBackwardCUDAKernelTemplateIN3c104HalfEfLj64ELj16ELj256ELb0ELb1ELb0EEEvllPKT_S7_PKT0_SA_PS5_SB_.num_vgpr, 64
	.set _ZN2at6native12_GLOBAL__N_135GammaBetaBackwardCUDAKernelTemplateIN3c104HalfEfLj64ELj16ELj256ELb0ELb1ELb0EEEvllPKT_S7_PKT0_SA_PS5_SB_.num_agpr, 0
	.set _ZN2at6native12_GLOBAL__N_135GammaBetaBackwardCUDAKernelTemplateIN3c104HalfEfLj64ELj16ELj256ELb0ELb1ELb0EEEvllPKT_S7_PKT0_SA_PS5_SB_.numbered_sgpr, 28
	.set _ZN2at6native12_GLOBAL__N_135GammaBetaBackwardCUDAKernelTemplateIN3c104HalfEfLj64ELj16ELj256ELb0ELb1ELb0EEEvllPKT_S7_PKT0_SA_PS5_SB_.num_named_barrier, 0
	.set _ZN2at6native12_GLOBAL__N_135GammaBetaBackwardCUDAKernelTemplateIN3c104HalfEfLj64ELj16ELj256ELb0ELb1ELb0EEEvllPKT_S7_PKT0_SA_PS5_SB_.private_seg_size, 0
	.set _ZN2at6native12_GLOBAL__N_135GammaBetaBackwardCUDAKernelTemplateIN3c104HalfEfLj64ELj16ELj256ELb0ELb1ELb0EEEvllPKT_S7_PKT0_SA_PS5_SB_.uses_vcc, 1
	.set _ZN2at6native12_GLOBAL__N_135GammaBetaBackwardCUDAKernelTemplateIN3c104HalfEfLj64ELj16ELj256ELb0ELb1ELb0EEEvllPKT_S7_PKT0_SA_PS5_SB_.uses_flat_scratch, 0
	.set _ZN2at6native12_GLOBAL__N_135GammaBetaBackwardCUDAKernelTemplateIN3c104HalfEfLj64ELj16ELj256ELb0ELb1ELb0EEEvllPKT_S7_PKT0_SA_PS5_SB_.has_dyn_sized_stack, 0
	.set _ZN2at6native12_GLOBAL__N_135GammaBetaBackwardCUDAKernelTemplateIN3c104HalfEfLj64ELj16ELj256ELb0ELb1ELb0EEEvllPKT_S7_PKT0_SA_PS5_SB_.has_recursion, 0
	.set _ZN2at6native12_GLOBAL__N_135GammaBetaBackwardCUDAKernelTemplateIN3c104HalfEfLj64ELj16ELj256ELb0ELb1ELb0EEEvllPKT_S7_PKT0_SA_PS5_SB_.has_indirect_call, 0
	.section	.AMDGPU.csdata,"",@progbits
; Kernel info:
; codeLenInByte = 2920
; TotalNumSgprs: 30
; NumVgprs: 64
; ScratchSize: 0
; MemoryBound: 0
; FloatMode: 240
; IeeeMode: 1
; LDSByteSize: 0 bytes/workgroup (compile time only)
; SGPRBlocks: 0
; VGPRBlocks: 7
; NumSGPRsForWavesPerEU: 30
; NumVGPRsForWavesPerEU: 64
; Occupancy: 16
; WaveLimiterHint : 0
; COMPUTE_PGM_RSRC2:SCRATCH_EN: 0
; COMPUTE_PGM_RSRC2:USER_SGPR: 6
; COMPUTE_PGM_RSRC2:TRAP_HANDLER: 0
; COMPUTE_PGM_RSRC2:TGID_X_EN: 1
; COMPUTE_PGM_RSRC2:TGID_Y_EN: 1
; COMPUTE_PGM_RSRC2:TGID_Z_EN: 0
; COMPUTE_PGM_RSRC2:TIDIG_COMP_CNT: 1
	.section	.text._ZN2at6native12_GLOBAL__N_135GammaBetaBackwardCUDAKernelTemplateIN3c104HalfEfLj64ELj16ELj256ELb0ELb0ELb0EEEvllPKT_S7_PKT0_SA_PS5_SB_,"axG",@progbits,_ZN2at6native12_GLOBAL__N_135GammaBetaBackwardCUDAKernelTemplateIN3c104HalfEfLj64ELj16ELj256ELb0ELb0ELb0EEEvllPKT_S7_PKT0_SA_PS5_SB_,comdat
	.globl	_ZN2at6native12_GLOBAL__N_135GammaBetaBackwardCUDAKernelTemplateIN3c104HalfEfLj64ELj16ELj256ELb0ELb0ELb0EEEvllPKT_S7_PKT0_SA_PS5_SB_ ; -- Begin function _ZN2at6native12_GLOBAL__N_135GammaBetaBackwardCUDAKernelTemplateIN3c104HalfEfLj64ELj16ELj256ELb0ELb0ELb0EEEvllPKT_S7_PKT0_SA_PS5_SB_
	.p2align	8
	.type	_ZN2at6native12_GLOBAL__N_135GammaBetaBackwardCUDAKernelTemplateIN3c104HalfEfLj64ELj16ELj256ELb0ELb0ELb0EEEvllPKT_S7_PKT0_SA_PS5_SB_,@function
_ZN2at6native12_GLOBAL__N_135GammaBetaBackwardCUDAKernelTemplateIN3c104HalfEfLj64ELj16ELj256ELb0ELb0ELb0EEEvllPKT_S7_PKT0_SA_PS5_SB_: ; @_ZN2at6native12_GLOBAL__N_135GammaBetaBackwardCUDAKernelTemplateIN3c104HalfEfLj64ELj16ELj256ELb0ELb0ELb0EEEvllPKT_S7_PKT0_SA_PS5_SB_
; %bb.0:
	s_mov_b64 s[38:39], s[2:3]
	s_mov_b64 s[36:37], s[0:1]
	s_mov_b32 s3, 0
	s_add_u32 s36, s36, s8
	s_clause 0x1
	s_load_dwordx8 s[8:15], s[4:5], 0x0
	s_load_dwordx4 s[16:19], s[4:5], 0x20
	s_addc_u32 s37, s37, 0
	s_lshl_b32 s28, s6, 6
	v_mov_b32_e32 v125, v0
	s_or_b32 s2, s28, 63
	s_waitcnt lgkmcnt(0)
	v_cmp_le_i64_e64 s0, s[10:11], s[2:3]
	s_lshl_b32 s2, s7, 8
	v_cmp_gt_i64_e64 s7, s[8:9], s[2:3]
	s_and_b32 vcc_lo, exec_lo, s0
	v_cndmask_b32_e64 v0, 0, 1, s7
	v_cmp_ne_u32_e64 s0, 1, v0
	s_cbranch_vccz .LBB82_81
; %bb.1:
	v_mov_b32_e32 v19, 0
	v_mov_b32_e32 v0, 0
	s_and_b32 vcc_lo, exec_lo, s0
	s_cbranch_vccnz .LBB82_82
; %bb.2:
	v_lshlrev_b32_e32 v56, 4, v1
	v_mov_b32_e32 v2, 0
	s_load_dword s1, s[4:5], 0x44
	v_add_nc_u32_e32 v6, s28, v125
	s_add_u32 s20, s4, 64
	v_add_co_u32 v0, s0, v56, s2
	v_add_co_ci_u32_e64 v5, null, 0, 0, s0
	v_mov_b32_e32 v7, v2
	v_mul_lo_u32 v11, s11, v0
	v_mad_u64_u32 v[3:4], null, s10, v0, 0
	v_mul_lo_u32 v8, s10, v5
	v_add_co_u32 v9, vcc_lo, v0, 15
	v_add_co_ci_u32_e64 v10, null, 0, v5, vcc_lo
	v_cmp_gt_i64_e64 s0, s[10:11], v[6:7]
	v_lshlrev_b64 v[35:36], 1, v[6:7]
	s_addc_u32 s21, s5, 0
	v_add3_u32 v4, v4, v8, v11
	v_mul_lo_u32 v11, s11, v9
	v_mul_lo_u32 v10, s10, v10
	v_mad_u64_u32 v[8:9], null, s10, v9, 0
	v_lshlrev_b64 v[6:7], 1, v[3:4]
	s_waitcnt lgkmcnt(0)
	s_lshl_b32 s29, s1, 8
	v_mov_b32_e32 v101, 0
	s_mul_i32 s1, s11, s29
	s_mul_hi_u32 s22, s10, s29
	s_mov_b64 s[26:27], s[2:3]
	v_add3_u32 v9, v9, v10, v11
	v_add_co_u32 v10, vcc_lo, v0, 14
	v_add_co_ci_u32_e64 v11, null, 0, v5, vcc_lo
	v_lshlrev_b64 v[8:9], 1, v[8:9]
	v_mul_lo_u32 v12, s11, v10
	v_add_co_u32 v126, vcc_lo, s12, v6
	v_mul_lo_u32 v13, s10, v11
	v_mad_u64_u32 v[10:11], null, s10, v10, 0
	v_add_co_ci_u32_e64 v37, null, s13, v7, vcc_lo
	v_add_co_u32 v38, vcc_lo, s14, v6
	v_add_co_ci_u32_e64 v39, null, s15, v7, vcc_lo
	v_add3_u32 v11, v11, v13, v12
	v_add_co_u32 v40, vcc_lo, s12, v8
	v_add_co_ci_u32_e64 v41, null, s13, v9, vcc_lo
	v_add_co_u32 v12, vcc_lo, v0, 13
	s_add_i32 s23, s22, s1
	v_add_co_u32 v42, s1, s14, v8
	v_lshlrev_b64 v[6:7], 1, v[10:11]
	v_add_co_ci_u32_e64 v8, null, 0, v5, vcc_lo
	v_add_co_u32 v10, vcc_lo, v0, 12
	v_add_co_ci_u32_e64 v11, null, 0, v5, vcc_lo
	v_add_co_ci_u32_e64 v43, null, s15, v9, s1
	v_mul_lo_u32 v13, s11, v12
	v_mul_lo_u32 v14, s10, v8
	v_mad_u64_u32 v[8:9], null, s10, v12, 0
	v_mul_lo_u32 v12, s11, v10
	v_mul_lo_u32 v15, s10, v11
	v_mad_u64_u32 v[10:11], null, s10, v10, 0
	v_add_co_u32 v44, vcc_lo, s12, v6
	v_add_co_ci_u32_e64 v45, null, s13, v7, vcc_lo
	v_add_co_u32 v46, vcc_lo, s14, v6
	v_add_co_ci_u32_e64 v47, null, s15, v7, vcc_lo
	v_add3_u32 v11, v11, v15, v12
	v_add_co_u32 v12, vcc_lo, v0, 11
	v_add3_u32 v9, v9, v14, v13
	v_add_co_ci_u32_e64 v13, null, 0, v5, vcc_lo
	v_mul_lo_u32 v14, s11, v12
	s_mul_i32 s22, s10, s29
	v_lshlrev_b64 v[6:7], 1, v[8:9]
	v_lshlrev_b64 v[8:9], 1, v[10:11]
	v_mul_lo_u32 v13, s10, v13
	v_mad_u64_u32 v[10:11], null, s10, v12, 0
	s_lshl_b64 s[22:23], s[22:23], 1
	v_add_co_u32 v48, vcc_lo, s12, v6
	v_add_co_ci_u32_e64 v49, null, s13, v7, vcc_lo
	v_add_co_u32 v50, vcc_lo, s14, v6
	v_add3_u32 v11, v11, v13, v14
	v_add_co_ci_u32_e64 v51, null, s15, v7, vcc_lo
	v_add_co_u32 v52, vcc_lo, s12, v8
	v_add_co_ci_u32_e64 v53, null, s13, v9, vcc_lo
	v_add_co_u32 v12, vcc_lo, v0, 10
	v_add_co_u32 v54, s1, s14, v8
	v_lshlrev_b64 v[6:7], 1, v[10:11]
	v_add_co_ci_u32_e64 v8, null, 0, v5, vcc_lo
	v_add_co_u32 v10, vcc_lo, v0, 9
	v_add_co_ci_u32_e64 v11, null, 0, v5, vcc_lo
	v_add_co_ci_u32_e64 v55, null, s15, v9, s1
	v_mul_lo_u32 v13, s11, v12
	v_mul_lo_u32 v14, s10, v8
	v_mad_u64_u32 v[8:9], null, s10, v12, 0
	v_mul_lo_u32 v12, s11, v10
	v_mul_lo_u32 v15, s10, v11
	v_mad_u64_u32 v[10:11], null, s10, v10, 0
	v_add_co_u32 v57, vcc_lo, s12, v6
	v_add_co_ci_u32_e64 v58, null, s13, v7, vcc_lo
	v_add_co_u32 v59, vcc_lo, s14, v6
	v_add_co_ci_u32_e64 v60, null, s15, v7, vcc_lo
	v_add3_u32 v11, v11, v15, v12
	v_add_co_u32 v12, vcc_lo, v0, 8
	v_add3_u32 v9, v9, v14, v13
	v_add_co_ci_u32_e64 v13, null, 0, v5, vcc_lo
	v_mul_lo_u32 v14, s11, v12
	s_add_u32 s24, s2, 0xff
	v_lshlrev_b64 v[6:7], 1, v[8:9]
	v_lshlrev_b64 v[8:9], 1, v[10:11]
	v_mul_lo_u32 v13, s10, v13
	v_mad_u64_u32 v[10:11], null, s10, v12, 0
	s_addc_u32 s25, 0, 0
	v_add_co_u32 v61, vcc_lo, s12, v6
	v_add_co_ci_u32_e64 v62, null, s13, v7, vcc_lo
	v_add_co_u32 v63, vcc_lo, s14, v6
	v_add3_u32 v11, v11, v13, v14
	v_add_co_ci_u32_e64 v64, null, s15, v7, vcc_lo
	v_add_co_u32 v65, vcc_lo, s12, v8
	v_add_co_ci_u32_e64 v66, null, s13, v9, vcc_lo
	v_add_co_u32 v12, vcc_lo, v0, 7
	v_add_co_u32 v67, s1, s14, v8
	v_lshlrev_b64 v[6:7], 1, v[10:11]
	v_add_co_ci_u32_e64 v8, null, 0, v5, vcc_lo
	v_add_co_u32 v10, vcc_lo, v0, 6
	v_add_co_ci_u32_e64 v11, null, 0, v5, vcc_lo
	v_add_co_ci_u32_e64 v68, null, s15, v9, s1
	v_mul_lo_u32 v13, s11, v12
	v_mul_lo_u32 v14, s10, v8
	v_mad_u64_u32 v[8:9], null, s10, v12, 0
	v_mul_lo_u32 v12, s11, v10
	v_mul_lo_u32 v15, s10, v11
	v_mad_u64_u32 v[10:11], null, s10, v10, 0
	v_add_co_u32 v69, vcc_lo, s12, v6
	v_add_co_ci_u32_e64 v70, null, s13, v7, vcc_lo
	v_add_co_u32 v71, vcc_lo, s14, v6
	v_add3_u32 v9, v9, v14, v13
	v_add_co_ci_u32_e64 v72, null, s15, v7, vcc_lo
	v_add3_u32 v11, v11, v15, v12
	v_add_co_u32 v12, vcc_lo, v0, 5
	v_add_co_ci_u32_e64 v13, null, 0, v5, vcc_lo
	v_lshlrev_b64 v[6:7], 1, v[8:9]
	v_lshlrev_b64 v[8:9], 1, v[10:11]
	v_mul_lo_u32 v14, s11, v12
	v_mul_lo_u32 v13, s10, v13
	v_mad_u64_u32 v[10:11], null, s10, v12, 0
	v_add_co_u32 v73, vcc_lo, s12, v6
	v_add_co_ci_u32_e64 v74, null, s13, v7, vcc_lo
	v_add_co_u32 v75, vcc_lo, s14, v6
	v_add_co_ci_u32_e64 v76, null, s15, v7, vcc_lo
	v_add_co_u32 v77, vcc_lo, s12, v8
	v_add3_u32 v11, v11, v13, v14
	v_add_co_ci_u32_e64 v78, null, s13, v9, vcc_lo
	v_add_co_u32 v12, vcc_lo, v0, 4
	v_add_co_u32 v79, s1, s14, v8
	v_add_co_ci_u32_e64 v8, null, 0, v5, vcc_lo
	v_lshlrev_b64 v[6:7], 1, v[10:11]
	v_add_co_u32 v10, vcc_lo, v0, 3
	v_add_co_ci_u32_e64 v11, null, 0, v5, vcc_lo
	v_add_co_ci_u32_e64 v80, null, s15, v9, s1
	v_mul_lo_u32 v13, s11, v12
	v_mul_lo_u32 v14, s10, v8
	v_mad_u64_u32 v[8:9], null, s10, v12, 0
	v_mul_lo_u32 v12, s11, v10
	v_mul_lo_u32 v15, s10, v11
	v_mad_u64_u32 v[10:11], null, s10, v10, 0
	v_add_co_u32 v81, vcc_lo, s12, v6
	v_add_co_ci_u32_e64 v82, null, s13, v7, vcc_lo
	v_add3_u32 v9, v9, v14, v13
	v_add_co_u32 v83, vcc_lo, s14, v6
	v_add_co_ci_u32_e64 v84, null, s15, v7, vcc_lo
	v_add_co_u32 v0, vcc_lo, v0, 2
	v_add3_u32 v11, v11, v15, v12
	v_add_co_ci_u32_e64 v5, null, 0, v5, vcc_lo
	v_lshlrev_b64 v[6:7], 1, v[8:9]
	v_mul_lo_u32 v12, s11, v0
	v_lshlrev_b64 v[8:9], 1, v[10:11]
	v_mul_lo_u32 v5, s10, v5
	v_mad_u64_u32 v[10:11], null, s10, v0, 0
	v_add_co_u32 v85, vcc_lo, s12, v6
	v_add_co_ci_u32_e64 v86, null, s13, v7, vcc_lo
	v_add_co_u32 v87, vcc_lo, s14, v6
	v_add_co_ci_u32_e64 v88, null, s15, v7, vcc_lo
	;; [unrolled: 2-line block ×3, first 2 shown]
	v_add3_u32 v11, v11, v5, v12
	v_add_co_u32 v91, vcc_lo, s14, v8
	v_add_co_ci_u32_e64 v92, null, s15, v9, vcc_lo
	v_add_co_u32 v3, vcc_lo, v3, s10
	v_add_co_ci_u32_e64 v4, null, s11, v4, vcc_lo
	v_lshlrev_b64 v[5:6], 1, v[10:11]
	v_mov_b32_e32 v0, 0
	v_lshlrev_b64 v[3:4], 1, v[3:4]
	v_add_co_u32 v93, vcc_lo, s12, v5
	v_add_co_ci_u32_e64 v94, null, s13, v6, vcc_lo
	v_add_co_u32 v95, vcc_lo, s14, v5
	v_add_co_ci_u32_e64 v96, null, s15, v6, vcc_lo
	;; [unrolled: 2-line block ×4, first 2 shown]
.LBB82_3:                               ; =>This Inner Loop Header: Depth=1
	v_cmp_ge_i64_e64 s1, s[24:25], s[8:9]
	v_add_co_u32 v102, s30, v56, s24
	v_add_co_ci_u32_e64 v103, null, 0, s25, s30
                                        ; implicit-def: $vgpr19_vgpr20_vgpr21_vgpr22_vgpr23_vgpr24_vgpr25_vgpr26_vgpr27_vgpr28_vgpr29_vgpr30_vgpr31_vgpr32_vgpr33_vgpr34
                                        ; implicit-def: $vgpr3_vgpr4_vgpr5_vgpr6_vgpr7_vgpr8_vgpr9_vgpr10_vgpr11_vgpr12_vgpr13_vgpr14_vgpr15_vgpr16_vgpr17_vgpr18
                                        ; implicit-def: $vgpr105
                                        ; implicit-def: $vgpr3
	s_and_b32 vcc_lo, exec_lo, s1
	s_mov_b32 s1, -1
                                        ; implicit-def: $vgpr19
                                        ; implicit-def: $vgpr4
	s_cbranch_vccz .LBB82_41
; %bb.4:                                ;   in Loop: Header=BB82_3 Depth=1
	s_load_dword s1, s[20:21], 0xc
	v_mov_b32_e32 v105, 0
	v_mov_b32_e32 v104, 0
	s_waitcnt lgkmcnt(0)
	s_and_b32 s1, s1, 0xffff
	v_mad_u32_u24 v3, v1, s1, v125
	s_mov_b32 s1, exec_lo
	v_and_b32_e32 v3, 31, v3
	v_cmpx_gt_u32_e32 16, v3
	s_cbranch_execz .LBB82_8
; %bb.5:                                ;   in Loop: Header=BB82_3 Depth=1
	v_add_co_u32 v3, vcc_lo, v102, v3
	v_add_co_ci_u32_e64 v4, null, 0, v103, vcc_lo
	v_mov_b32_e32 v104, 0
	v_add_co_u32 v3, vcc_lo, 0xffffff01, v3
	v_add_co_ci_u32_e64 v4, null, -1, v4, vcc_lo
	v_mov_b32_e32 v105, 0
	s_mov_b32 s30, exec_lo
	v_cmpx_gt_i64_e64 s[8:9], v[3:4]
	s_cbranch_execz .LBB82_7
; %bb.6:                                ;   in Loop: Header=BB82_3 Depth=1
	v_lshlrev_b64 v[3:4], 2, v[3:4]
	v_add_co_u32 v5, vcc_lo, s16, v3
	v_add_co_ci_u32_e64 v6, null, s17, v4, vcc_lo
	v_add_co_u32 v3, vcc_lo, s18, v3
	v_add_co_ci_u32_e64 v4, null, s19, v4, vcc_lo
	global_load_dword v104, v[5:6], off
	global_load_dword v105, v[3:4], off
.LBB82_7:                               ;   in Loop: Header=BB82_3 Depth=1
	s_or_b32 exec_lo, exec_lo, s30
.LBB82_8:                               ;   in Loop: Header=BB82_3 Depth=1
	s_or_b32 exec_lo, exec_lo, s1
	v_add_co_u32 v18, vcc_lo, 0xffffff01, v102
	v_add_co_ci_u32_e64 v19, null, -1, v103, vcc_lo
	v_mov_b32_e32 v17, v2
	v_mov_b32_e32 v3, v2
	;; [unrolled: 1-line block ×15, first 2 shown]
	v_cmp_gt_i64_e32 vcc_lo, s[8:9], v[18:19]
	v_mov_b32_e32 v34, v17
	v_mov_b32_e32 v31, v14
	;; [unrolled: 1-line block ×32, first 2 shown]
	s_and_b32 s30, s0, vcc_lo
	s_and_saveexec_b32 s1, s30
	s_cbranch_execz .LBB82_10
; %bb.9:                                ;   in Loop: Header=BB82_3 Depth=1
	v_add_co_u32 v3, vcc_lo, v126, v35
	v_add_co_ci_u32_e64 v4, null, v37, v36, vcc_lo
	v_add_co_u32 v5, vcc_lo, v38, v35
	v_add_co_ci_u32_e64 v6, null, v39, v36, vcc_lo
	global_load_ushort v3, v[3:4], off
	global_load_ushort v19, v[5:6], off
	v_mov_b32_e32 v4, v2
	v_mov_b32_e32 v5, v2
	;; [unrolled: 1-line block ×30, first 2 shown]
	s_waitcnt vmcnt(1)
	v_cvt_f32_f16_e32 v3, v3
	s_waitcnt vmcnt(0)
	v_cvt_f32_f16_e32 v19, v19
.LBB82_10:                              ;   in Loop: Header=BB82_3 Depth=1
	s_or_b32 exec_lo, exec_lo, s1
	v_add_co_u32 v106, vcc_lo, 0xffffff02, v102
	v_add_co_ci_u32_e64 v107, null, -1, v103, vcc_lo
	v_cmp_gt_i64_e32 vcc_lo, s[8:9], v[106:107]
	s_and_b32 s30, s0, vcc_lo
	s_and_saveexec_b32 s1, s30
	s_cbranch_execz .LBB82_12
; %bb.11:                               ;   in Loop: Header=BB82_3 Depth=1
	v_add_co_u32 v106, vcc_lo, v97, v35
	v_add_co_ci_u32_e64 v107, null, v98, v36, vcc_lo
	v_add_co_u32 v108, vcc_lo, v99, v35
	v_add_co_ci_u32_e64 v109, null, v100, v36, vcc_lo
	global_load_ushort v4, v[106:107], off
	global_load_ushort v20, v[108:109], off
	s_waitcnt vmcnt(1)
	v_cvt_f32_f16_e32 v4, v4
	s_waitcnt vmcnt(0)
	v_cvt_f32_f16_e32 v20, v20
.LBB82_12:                              ;   in Loop: Header=BB82_3 Depth=1
	s_or_b32 exec_lo, exec_lo, s1
	v_add_co_u32 v106, vcc_lo, 0xffffff03, v102
	v_add_co_ci_u32_e64 v107, null, -1, v103, vcc_lo
	v_cmp_gt_i64_e32 vcc_lo, s[8:9], v[106:107]
	s_and_b32 s30, s0, vcc_lo
	s_and_saveexec_b32 s1, s30
	s_cbranch_execz .LBB82_14
; %bb.13:                               ;   in Loop: Header=BB82_3 Depth=1
	v_add_co_u32 v106, vcc_lo, v93, v35
	v_add_co_ci_u32_e64 v107, null, v94, v36, vcc_lo
	v_add_co_u32 v108, vcc_lo, v95, v35
	v_add_co_ci_u32_e64 v109, null, v96, v36, vcc_lo
	global_load_ushort v5, v[106:107], off
	global_load_ushort v21, v[108:109], off
	s_waitcnt vmcnt(1)
	v_cvt_f32_f16_e32 v5, v5
	s_waitcnt vmcnt(0)
	v_cvt_f32_f16_e32 v21, v21
.LBB82_14:                              ;   in Loop: Header=BB82_3 Depth=1
	;; [unrolled: 19-line block ×15, first 2 shown]
	s_or_b32 exec_lo, exec_lo, s1
	s_waitcnt vmcnt(1)
	ds_bpermute_b32 v106, v2, v104
	ds_bpermute_b32 v107, v2, v104 offset:4
	s_waitcnt vmcnt(0)
	ds_bpermute_b32 v108, v2, v105
	ds_bpermute_b32 v110, v2, v104 offset:8
	ds_bpermute_b32 v111, v2, v105 offset:4
	;; [unrolled: 1-line block ×5, first 2 shown]
	v_add_f32_e32 v109, v0, v3
	ds_bpermute_b32 v113, v2, v105 offset:12
	ds_bpermute_b32 v118, v2, v104 offset:20
	;; [unrolled: 1-line block ×10, first 2 shown]
	s_mov_b32 s1, 0
	s_waitcnt lgkmcnt(17)
	v_sub_f32_e32 v19, v19, v106
	s_waitcnt lgkmcnt(16)
	v_sub_f32_e32 v20, v20, v107
	ds_bpermute_b32 v106, v2, v104 offset:28
	s_waitcnt lgkmcnt(15)
	v_sub_f32_e32 v21, v21, v110
	ds_bpermute_b32 v107, v2, v105 offset:36
	v_mul_f32_e32 v3, v3, v19
	v_mul_f32_e32 v20, v4, v20
	s_waitcnt lgkmcnt(14)
	v_sub_f32_e32 v22, v22, v114
	v_mul_f32_e32 v21, v5, v21
	v_add_f32_e32 v4, v4, v109
	v_fma_f32 v19, v3, v108, v101
	s_waitcnt lgkmcnt(12)
	v_sub_f32_e32 v23, v23, v116
	v_mul_f32_e32 v22, v6, v22
	ds_bpermute_b32 v108, v2, v104 offset:40
	v_add_f32_e32 v4, v5, v4
	v_fmac_f32_e32 v19, v20, v111
	v_mul_f32_e32 v23, v7, v23
	ds_bpermute_b32 v5, v2, v104 offset:44
	ds_bpermute_b32 v3, v2, v105 offset:40
	v_add_f32_e32 v4, v6, v4
	v_fmac_f32_e32 v19, v21, v112
	s_waitcnt lgkmcnt(13)
	v_sub_f32_e32 v21, v24, v118
	ds_bpermute_b32 v20, v2, v105 offset:44
	ds_bpermute_b32 v6, v2, v105 offset:48
	v_add_f32_e32 v4, v7, v4
	v_fmac_f32_e32 v19, v22, v113
	s_waitcnt lgkmcnt(13)
	v_sub_f32_e32 v22, v25, v120
	v_mul_f32_e32 v21, v8, v21
	ds_bpermute_b32 v7, v2, v104 offset:48
	v_add_f32_e32 v4, v8, v4
	v_fmac_f32_e32 v19, v23, v115
	s_waitcnt lgkmcnt(7)
	v_sub_f32_e32 v23, v26, v106
	v_mul_f32_e32 v22, v9, v22
	ds_bpermute_b32 v8, v2, v105 offset:52
	v_add_f32_e32 v4, v9, v4
	v_fmac_f32_e32 v19, v21, v117
	v_sub_f32_e32 v21, v27, v123
	v_mul_f32_e32 v23, v10, v23
	ds_bpermute_b32 v9, v2, v104 offset:52
	v_add_f32_e32 v4, v10, v4
	v_fmac_f32_e32 v19, v22, v119
	v_sub_f32_e32 v22, v28, v124
	v_mul_f32_e32 v21, v11, v21
	ds_bpermute_b32 v10, v2, v104 offset:56
	v_add_f32_e32 v4, v11, v4
	v_fmac_f32_e32 v19, v23, v121
	s_waitcnt lgkmcnt(8)
	v_sub_f32_e32 v23, v29, v108
	v_mul_f32_e32 v22, v12, v22
	s_waitcnt lgkmcnt(7)
	v_sub_f32_e32 v5, v30, v5
	v_add_f32_e32 v4, v12, v4
	v_fmac_f32_e32 v19, v21, v122
	v_mul_f32_e32 v21, v13, v23
	ds_bpermute_b32 v11, v2, v105 offset:56
	s_waitcnt lgkmcnt(4)
	v_sub_f32_e32 v7, v31, v7
	v_mul_f32_e32 v5, v14, v5
	v_fmac_f32_e32 v19, v22, v107
	v_add_f32_e32 v4, v13, v4
	ds_bpermute_b32 v105, v2, v105 offset:60
	s_waitcnt lgkmcnt(3)
	v_sub_f32_e32 v9, v32, v9
	v_mul_f32_e32 v7, v15, v7
	v_fmac_f32_e32 v19, v21, v3
	ds_bpermute_b32 v3, v2, v104 offset:60
	v_add_f32_e32 v4, v14, v4
	v_mul_f32_e32 v9, v16, v9
	v_fmac_f32_e32 v19, v5, v20
	s_waitcnt lgkmcnt(3)
	v_sub_f32_e32 v5, v33, v10
	v_add_f32_e32 v4, v15, v4
	v_fmac_f32_e32 v19, v7, v6
	v_mul_f32_e32 v5, v17, v5
	v_add_f32_e32 v4, v16, v4
	v_fmac_f32_e32 v19, v9, v8
	v_add_f32_e32 v4, v17, v4
	s_waitcnt lgkmcnt(2)
	v_fmac_f32_e32 v19, v5, v11
.LBB82_41:                              ;   in Loop: Header=BB82_3 Depth=1
	s_and_b32 vcc_lo, exec_lo, s1
	s_cbranch_vccz .LBB82_64
; %bb.42:                               ;   in Loop: Header=BB82_3 Depth=1
	s_load_dword s1, s[20:21], 0x0
	s_waitcnt lgkmcnt(0)
	v_mov_b32_e32 v105, 0
	v_mov_b32_e32 v104, 0
	s_cmp_lt_u32 s6, s1
	s_cselect_b32 s1, 12, 18
	s_add_u32 s30, s20, s1
	s_addc_u32 s31, s21, 0
	s_mov_b32 s1, exec_lo
	global_load_ushort v3, v2, s[30:31]
	s_waitcnt vmcnt(0)
	v_mad_u32_u24 v3, v1, v3, v125
	v_and_b32_e32 v3, 31, v3
	v_cmpx_gt_u32_e32 16, v3
	s_cbranch_execz .LBB82_46
; %bb.43:                               ;   in Loop: Header=BB82_3 Depth=1
	v_add_co_u32 v3, vcc_lo, v102, v3
	v_add_co_ci_u32_e64 v4, null, 0, v103, vcc_lo
	v_mov_b32_e32 v104, 0
	v_add_co_u32 v3, vcc_lo, 0xffffff01, v3
	v_add_co_ci_u32_e64 v4, null, -1, v4, vcc_lo
	v_mov_b32_e32 v105, 0
	s_mov_b32 s30, exec_lo
	v_cmpx_gt_i64_e64 s[8:9], v[3:4]
	s_cbranch_execz .LBB82_45
; %bb.44:                               ;   in Loop: Header=BB82_3 Depth=1
	v_lshlrev_b64 v[3:4], 2, v[3:4]
	v_add_co_u32 v5, vcc_lo, s16, v3
	v_add_co_ci_u32_e64 v6, null, s17, v4, vcc_lo
	v_add_co_u32 v3, vcc_lo, s18, v3
	v_add_co_ci_u32_e64 v4, null, s19, v4, vcc_lo
	global_load_dword v104, v[5:6], off
	global_load_dword v105, v[3:4], off
.LBB82_45:                              ;   in Loop: Header=BB82_3 Depth=1
	s_or_b32 exec_lo, exec_lo, s30
.LBB82_46:                              ;   in Loop: Header=BB82_3 Depth=1
	s_or_b32 exec_lo, exec_lo, s1
	v_mov_b32_e32 v17, v2
	v_mov_b32_e32 v3, v2
	;; [unrolled: 1-line block ×47, first 2 shown]
	s_and_saveexec_b32 s1, s0
	s_cbranch_execnz .LBB82_66
; %bb.47:                               ;   in Loop: Header=BB82_3 Depth=1
	s_or_b32 exec_lo, exec_lo, s1
	s_and_saveexec_b32 s1, s0
	s_cbranch_execnz .LBB82_67
.LBB82_48:                              ;   in Loop: Header=BB82_3 Depth=1
	s_or_b32 exec_lo, exec_lo, s1
	s_and_saveexec_b32 s1, s0
	s_cbranch_execnz .LBB82_68
.LBB82_49:                              ;   in Loop: Header=BB82_3 Depth=1
	s_or_b32 exec_lo, exec_lo, s1
	s_and_saveexec_b32 s1, s0
	s_cbranch_execnz .LBB82_69
.LBB82_50:                              ;   in Loop: Header=BB82_3 Depth=1
	s_or_b32 exec_lo, exec_lo, s1
	s_and_saveexec_b32 s1, s0
	s_cbranch_execnz .LBB82_70
.LBB82_51:                              ;   in Loop: Header=BB82_3 Depth=1
	s_or_b32 exec_lo, exec_lo, s1
	s_and_saveexec_b32 s1, s0
	s_cbranch_execnz .LBB82_71
.LBB82_52:                              ;   in Loop: Header=BB82_3 Depth=1
	s_or_b32 exec_lo, exec_lo, s1
	s_and_saveexec_b32 s1, s0
	s_cbranch_execnz .LBB82_72
.LBB82_53:                              ;   in Loop: Header=BB82_3 Depth=1
	s_or_b32 exec_lo, exec_lo, s1
	s_and_saveexec_b32 s1, s0
	s_cbranch_execnz .LBB82_73
.LBB82_54:                              ;   in Loop: Header=BB82_3 Depth=1
	s_or_b32 exec_lo, exec_lo, s1
	s_and_saveexec_b32 s1, s0
	s_cbranch_execnz .LBB82_74
.LBB82_55:                              ;   in Loop: Header=BB82_3 Depth=1
	s_or_b32 exec_lo, exec_lo, s1
	s_and_saveexec_b32 s1, s0
	s_cbranch_execnz .LBB82_75
.LBB82_56:                              ;   in Loop: Header=BB82_3 Depth=1
	s_or_b32 exec_lo, exec_lo, s1
	s_and_saveexec_b32 s1, s0
	s_cbranch_execnz .LBB82_76
.LBB82_57:                              ;   in Loop: Header=BB82_3 Depth=1
	s_or_b32 exec_lo, exec_lo, s1
	s_and_saveexec_b32 s1, s0
	s_cbranch_execnz .LBB82_77
.LBB82_58:                              ;   in Loop: Header=BB82_3 Depth=1
	s_or_b32 exec_lo, exec_lo, s1
	s_and_saveexec_b32 s1, s0
	s_cbranch_execnz .LBB82_78
.LBB82_59:                              ;   in Loop: Header=BB82_3 Depth=1
	s_or_b32 exec_lo, exec_lo, s1
	s_and_saveexec_b32 s1, s0
	s_cbranch_execnz .LBB82_79
.LBB82_60:                              ;   in Loop: Header=BB82_3 Depth=1
	s_or_b32 exec_lo, exec_lo, s1
	s_and_saveexec_b32 s1, s0
	s_cbranch_execnz .LBB82_80
.LBB82_61:                              ;   in Loop: Header=BB82_3 Depth=1
	s_or_b32 exec_lo, exec_lo, s1
	s_and_saveexec_b32 s1, s0
	s_cbranch_execz .LBB82_63
.LBB82_62:                              ;   in Loop: Header=BB82_3 Depth=1
	v_add_co_u32 v102, vcc_lo, v40, v35
	v_add_co_ci_u32_e64 v103, null, v41, v36, vcc_lo
	v_add_co_u32 v106, vcc_lo, v42, v35
	v_add_co_ci_u32_e64 v107, null, v43, v36, vcc_lo
	global_load_ushort v18, v[102:103], off
	global_load_ushort v34, v[106:107], off
	s_waitcnt vmcnt(1)
	v_cvt_f32_f16_e32 v18, v18
	s_waitcnt vmcnt(0)
	v_cvt_f32_f16_e32 v34, v34
.LBB82_63:                              ;   in Loop: Header=BB82_3 Depth=1
	s_or_b32 exec_lo, exec_lo, s1
	s_waitcnt vmcnt(1)
	ds_bpermute_b32 v102, v2, v104
	ds_bpermute_b32 v103, v2, v104 offset:4
	s_waitcnt vmcnt(0)
	ds_bpermute_b32 v106, v2, v105
	ds_bpermute_b32 v107, v2, v104 offset:8
	ds_bpermute_b32 v108, v2, v105 offset:4
	;; [unrolled: 1-line block ×5, first 2 shown]
	v_add_f32_e32 v0, v0, v3
	ds_bpermute_b32 v110, v2, v105 offset:12
	ds_bpermute_b32 v115, v2, v104 offset:20
	;; [unrolled: 1-line block ×7, first 2 shown]
	v_add_f32_e32 v0, v4, v0
	ds_bpermute_b32 v119, v2, v105 offset:32
	s_waitcnt lgkmcnt(15)
	v_sub_f32_e32 v19, v19, v102
	s_waitcnt lgkmcnt(14)
	v_sub_f32_e32 v20, v20, v103
	ds_bpermute_b32 v102, v2, v105 offset:28
	s_waitcnt lgkmcnt(13)
	v_sub_f32_e32 v21, v21, v107
	v_add_f32_e32 v0, v5, v0
	v_mul_f32_e32 v3, v3, v19
	v_mul_f32_e32 v20, v4, v20
	s_waitcnt lgkmcnt(11)
	v_sub_f32_e32 v22, v22, v111
	v_mul_f32_e32 v21, v5, v21
	ds_bpermute_b32 v19, v2, v104 offset:32
	v_fmac_f32_e32 v101, v3, v106
	s_waitcnt lgkmcnt(10)
	v_sub_f32_e32 v4, v23, v113
	v_mul_f32_e32 v22, v6, v22
	ds_bpermute_b32 v3, v2, v104 offset:36
	s_waitcnt lgkmcnt(9)
	v_sub_f32_e32 v5, v24, v115
	v_fmac_f32_e32 v101, v20, v108
	v_mul_f32_e32 v4, v7, v4
	ds_bpermute_b32 v20, v2, v104 offset:40
	v_add_f32_e32 v0, v6, v0
	s_waitcnt lgkmcnt(8)
	v_sub_f32_e32 v6, v25, v117
	v_fmac_f32_e32 v101, v21, v109
	v_mul_f32_e32 v5, v8, v5
	ds_bpermute_b32 v103, v2, v105 offset:36
	v_add_f32_e32 v0, v7, v0
	s_waitcnt lgkmcnt(7)
	v_sub_f32_e32 v7, v26, v118
	v_fmac_f32_e32 v101, v22, v110
	ds_bpermute_b32 v22, v2, v104 offset:44
	v_mul_f32_e32 v6, v9, v6
	ds_bpermute_b32 v106, v2, v105 offset:40
	s_waitcnt lgkmcnt(5)
	v_sub_f32_e32 v19, v27, v19
	v_fmac_f32_e32 v101, v4, v112
	v_add_f32_e32 v0, v8, v0
	v_mul_f32_e32 v7, v10, v7
	ds_bpermute_b32 v21, v2, v105 offset:44
	s_waitcnt lgkmcnt(5)
	v_sub_f32_e32 v3, v28, v3
	v_fmac_f32_e32 v101, v5, v114
	ds_bpermute_b32 v5, v2, v104 offset:48
	v_mul_f32_e32 v8, v11, v19
	v_add_f32_e32 v0, v9, v0
	ds_bpermute_b32 v4, v2, v105 offset:48
	v_fmac_f32_e32 v101, v6, v116
	ds_bpermute_b32 v6, v2, v104 offset:52
	s_waitcnt lgkmcnt(7)
	v_sub_f32_e32 v9, v29, v20
	v_mul_f32_e32 v3, v12, v3
	v_add_f32_e32 v0, v10, v0
	v_fmac_f32_e32 v101, v7, v102
	ds_bpermute_b32 v7, v2, v105 offset:52
	s_waitcnt lgkmcnt(6)
	v_sub_f32_e32 v10, v30, v22
	v_mul_f32_e32 v9, v13, v9
	v_add_f32_e32 v0, v11, v0
	v_fmac_f32_e32 v101, v8, v119
	ds_bpermute_b32 v8, v2, v104 offset:56
	v_add_f32_e32 v0, v12, v0
	v_fmac_f32_e32 v101, v3, v103
	s_waitcnt lgkmcnt(4)
	v_sub_f32_e32 v3, v31, v5
	v_mul_f32_e32 v5, v14, v10
	v_add_f32_e32 v0, v13, v0
	v_fmac_f32_e32 v101, v9, v106
	ds_bpermute_b32 v9, v2, v105 offset:56
	s_waitcnt lgkmcnt(3)
	v_sub_f32_e32 v6, v32, v6
	v_mul_f32_e32 v10, v15, v3
	ds_bpermute_b32 v105, v2, v105 offset:60
	v_fmac_f32_e32 v101, v5, v21
	ds_bpermute_b32 v3, v2, v104 offset:60
	v_mul_f32_e32 v5, v16, v6
	v_add_f32_e32 v0, v14, v0
	v_fmac_f32_e32 v101, v10, v4
	s_waitcnt lgkmcnt(3)
	v_sub_f32_e32 v4, v33, v8
	v_add_f32_e32 v0, v15, v0
	v_fmac_f32_e32 v101, v5, v7
	v_mul_f32_e32 v4, v17, v4
	v_add_f32_e32 v0, v16, v0
	s_waitcnt lgkmcnt(2)
	v_fmac_f32_e32 v101, v4, v9
	v_add_f32_e32 v4, v17, v0
	v_mov_b32_e32 v19, v101
.LBB82_64:                              ;   in Loop: Header=BB82_3 Depth=1
	v_add_co_u32 v126, vcc_lo, v126, s22
	v_add_co_ci_u32_e64 v37, null, s23, v37, vcc_lo
	v_add_co_u32 v38, vcc_lo, v38, s22
	v_add_co_ci_u32_e64 v39, null, s23, v39, vcc_lo
	;; [unrolled: 2-line block ×26, first 2 shown]
	v_add_co_u32 v89, vcc_lo, v89, s22
	s_waitcnt lgkmcnt(0)
	v_sub_f32_e32 v3, v34, v3
	v_add_co_ci_u32_e64 v90, null, s23, v90, vcc_lo
	v_add_co_u32 v91, vcc_lo, v91, s22
	v_add_co_ci_u32_e64 v92, null, s23, v92, vcc_lo
	v_add_co_u32 v93, vcc_lo, v93, s22
	s_add_u32 s26, s26, s29
	v_add_co_ci_u32_e64 v94, null, s23, v94, vcc_lo
	v_add_co_u32 v95, vcc_lo, v95, s22
	v_mul_f32_e32 v3, v18, v3
	s_addc_u32 s27, s27, 0
	v_add_co_ci_u32_e64 v96, null, s23, v96, vcc_lo
	v_add_co_u32 v97, vcc_lo, v97, s22
	v_cmp_lt_i64_e64 s1, s[26:27], s[8:9]
	v_add_co_ci_u32_e64 v98, null, s23, v98, vcc_lo
	v_add_co_u32 v99, vcc_lo, v99, s22
	v_add_f32_e32 v0, v4, v18
	v_fmac_f32_e32 v19, v3, v105
	v_add_co_ci_u32_e64 v100, null, s23, v100, vcc_lo
	s_add_u32 s24, s24, s29
	s_addc_u32 s25, s25, 0
	s_and_b32 vcc_lo, exec_lo, s1
	s_cbranch_vccz .LBB82_82
; %bb.65:                               ;   in Loop: Header=BB82_3 Depth=1
	v_mov_b32_e32 v101, v19
	s_branch .LBB82_3
.LBB82_66:                              ;   in Loop: Header=BB82_3 Depth=1
	v_add_co_u32 v3, vcc_lo, v126, v35
	v_add_co_ci_u32_e64 v4, null, v37, v36, vcc_lo
	v_add_co_u32 v5, vcc_lo, v38, v35
	v_add_co_ci_u32_e64 v6, null, v39, v36, vcc_lo
	global_load_ushort v3, v[3:4], off
	global_load_ushort v19, v[5:6], off
	v_mov_b32_e32 v4, v2
	v_mov_b32_e32 v5, v2
	;; [unrolled: 1-line block ×30, first 2 shown]
	s_waitcnt vmcnt(1)
	v_cvt_f32_f16_e32 v3, v3
	s_waitcnt vmcnt(0)
	v_cvt_f32_f16_e32 v19, v19
	s_or_b32 exec_lo, exec_lo, s1
	s_and_saveexec_b32 s1, s0
	s_cbranch_execz .LBB82_48
.LBB82_67:                              ;   in Loop: Header=BB82_3 Depth=1
	v_add_co_u32 v102, vcc_lo, v97, v35
	v_add_co_ci_u32_e64 v103, null, v98, v36, vcc_lo
	v_add_co_u32 v106, vcc_lo, v99, v35
	v_add_co_ci_u32_e64 v107, null, v100, v36, vcc_lo
	global_load_ushort v4, v[102:103], off
	global_load_ushort v20, v[106:107], off
	s_waitcnt vmcnt(1)
	v_cvt_f32_f16_e32 v4, v4
	s_waitcnt vmcnt(0)
	v_cvt_f32_f16_e32 v20, v20
	s_or_b32 exec_lo, exec_lo, s1
	s_and_saveexec_b32 s1, s0
	s_cbranch_execz .LBB82_49
.LBB82_68:                              ;   in Loop: Header=BB82_3 Depth=1
	v_add_co_u32 v102, vcc_lo, v93, v35
	v_add_co_ci_u32_e64 v103, null, v94, v36, vcc_lo
	v_add_co_u32 v106, vcc_lo, v95, v35
	v_add_co_ci_u32_e64 v107, null, v96, v36, vcc_lo
	global_load_ushort v5, v[102:103], off
	global_load_ushort v21, v[106:107], off
	s_waitcnt vmcnt(1)
	v_cvt_f32_f16_e32 v5, v5
	s_waitcnt vmcnt(0)
	v_cvt_f32_f16_e32 v21, v21
	s_or_b32 exec_lo, exec_lo, s1
	s_and_saveexec_b32 s1, s0
	s_cbranch_execz .LBB82_50
.LBB82_69:                              ;   in Loop: Header=BB82_3 Depth=1
	v_add_co_u32 v102, vcc_lo, v89, v35
	v_add_co_ci_u32_e64 v103, null, v90, v36, vcc_lo
	v_add_co_u32 v106, vcc_lo, v91, v35
	v_add_co_ci_u32_e64 v107, null, v92, v36, vcc_lo
	global_load_ushort v6, v[102:103], off
	global_load_ushort v22, v[106:107], off
	s_waitcnt vmcnt(1)
	v_cvt_f32_f16_e32 v6, v6
	s_waitcnt vmcnt(0)
	v_cvt_f32_f16_e32 v22, v22
	s_or_b32 exec_lo, exec_lo, s1
	s_and_saveexec_b32 s1, s0
	s_cbranch_execz .LBB82_51
.LBB82_70:                              ;   in Loop: Header=BB82_3 Depth=1
	v_add_co_u32 v102, vcc_lo, v85, v35
	v_add_co_ci_u32_e64 v103, null, v86, v36, vcc_lo
	v_add_co_u32 v106, vcc_lo, v87, v35
	v_add_co_ci_u32_e64 v107, null, v88, v36, vcc_lo
	global_load_ushort v7, v[102:103], off
	global_load_ushort v23, v[106:107], off
	s_waitcnt vmcnt(1)
	v_cvt_f32_f16_e32 v7, v7
	s_waitcnt vmcnt(0)
	v_cvt_f32_f16_e32 v23, v23
	s_or_b32 exec_lo, exec_lo, s1
	s_and_saveexec_b32 s1, s0
	s_cbranch_execz .LBB82_52
.LBB82_71:                              ;   in Loop: Header=BB82_3 Depth=1
	v_add_co_u32 v102, vcc_lo, v81, v35
	v_add_co_ci_u32_e64 v103, null, v82, v36, vcc_lo
	v_add_co_u32 v106, vcc_lo, v83, v35
	v_add_co_ci_u32_e64 v107, null, v84, v36, vcc_lo
	global_load_ushort v8, v[102:103], off
	global_load_ushort v24, v[106:107], off
	s_waitcnt vmcnt(1)
	v_cvt_f32_f16_e32 v8, v8
	s_waitcnt vmcnt(0)
	v_cvt_f32_f16_e32 v24, v24
	s_or_b32 exec_lo, exec_lo, s1
	s_and_saveexec_b32 s1, s0
	s_cbranch_execz .LBB82_53
.LBB82_72:                              ;   in Loop: Header=BB82_3 Depth=1
	v_add_co_u32 v102, vcc_lo, v77, v35
	v_add_co_ci_u32_e64 v103, null, v78, v36, vcc_lo
	v_add_co_u32 v106, vcc_lo, v79, v35
	v_add_co_ci_u32_e64 v107, null, v80, v36, vcc_lo
	global_load_ushort v9, v[102:103], off
	global_load_ushort v25, v[106:107], off
	s_waitcnt vmcnt(1)
	v_cvt_f32_f16_e32 v9, v9
	s_waitcnt vmcnt(0)
	v_cvt_f32_f16_e32 v25, v25
	s_or_b32 exec_lo, exec_lo, s1
	s_and_saveexec_b32 s1, s0
	s_cbranch_execz .LBB82_54
.LBB82_73:                              ;   in Loop: Header=BB82_3 Depth=1
	v_add_co_u32 v102, vcc_lo, v73, v35
	v_add_co_ci_u32_e64 v103, null, v74, v36, vcc_lo
	v_add_co_u32 v106, vcc_lo, v75, v35
	v_add_co_ci_u32_e64 v107, null, v76, v36, vcc_lo
	global_load_ushort v10, v[102:103], off
	global_load_ushort v26, v[106:107], off
	s_waitcnt vmcnt(1)
	v_cvt_f32_f16_e32 v10, v10
	s_waitcnt vmcnt(0)
	v_cvt_f32_f16_e32 v26, v26
	s_or_b32 exec_lo, exec_lo, s1
	s_and_saveexec_b32 s1, s0
	s_cbranch_execz .LBB82_55
.LBB82_74:                              ;   in Loop: Header=BB82_3 Depth=1
	v_add_co_u32 v102, vcc_lo, v69, v35
	v_add_co_ci_u32_e64 v103, null, v70, v36, vcc_lo
	v_add_co_u32 v106, vcc_lo, v71, v35
	v_add_co_ci_u32_e64 v107, null, v72, v36, vcc_lo
	global_load_ushort v11, v[102:103], off
	global_load_ushort v27, v[106:107], off
	s_waitcnt vmcnt(1)
	v_cvt_f32_f16_e32 v11, v11
	s_waitcnt vmcnt(0)
	v_cvt_f32_f16_e32 v27, v27
	s_or_b32 exec_lo, exec_lo, s1
	s_and_saveexec_b32 s1, s0
	s_cbranch_execz .LBB82_56
.LBB82_75:                              ;   in Loop: Header=BB82_3 Depth=1
	v_add_co_u32 v102, vcc_lo, v65, v35
	v_add_co_ci_u32_e64 v103, null, v66, v36, vcc_lo
	v_add_co_u32 v106, vcc_lo, v67, v35
	v_add_co_ci_u32_e64 v107, null, v68, v36, vcc_lo
	global_load_ushort v12, v[102:103], off
	global_load_ushort v28, v[106:107], off
	s_waitcnt vmcnt(1)
	v_cvt_f32_f16_e32 v12, v12
	s_waitcnt vmcnt(0)
	v_cvt_f32_f16_e32 v28, v28
	s_or_b32 exec_lo, exec_lo, s1
	s_and_saveexec_b32 s1, s0
	s_cbranch_execz .LBB82_57
.LBB82_76:                              ;   in Loop: Header=BB82_3 Depth=1
	v_add_co_u32 v102, vcc_lo, v61, v35
	v_add_co_ci_u32_e64 v103, null, v62, v36, vcc_lo
	v_add_co_u32 v106, vcc_lo, v63, v35
	v_add_co_ci_u32_e64 v107, null, v64, v36, vcc_lo
	global_load_ushort v13, v[102:103], off
	global_load_ushort v29, v[106:107], off
	s_waitcnt vmcnt(1)
	v_cvt_f32_f16_e32 v13, v13
	s_waitcnt vmcnt(0)
	v_cvt_f32_f16_e32 v29, v29
	s_or_b32 exec_lo, exec_lo, s1
	s_and_saveexec_b32 s1, s0
	s_cbranch_execz .LBB82_58
.LBB82_77:                              ;   in Loop: Header=BB82_3 Depth=1
	v_add_co_u32 v102, vcc_lo, v57, v35
	v_add_co_ci_u32_e64 v103, null, v58, v36, vcc_lo
	v_add_co_u32 v106, vcc_lo, v59, v35
	v_add_co_ci_u32_e64 v107, null, v60, v36, vcc_lo
	global_load_ushort v14, v[102:103], off
	global_load_ushort v30, v[106:107], off
	s_waitcnt vmcnt(1)
	v_cvt_f32_f16_e32 v14, v14
	s_waitcnt vmcnt(0)
	v_cvt_f32_f16_e32 v30, v30
	s_or_b32 exec_lo, exec_lo, s1
	s_and_saveexec_b32 s1, s0
	s_cbranch_execz .LBB82_59
.LBB82_78:                              ;   in Loop: Header=BB82_3 Depth=1
	v_add_co_u32 v102, vcc_lo, v52, v35
	v_add_co_ci_u32_e64 v103, null, v53, v36, vcc_lo
	v_add_co_u32 v106, vcc_lo, v54, v35
	v_add_co_ci_u32_e64 v107, null, v55, v36, vcc_lo
	global_load_ushort v15, v[102:103], off
	global_load_ushort v31, v[106:107], off
	s_waitcnt vmcnt(1)
	v_cvt_f32_f16_e32 v15, v15
	s_waitcnt vmcnt(0)
	v_cvt_f32_f16_e32 v31, v31
	s_or_b32 exec_lo, exec_lo, s1
	s_and_saveexec_b32 s1, s0
	s_cbranch_execz .LBB82_60
.LBB82_79:                              ;   in Loop: Header=BB82_3 Depth=1
	v_add_co_u32 v102, vcc_lo, v48, v35
	v_add_co_ci_u32_e64 v103, null, v49, v36, vcc_lo
	v_add_co_u32 v106, vcc_lo, v50, v35
	v_add_co_ci_u32_e64 v107, null, v51, v36, vcc_lo
	global_load_ushort v16, v[102:103], off
	global_load_ushort v32, v[106:107], off
	s_waitcnt vmcnt(1)
	v_cvt_f32_f16_e32 v16, v16
	s_waitcnt vmcnt(0)
	v_cvt_f32_f16_e32 v32, v32
	s_or_b32 exec_lo, exec_lo, s1
	s_and_saveexec_b32 s1, s0
	s_cbranch_execz .LBB82_61
.LBB82_80:                              ;   in Loop: Header=BB82_3 Depth=1
	v_add_co_u32 v102, vcc_lo, v44, v35
	v_add_co_ci_u32_e64 v103, null, v45, v36, vcc_lo
	v_add_co_u32 v106, vcc_lo, v46, v35
	v_add_co_ci_u32_e64 v107, null, v47, v36, vcc_lo
	global_load_ushort v17, v[102:103], off
	global_load_ushort v33, v[106:107], off
	s_waitcnt vmcnt(1)
	v_cvt_f32_f16_e32 v17, v17
	s_waitcnt vmcnt(0)
	v_cvt_f32_f16_e32 v33, v33
	s_or_b32 exec_lo, exec_lo, s1
	s_and_saveexec_b32 s1, s0
	s_cbranch_execnz .LBB82_62
	s_branch .LBB82_63
.LBB82_81:
                                        ; implicit-def: $vgpr19
                                        ; implicit-def: $vgpr0
	s_branch .LBB82_83
.LBB82_82:
	s_cbranch_execnz .LBB82_132
.LBB82_83:
	v_mov_b32_e32 v19, 0
	v_mov_b32_e32 v0, 0
	s_andn2_b32 vcc_lo, exec_lo, s7
	s_cbranch_vccnz .LBB82_132
; %bb.84:
	v_lshlrev_b32_e32 v0, 4, v1
	v_mov_b32_e32 v2, 0
	v_add_nc_u32_e32 v3, s28, v125
	s_load_dword s7, s[4:5], 0x44
	s_add_u32 s0, s4, 64
	buffer_store_dword v0, off, s[36:39], 0 offset:164 ; 4-byte Folded Spill
	v_add_co_u32 v0, s20, v0, s2
	v_mov_b32_e32 v4, v2
	v_add_co_ci_u32_e64 v97, null, 0, 0, s20
	v_mul_lo_u32 v5, s11, v0
	s_addc_u32 s1, s5, 0
	v_lshlrev_b64 v[35:36], 1, v[3:4]
	v_mul_lo_u32 v6, s10, v97
	v_mad_u64_u32 v[3:4], null, s10, v0, 0
	buffer_store_dword v1, off, s[36:39], 0 offset:160 ; 4-byte Folded Spill
	buffer_store_dword v125, off, s[36:39], 0 offset:156 ; 4-byte Folded Spill
	v_mov_b32_e32 v103, 0
	v_mov_b32_e32 v98, 0
	v_add3_u32 v4, v4, v6, v5
	s_waitcnt lgkmcnt(0)
	s_lshl_b32 s7, s7, 8
	s_mul_i32 s20, s11, s7
	s_mul_hi_u32 s21, s10, s7
	v_lshlrev_b64 v[5:6], 1, v[3:4]
	s_add_i32 s21, s21, s20
	s_mul_i32 s20, s10, s7
	s_lshl_b64 s[20:21], s[20:21], 1
	s_add_u32 s22, s2, 0xff
	v_add_co_u32 v7, vcc_lo, s12, v5
	s_addc_u32 s23, 0, 0
	s_lshl_b64 s[24:25], s[2:3], 1
	buffer_store_dword v7, off, s[36:39], 0 ; 4-byte Folded Spill
	v_add_co_ci_u32_e64 v7, null, s13, v6, vcc_lo
	v_add_co_u32 v5, vcc_lo, s14, v5
	buffer_store_dword v7, off, s[36:39], 0 offset:4 ; 4-byte Folded Spill
	buffer_store_dword v5, off, s[36:39], 0 offset:8 ; 4-byte Folded Spill
	v_add_co_ci_u32_e64 v5, null, s15, v6, vcc_lo
	buffer_store_dword v5, off, s[36:39], 0 offset:12 ; 4-byte Folded Spill
	v_lshlrev_b32_e32 v5, 5, v1
	v_add_co_u32 v5, s24, v5, s24
	v_add_co_ci_u32_e64 v6, null, 0, s25, s24
	v_add_co_u32 v67, vcc_lo, v5, 2
	v_add_co_ci_u32_e64 v7, null, 0, v6, vcc_lo
	v_add_co_u32 v70, vcc_lo, v5, 4
	v_mad_u64_u32 v[37:38], null, s10, v67, s[12:13]
	v_mul_lo_u32 v69, s10, v7
	v_add_co_ci_u32_e64 v7, null, 0, v6, vcc_lo
	v_add_co_u32 v71, vcc_lo, v5, 6
	v_mul_lo_u32 v72, s11, v67
	v_mul_lo_u32 v81, s10, v7
	v_add_co_ci_u32_e64 v7, null, 0, v6, vcc_lo
	v_add_co_u32 v73, vcc_lo, v5, 8
	v_mad_u64_u32 v[67:68], null, s10, v67, s[14:15]
	v_mul_lo_u32 v74, s10, v7
	v_add_co_ci_u32_e64 v7, null, 0, v6, vcc_lo
	v_add_co_u32 v75, vcc_lo, v5, 10
	v_add3_u32 v38, v72, v38, v69
	v_mul_lo_u32 v76, s10, v7
	v_add_co_ci_u32_e64 v7, null, 0, v6, vcc_lo
	v_add_co_u32 v32, vcc_lo, v5, 12
	v_mad_u64_u32 v[41:42], null, s10, v71, s[12:13]
	v_mul_lo_u32 v77, s10, v7
	v_add_co_ci_u32_e64 v7, null, 0, v6, vcc_lo
	v_add_co_u32 v31, vcc_lo, v5, 14
	v_mul_lo_u32 v80, s11, v71
	v_mul_lo_u32 v33, s10, v7
	v_add_co_ci_u32_e64 v7, null, 0, v6, vcc_lo
	v_add_co_u32 v26, vcc_lo, v5, 16
	v_add3_u32 v68, v72, v68, v69
	v_mul_lo_u32 v29, s10, v7
	v_add_co_ci_u32_e64 v7, null, 0, v6, vcc_lo
	v_add_co_u32 v25, vcc_lo, v5, 18
	v_mad_u64_u32 v[71:72], null, s10, v71, s[14:15]
	v_mul_lo_u32 v27, s10, v7
	v_add_co_ci_u32_e64 v7, null, 0, v6, vcc_lo
	v_add_co_u32 v20, vcc_lo, v5, 20
	v_add3_u32 v42, v80, v42, v74
	v_mul_lo_u32 v23, s10, v7
	v_add_co_ci_u32_e64 v7, null, 0, v6, vcc_lo
	v_add_co_u32 v19, vcc_lo, v5, 22
	v_mad_u64_u32 v[43:44], null, s10, v73, s[12:13]
	v_mul_lo_u32 v21, s10, v7
	v_add_co_ci_u32_e64 v7, null, 0, v6, vcc_lo
	v_add_co_u32 v14, vcc_lo, v5, 24
	v_mul_lo_u32 v79, s11, v73
	v_mul_lo_u32 v17, s10, v7
	v_add_co_ci_u32_e64 v7, null, 0, v6, vcc_lo
	v_add_co_u32 v11, vcc_lo, v5, 26
	v_add3_u32 v72, v80, v72, v74
	v_mul_lo_u32 v15, s10, v7
	v_add_co_ci_u32_e64 v7, null, 0, v6, vcc_lo
	v_add_co_u32 v8, vcc_lo, v5, 28
	v_mad_u64_u32 v[73:74], null, s10, v73, s[14:15]
	v_mul_lo_u32 v12, s10, v7
	v_add_co_ci_u32_e64 v7, null, 0, v6, vcc_lo
	v_add_co_u32 v5, vcc_lo, v5, 30
	v_add_co_ci_u32_e64 v6, null, 0, v6, vcc_lo
	v_mul_lo_u32 v9, s10, v7
	v_mad_u64_u32 v[65:66], null, s10, v5, s[12:13]
	v_mul_lo_u32 v6, s10, v6
	v_mul_lo_u32 v7, s11, v5
	v_mad_u64_u32 v[95:96], null, s10, v5, s[14:15]
	v_add_co_u32 v5, vcc_lo, v0, 15
	v_mad_u64_u32 v[63:64], null, s10, v8, s[12:13]
	v_mul_lo_u32 v10, s11, v8
	v_add3_u32 v66, v7, v66, v6
	v_add3_u32 v96, v7, v96, v6
	v_add_co_ci_u32_e64 v6, null, 0, v97, vcc_lo
	v_mad_u64_u32 v[93:94], null, s10, v8, s[14:15]
	v_mul_lo_u32 v7, s11, v5
	v_mul_lo_u32 v8, s10, v6
	v_mad_u64_u32 v[5:6], null, s10, v5, 0
	v_mad_u64_u32 v[39:40], null, s10, v70, s[12:13]
	v_mul_lo_u32 v82, s11, v70
	v_add3_u32 v44, v79, v44, v76
	v_mad_u64_u32 v[45:46], null, s10, v75, s[12:13]
	v_add3_u32 v6, v6, v8, v7
	v_mul_lo_u32 v78, s11, v75
	v_mad_u64_u32 v[69:70], null, s10, v70, s[14:15]
	v_add3_u32 v74, v79, v74, v76
	v_lshlrev_b64 v[5:6], 1, v[5:6]
	v_mad_u64_u32 v[75:76], null, s10, v75, s[14:15]
	v_add3_u32 v40, v82, v40, v81
	v_add3_u32 v46, v78, v46, v77
	v_mad_u64_u32 v[47:48], null, s10, v32, s[12:13]
	v_add_co_u32 v1, vcc_lo, s12, v5
	v_mul_lo_u32 v34, s11, v32
	v_mad_u64_u32 v[49:50], null, s10, v31, s[12:13]
	buffer_store_dword v1, off, s[36:39], 0 offset:16 ; 4-byte Folded Spill
	v_add_co_ci_u32_e64 v1, null, s13, v6, vcc_lo
	v_mul_lo_u32 v30, s11, v31
	v_mad_u64_u32 v[51:52], null, s10, v26, s[12:13]
	buffer_store_dword v1, off, s[36:39], 0 offset:20 ; 4-byte Folded Spill
	v_add_co_u32 v1, vcc_lo, s14, v5
	v_mul_lo_u32 v28, s11, v26
	v_mad_u64_u32 v[53:54], null, s10, v25, s[12:13]
	buffer_store_dword v1, off, s[36:39], 0 offset:24 ; 4-byte Folded Spill
	v_add_co_ci_u32_e64 v1, null, s15, v6, vcc_lo
	v_add_co_u32 v5, vcc_lo, v0, 14
	v_add_co_ci_u32_e64 v6, null, 0, v97, vcc_lo
	buffer_store_dword v1, off, s[36:39], 0 offset:28 ; 4-byte Folded Spill
	v_mul_lo_u32 v7, s11, v5
	v_mul_lo_u32 v24, s11, v25
	;; [unrolled: 1-line block ×3, first 2 shown]
	v_mad_u64_u32 v[5:6], null, s10, v5, 0
	v_mad_u64_u32 v[55:56], null, s10, v20, s[12:13]
	v_mul_lo_u32 v22, s11, v20
	v_mad_u64_u32 v[57:58], null, s10, v19, s[12:13]
	v_mul_lo_u32 v18, s11, v19
	v_add3_u32 v6, v6, v8, v7
	v_mad_u64_u32 v[59:60], null, s10, v14, s[12:13]
	v_mul_lo_u32 v16, s11, v14
	v_mad_u64_u32 v[61:62], null, s10, v11, s[12:13]
	v_lshlrev_b64 v[5:6], 1, v[5:6]
	v_mul_lo_u32 v13, s11, v11
	v_add3_u32 v70, v82, v70, v81
	v_add3_u32 v76, v78, v76, v77
	v_mad_u64_u32 v[77:78], null, s10, v32, s[14:15]
	v_add_co_u32 v1, vcc_lo, s12, v5
	v_mad_u64_u32 v[79:80], null, s10, v31, s[14:15]
	v_mad_u64_u32 v[81:82], null, s10, v26, s[14:15]
	buffer_store_dword v1, off, s[36:39], 0 offset:32 ; 4-byte Folded Spill
	v_add_co_ci_u32_e64 v1, null, s13, v6, vcc_lo
	v_mad_u64_u32 v[83:84], null, s10, v25, s[14:15]
	v_mad_u64_u32 v[85:86], null, s10, v20, s[14:15]
	buffer_store_dword v1, off, s[36:39], 0 offset:36 ; 4-byte Folded Spill
	v_add_co_u32 v1, vcc_lo, s14, v5
	v_mad_u64_u32 v[87:88], null, s10, v19, s[14:15]
	v_mad_u64_u32 v[89:90], null, s10, v14, s[14:15]
	buffer_store_dword v1, off, s[36:39], 0 offset:40 ; 4-byte Folded Spill
	v_add_co_ci_u32_e64 v1, null, s15, v6, vcc_lo
	v_add_co_u32 v5, vcc_lo, v0, 13
	v_add_co_ci_u32_e64 v6, null, 0, v97, vcc_lo
	buffer_store_dword v1, off, s[36:39], 0 offset:44 ; 4-byte Folded Spill
	v_mul_lo_u32 v7, s11, v5
	v_mad_u64_u32 v[91:92], null, s10, v11, s[14:15]
	v_mul_lo_u32 v8, s10, v6
	v_mad_u64_u32 v[5:6], null, s10, v5, 0
	v_add3_u32 v48, v34, v48, v33
	v_add3_u32 v50, v30, v50, v29
	v_add3_u32 v52, v28, v52, v27
	v_add3_u32 v54, v24, v54, v23
	v_add3_u32 v56, v22, v56, v21
	v_add3_u32 v58, v18, v58, v17
	v_add3_u32 v6, v6, v8, v7
	v_add3_u32 v60, v16, v60, v15
	v_add3_u32 v62, v13, v62, v12
	v_add3_u32 v64, v10, v64, v9
	v_add3_u32 v78, v34, v78, v33
	v_lshlrev_b64 v[5:6], 1, v[5:6]
	v_add3_u32 v80, v30, v80, v29
	v_add3_u32 v82, v28, v82, v27
	;; [unrolled: 1-line block ×5, first 2 shown]
	v_add_co_u32 v1, vcc_lo, s12, v5
	v_add3_u32 v90, v16, v90, v15
	v_add3_u32 v92, v13, v92, v12
	;; [unrolled: 1-line block ×3, first 2 shown]
	buffer_store_dword v1, off, s[36:39], 0 offset:48 ; 4-byte Folded Spill
	v_add_co_ci_u32_e64 v1, null, s13, v6, vcc_lo
	buffer_store_dword v1, off, s[36:39], 0 offset:52 ; 4-byte Folded Spill
	v_add_co_u32 v1, vcc_lo, s14, v5
	buffer_store_dword v1, off, s[36:39], 0 offset:56 ; 4-byte Folded Spill
	v_add_co_ci_u32_e64 v1, null, s15, v6, vcc_lo
	v_add_co_u32 v5, vcc_lo, v0, 12
	v_add_co_ci_u32_e64 v6, null, 0, v97, vcc_lo
	buffer_store_dword v1, off, s[36:39], 0 offset:60 ; 4-byte Folded Spill
	v_mul_lo_u32 v7, s11, v5
	v_mul_lo_u32 v8, s10, v6
	v_mad_u64_u32 v[5:6], null, s10, v5, 0
	v_add3_u32 v6, v6, v8, v7
	v_lshlrev_b64 v[5:6], 1, v[5:6]
	v_add_co_u32 v1, vcc_lo, s12, v5
	buffer_store_dword v1, off, s[36:39], 0 offset:64 ; 4-byte Folded Spill
	v_add_co_ci_u32_e64 v1, null, s13, v6, vcc_lo
	buffer_store_dword v1, off, s[36:39], 0 offset:68 ; 4-byte Folded Spill
	v_add_co_u32 v1, vcc_lo, s14, v5
	buffer_store_dword v1, off, s[36:39], 0 offset:72 ; 4-byte Folded Spill
	v_add_co_ci_u32_e64 v1, null, s15, v6, vcc_lo
	v_add_co_u32 v5, vcc_lo, v0, 11
	v_add_co_ci_u32_e64 v6, null, 0, v97, vcc_lo
	buffer_store_dword v1, off, s[36:39], 0 offset:76 ; 4-byte Folded Spill
	v_mul_lo_u32 v7, s11, v5
	v_mul_lo_u32 v8, s10, v6
	v_mad_u64_u32 v[5:6], null, s10, v5, 0
	v_add3_u32 v6, v6, v8, v7
	v_lshlrev_b64 v[5:6], 1, v[5:6]
	v_add_co_u32 v1, vcc_lo, s12, v5
	buffer_store_dword v1, off, s[36:39], 0 offset:80 ; 4-byte Folded Spill
	v_add_co_ci_u32_e64 v1, null, s13, v6, vcc_lo
	buffer_store_dword v1, off, s[36:39], 0 offset:84 ; 4-byte Folded Spill
	v_add_co_u32 v1, vcc_lo, s14, v5
	buffer_store_dword v1, off, s[36:39], 0 offset:88 ; 4-byte Folded Spill
	v_add_co_ci_u32_e64 v1, null, s15, v6, vcc_lo
	v_add_co_u32 v5, vcc_lo, v0, 10
	v_add_co_ci_u32_e64 v6, null, 0, v97, vcc_lo
	buffer_store_dword v1, off, s[36:39], 0 offset:92 ; 4-byte Folded Spill
	v_mul_lo_u32 v7, s11, v5
	v_mul_lo_u32 v8, s10, v6
	v_mad_u64_u32 v[5:6], null, s10, v5, 0
	v_add3_u32 v6, v6, v8, v7
	v_lshlrev_b64 v[5:6], 1, v[5:6]
	v_add_co_u32 v1, vcc_lo, s12, v5
	buffer_store_dword v1, off, s[36:39], 0 offset:96 ; 4-byte Folded Spill
	v_add_co_ci_u32_e64 v1, null, s13, v6, vcc_lo
	buffer_store_dword v1, off, s[36:39], 0 offset:100 ; 4-byte Folded Spill
	v_add_co_u32 v1, vcc_lo, s14, v5
	buffer_store_dword v1, off, s[36:39], 0 offset:104 ; 4-byte Folded Spill
	v_add_co_ci_u32_e64 v1, null, s15, v6, vcc_lo
	v_add_co_u32 v5, vcc_lo, v0, 9
	v_add_co_ci_u32_e64 v6, null, 0, v97, vcc_lo
	buffer_store_dword v1, off, s[36:39], 0 offset:108 ; 4-byte Folded Spill
	v_mul_lo_u32 v7, s11, v5
	v_mul_lo_u32 v8, s10, v6
	v_mad_u64_u32 v[5:6], null, s10, v5, 0
	v_add3_u32 v6, v6, v8, v7
	v_lshlrev_b64 v[5:6], 1, v[5:6]
	v_add_co_u32 v1, vcc_lo, s12, v5
	buffer_store_dword v1, off, s[36:39], 0 offset:112 ; 4-byte Folded Spill
	v_add_co_ci_u32_e64 v1, null, s13, v6, vcc_lo
	buffer_store_dword v1, off, s[36:39], 0 offset:116 ; 4-byte Folded Spill
	v_add_co_u32 v1, vcc_lo, s14, v5
	buffer_store_dword v1, off, s[36:39], 0 offset:120 ; 4-byte Folded Spill
	v_add_co_ci_u32_e64 v1, null, s15, v6, vcc_lo
	v_add_co_u32 v5, vcc_lo, v0, 8
	v_add_co_ci_u32_e64 v6, null, 0, v97, vcc_lo
	buffer_store_dword v1, off, s[36:39], 0 offset:124 ; 4-byte Folded Spill
	v_mul_lo_u32 v7, s11, v5
	v_mul_lo_u32 v8, s10, v6
	v_mad_u64_u32 v[5:6], null, s10, v5, 0
	v_add3_u32 v6, v6, v8, v7
	v_lshlrev_b64 v[5:6], 1, v[5:6]
	v_add_co_u32 v1, vcc_lo, s12, v5
	buffer_store_dword v1, off, s[36:39], 0 offset:128 ; 4-byte Folded Spill
	v_add_co_ci_u32_e64 v1, null, s13, v6, vcc_lo
	buffer_store_dword v1, off, s[36:39], 0 offset:132 ; 4-byte Folded Spill
	v_add_co_u32 v1, vcc_lo, s14, v5
	buffer_store_dword v1, off, s[36:39], 0 offset:136 ; 4-byte Folded Spill
	v_add_co_ci_u32_e64 v1, null, s15, v6, vcc_lo
	v_add_co_u32 v5, vcc_lo, v0, 7
	v_add_co_ci_u32_e64 v6, null, 0, v97, vcc_lo
	buffer_store_dword v1, off, s[36:39], 0 offset:140 ; 4-byte Folded Spill
	v_mul_lo_u32 v7, s11, v5
	v_mul_lo_u32 v8, s10, v6
	v_mad_u64_u32 v[5:6], null, s10, v5, 0
	v_add3_u32 v6, v6, v8, v7
	v_lshlrev_b64 v[5:6], 1, v[5:6]
	v_add_co_u32 v1, vcc_lo, s12, v5
	buffer_store_dword v1, off, s[36:39], 0 offset:144 ; 4-byte Folded Spill
	v_add_co_ci_u32_e64 v1, null, s13, v6, vcc_lo
	buffer_store_dword v1, off, s[36:39], 0 offset:148 ; 4-byte Folded Spill
	v_add_co_u32 v1, vcc_lo, s14, v5
	v_add_co_ci_u32_e64 v104, null, s15, v6, vcc_lo
	v_add_co_u32 v5, vcc_lo, v0, 6
	v_add_co_ci_u32_e64 v6, null, 0, v97, vcc_lo
	buffer_store_dword v1, off, s[36:39], 0 offset:152 ; 4-byte Folded Spill
	v_mul_lo_u32 v7, s11, v5
	v_mul_lo_u32 v8, s10, v6
	v_mad_u64_u32 v[5:6], null, s10, v5, 0
	v_add3_u32 v6, v6, v8, v7
	v_lshlrev_b64 v[5:6], 1, v[5:6]
	v_add_co_u32 v105, vcc_lo, s12, v5
	v_add_co_ci_u32_e64 v106, null, s13, v6, vcc_lo
	v_add_co_u32 v107, vcc_lo, s14, v5
	v_add_co_ci_u32_e64 v108, null, s15, v6, vcc_lo
	v_add_co_u32 v5, vcc_lo, v0, 5
	v_add_co_ci_u32_e64 v6, null, 0, v97, vcc_lo
	v_mul_lo_u32 v7, s11, v5
	v_mul_lo_u32 v8, s10, v6
	v_mad_u64_u32 v[5:6], null, s10, v5, 0
	v_add3_u32 v6, v6, v8, v7
	v_lshlrev_b64 v[5:6], 1, v[5:6]
	v_add_co_u32 v109, vcc_lo, s12, v5
	v_add_co_ci_u32_e64 v110, null, s13, v6, vcc_lo
	v_add_co_u32 v111, vcc_lo, s14, v5
	v_add_co_ci_u32_e64 v112, null, s15, v6, vcc_lo
	v_add_co_u32 v5, vcc_lo, v0, 4
	v_add_co_ci_u32_e64 v6, null, 0, v97, vcc_lo
	;; [unrolled: 11-line block ×5, first 2 shown]
	v_lshlrev_b64 v[0:1], 1, v[0:1]
	v_add_co_u32 v125, vcc_lo, s12, v0
	v_add_co_ci_u32_e64 v126, null, s13, v1, vcc_lo
	v_add_co_u32 v127, vcc_lo, s14, v0
	v_add_co_ci_u32_e64 v97, null, s15, v1, vcc_lo
.LBB82_85:                              ; =>This Inner Loop Header: Depth=1
	buffer_load_dword v0, off, s[36:39], 0 offset:164 ; 4-byte Folded Reload
	v_cmp_ge_i64_e64 s13, s[22:23], s[8:9]
                                        ; implicit-def: $vgpr19
	s_and_b32 vcc_lo, exec_lo, s13
	s_waitcnt vmcnt(0)
	v_add_co_u32 v1, s12, v0, s22
	v_add_co_ci_u32_e64 v99, null, 0, s23, s12
	s_mov_b32 s12, -1
                                        ; implicit-def: $vgpr0
	s_cbranch_vccz .LBB82_123
; %bb.86:                               ;   in Loop: Header=BB82_85 Depth=1
	buffer_store_dword v103, off, s[36:39], 0 offset:168 ; 4-byte Folded Spill
	s_load_dword s12, s[0:1], 0xc
	s_clause 0x1
	buffer_load_dword v0, off, s[36:39], 0 offset:156
	buffer_load_dword v3, off, s[36:39], 0 offset:160
	v_mov_b32_e32 v100, 0
	s_waitcnt lgkmcnt(0)
	s_and_b32 s12, s12, 0xffff
	s_waitcnt vmcnt(0)
	v_mad_u32_u24 v0, v3, s12, v0
	s_mov_b32 s12, exec_lo
	v_and_b32_e32 v3, 31, v0
	v_mov_b32_e32 v0, 0
	v_cmpx_gt_u32_e32 16, v3
	s_cbranch_execz .LBB82_90
; %bb.87:                               ;   in Loop: Header=BB82_85 Depth=1
	v_add_co_u32 v0, vcc_lo, v1, v3
	v_add_co_ci_u32_e64 v4, null, 0, v99, vcc_lo
	v_mov_b32_e32 v100, 0
	v_add_co_u32 v3, vcc_lo, 0xffffff01, v0
	v_add_co_ci_u32_e64 v4, null, -1, v4, vcc_lo
	v_mov_b32_e32 v0, 0
	s_mov_b32 s13, exec_lo
	v_cmpx_gt_i64_e64 s[8:9], v[3:4]
	s_cbranch_execz .LBB82_89
; %bb.88:                               ;   in Loop: Header=BB82_85 Depth=1
	v_lshlrev_b64 v[3:4], 2, v[3:4]
	v_add_co_u32 v5, vcc_lo, s16, v3
	v_add_co_ci_u32_e64 v6, null, s17, v4, vcc_lo
	v_add_co_u32 v3, vcc_lo, s18, v3
	v_add_co_ci_u32_e64 v4, null, s19, v4, vcc_lo
	global_load_dword v0, v[5:6], off
	global_load_dword v100, v[3:4], off
.LBB82_89:                              ;   in Loop: Header=BB82_85 Depth=1
	s_or_b32 exec_lo, exec_lo, s13
.LBB82_90:                              ;   in Loop: Header=BB82_85 Depth=1
	s_or_b32 exec_lo, exec_lo, s12
	v_add_co_u32 v18, vcc_lo, 0xffffff01, v1
	v_add_co_ci_u32_e64 v19, null, -1, v99, vcc_lo
	v_mov_b32_e32 v17, v2
	v_mov_b32_e32 v3, v2
	v_mov_b32_e32 v4, v2
	v_mov_b32_e32 v5, v2
	v_mov_b32_e32 v6, v2
	v_mov_b32_e32 v7, v2
	v_mov_b32_e32 v8, v2
	v_mov_b32_e32 v9, v2
	v_mov_b32_e32 v10, v2
	v_mov_b32_e32 v11, v2
	v_mov_b32_e32 v12, v2
	v_mov_b32_e32 v13, v2
	v_mov_b32_e32 v14, v2
	v_mov_b32_e32 v15, v2
	v_mov_b32_e32 v16, v2
	v_cmp_gt_i64_e32 vcc_lo, s[8:9], v[18:19]
	v_mov_b32_e32 v34, v17
	v_mov_b32_e32 v31, v14
	;; [unrolled: 1-line block ×32, first 2 shown]
	s_and_saveexec_b32 s12, vcc_lo
	s_cbranch_execz .LBB82_92
; %bb.91:                               ;   in Loop: Header=BB82_85 Depth=1
	s_clause 0x3
	buffer_load_dword v3, off, s[36:39], 0
	buffer_load_dword v4, off, s[36:39], 0 offset:4
	buffer_load_dword v5, off, s[36:39], 0 offset:8
	;; [unrolled: 1-line block ×3, first 2 shown]
	v_mov_b32_e32 v7, v2
	v_mov_b32_e32 v8, v2
	;; [unrolled: 1-line block ×27, first 2 shown]
	s_waitcnt vmcnt(3)
	v_add_co_u32 v3, vcc_lo, v3, v35
	s_waitcnt vmcnt(2)
	v_add_co_ci_u32_e64 v4, null, v4, v36, vcc_lo
	s_waitcnt vmcnt(1)
	v_add_co_u32 v5, vcc_lo, v5, v35
	s_waitcnt vmcnt(0)
	v_add_co_ci_u32_e64 v6, null, v6, v36, vcc_lo
	global_load_ushort v3, v[3:4], off
	global_load_ushort v19, v[5:6], off
	v_mov_b32_e32 v4, v2
	v_mov_b32_e32 v5, v2
	;; [unrolled: 1-line block ×3, first 2 shown]
	s_waitcnt vmcnt(1)
	v_cvt_f32_f16_e32 v3, v3
	s_waitcnt vmcnt(0)
	v_cvt_f32_f16_e32 v19, v19
.LBB82_92:                              ;   in Loop: Header=BB82_85 Depth=1
	s_or_b32 exec_lo, exec_lo, s12
	v_add_co_u32 v101, vcc_lo, 0xffffff02, v1
	v_add_co_ci_u32_e64 v102, null, -1, v99, vcc_lo
	s_mov_b32 s12, exec_lo
	v_cmpx_gt_i64_e64 s[8:9], v[101:102]
	s_cbranch_execz .LBB82_94
; %bb.93:                               ;   in Loop: Header=BB82_85 Depth=1
	v_add_co_u32 v101, vcc_lo, v125, v35
	v_add_co_ci_u32_e64 v102, null, v126, v36, vcc_lo
	global_load_ushort v4, v[101:102], off
	v_add_co_u32 v101, vcc_lo, v127, v35
	v_add_co_ci_u32_e64 v102, null, v97, v36, vcc_lo
	global_load_ushort v20, v[101:102], off
	s_waitcnt vmcnt(1)
	v_cvt_f32_f16_e32 v4, v4
	s_waitcnt vmcnt(0)
	v_cvt_f32_f16_e32 v20, v20
.LBB82_94:                              ;   in Loop: Header=BB82_85 Depth=1
	s_or_b32 exec_lo, exec_lo, s12
	v_add_co_u32 v101, vcc_lo, 0xffffff03, v1
	v_add_co_ci_u32_e64 v102, null, -1, v99, vcc_lo
	s_mov_b32 s12, exec_lo
	v_cmpx_gt_i64_e64 s[8:9], v[101:102]
	s_cbranch_execz .LBB82_96
; %bb.95:                               ;   in Loop: Header=BB82_85 Depth=1
	v_add_co_u32 v101, vcc_lo, v121, v35
	v_add_co_ci_u32_e64 v102, null, v122, v36, vcc_lo
	global_load_ushort v5, v[101:102], off
	v_add_co_u32 v101, vcc_lo, v123, v35
	v_add_co_ci_u32_e64 v102, null, v124, v36, vcc_lo
	global_load_ushort v21, v[101:102], off
	s_waitcnt vmcnt(1)
	v_cvt_f32_f16_e32 v5, v5
	s_waitcnt vmcnt(0)
	v_cvt_f32_f16_e32 v21, v21
.LBB82_96:                              ;   in Loop: Header=BB82_85 Depth=1
	;; [unrolled: 18-line block ×3, first 2 shown]
	s_or_b32 exec_lo, exec_lo, s12
	v_add_co_u32 v101, vcc_lo, 0xffffff05, v1
	v_add_co_ci_u32_e64 v102, null, -1, v99, vcc_lo
	s_mov_b32 s12, exec_lo
	v_cmpx_gt_i64_e64 s[8:9], v[101:102]
	s_cbranch_execz .LBB82_100
; %bb.99:                               ;   in Loop: Header=BB82_85 Depth=1
	v_add_co_u32 v101, vcc_lo, v113, v35
	v_add_co_ci_u32_e64 v102, null, v114, v36, vcc_lo
	global_load_ushort v7, v[101:102], off
	v_add_co_u32 v101, vcc_lo, v115, v35
	v_add_co_ci_u32_e64 v102, null, v116, v36, vcc_lo
	global_load_ushort v23, v[101:102], off
	s_waitcnt vmcnt(1)
	v_cvt_f32_f16_e32 v7, v7
	s_waitcnt vmcnt(0)
	v_cvt_f32_f16_e32 v23, v23
.LBB82_100:                             ;   in Loop: Header=BB82_85 Depth=1
	s_or_b32 exec_lo, exec_lo, s12
	v_add_co_u32 v101, vcc_lo, 0xffffff06, v1
	v_add_co_ci_u32_e64 v102, null, -1, v99, vcc_lo
	s_mov_b32 s12, exec_lo
	v_cmpx_gt_i64_e64 s[8:9], v[101:102]
	s_cbranch_execz .LBB82_102
; %bb.101:                              ;   in Loop: Header=BB82_85 Depth=1
	v_add_co_u32 v101, vcc_lo, v109, v35
	v_add_co_ci_u32_e64 v102, null, v110, v36, vcc_lo
	global_load_ushort v8, v[101:102], off
	v_add_co_u32 v101, vcc_lo, v111, v35
	v_add_co_ci_u32_e64 v102, null, v112, v36, vcc_lo
	global_load_ushort v24, v[101:102], off
	s_waitcnt vmcnt(1)
	v_cvt_f32_f16_e32 v8, v8
	s_waitcnt vmcnt(0)
	v_cvt_f32_f16_e32 v24, v24
.LBB82_102:                             ;   in Loop: Header=BB82_85 Depth=1
	s_or_b32 exec_lo, exec_lo, s12
	v_add_co_u32 v101, vcc_lo, 0xffffff07, v1
	v_add_co_ci_u32_e64 v102, null, -1, v99, vcc_lo
	s_mov_b32 s12, exec_lo
	v_cmpx_gt_i64_e64 s[8:9], v[101:102]
	s_cbranch_execz .LBB82_104
; %bb.103:                              ;   in Loop: Header=BB82_85 Depth=1
	v_add_co_u32 v101, vcc_lo, v105, v35
	v_add_co_ci_u32_e64 v102, null, v106, v36, vcc_lo
	global_load_ushort v9, v[101:102], off
	v_add_co_u32 v101, vcc_lo, v107, v35
	v_add_co_ci_u32_e64 v102, null, v108, v36, vcc_lo
	global_load_ushort v25, v[101:102], off
	s_waitcnt vmcnt(1)
	v_cvt_f32_f16_e32 v9, v9
	s_waitcnt vmcnt(0)
	v_cvt_f32_f16_e32 v25, v25
.LBB82_104:                             ;   in Loop: Header=BB82_85 Depth=1
	s_or_b32 exec_lo, exec_lo, s12
	v_add_co_u32 v101, vcc_lo, 0xffffff08, v1
	v_add_co_ci_u32_e64 v102, null, -1, v99, vcc_lo
	s_mov_b32 s12, exec_lo
	v_cmpx_gt_i64_e64 s[8:9], v[101:102]
	s_cbranch_execz .LBB82_106
; %bb.105:                              ;   in Loop: Header=BB82_85 Depth=1
	s_clause 0x1
	buffer_load_dword v10, off, s[36:39], 0 offset:144
	buffer_load_dword v26, off, s[36:39], 0 offset:152
	s_waitcnt vmcnt(1)
	v_add_co_u32 v101, vcc_lo, v10, v35
	buffer_load_dword v10, off, s[36:39], 0 offset:148 ; 4-byte Folded Reload
	s_waitcnt vmcnt(0)
	v_add_co_ci_u32_e64 v102, null, v10, v36, vcc_lo
	global_load_ushort v10, v[101:102], off
	v_add_co_u32 v101, vcc_lo, v26, v35
	v_add_co_ci_u32_e64 v102, null, v104, v36, vcc_lo
	global_load_ushort v26, v[101:102], off
	s_waitcnt vmcnt(1)
	v_cvt_f32_f16_e32 v10, v10
	s_waitcnt vmcnt(0)
	v_cvt_f32_f16_e32 v26, v26
.LBB82_106:                             ;   in Loop: Header=BB82_85 Depth=1
	s_or_b32 exec_lo, exec_lo, s12
	v_add_co_u32 v101, vcc_lo, 0xffffff09, v1
	v_add_co_ci_u32_e64 v102, null, -1, v99, vcc_lo
	s_mov_b32 s12, exec_lo
	v_cmpx_gt_i64_e64 s[8:9], v[101:102]
	s_cbranch_execz .LBB82_108
; %bb.107:                              ;   in Loop: Header=BB82_85 Depth=1
	s_clause 0x1
	buffer_load_dword v11, off, s[36:39], 0 offset:128
	buffer_load_dword v27, off, s[36:39], 0 offset:136
	s_waitcnt vmcnt(1)
	v_add_co_u32 v101, vcc_lo, v11, v35
	buffer_load_dword v11, off, s[36:39], 0 offset:132 ; 4-byte Folded Reload
	s_waitcnt vmcnt(0)
	v_add_co_ci_u32_e64 v102, null, v11, v36, vcc_lo
	global_load_ushort v11, v[101:102], off
	v_add_co_u32 v101, vcc_lo, v27, v35
	buffer_load_dword v27, off, s[36:39], 0 offset:140 ; 4-byte Folded Reload
	s_waitcnt vmcnt(1)
	v_cvt_f32_f16_e32 v11, v11
	s_waitcnt vmcnt(0)
	v_add_co_ci_u32_e64 v102, null, v27, v36, vcc_lo
	global_load_ushort v27, v[101:102], off
	s_waitcnt vmcnt(0)
	v_cvt_f32_f16_e32 v27, v27
.LBB82_108:                             ;   in Loop: Header=BB82_85 Depth=1
	s_or_b32 exec_lo, exec_lo, s12
	v_add_co_u32 v101, vcc_lo, 0xffffff0a, v1
	v_add_co_ci_u32_e64 v102, null, -1, v99, vcc_lo
	s_mov_b32 s12, exec_lo
	v_cmpx_gt_i64_e64 s[8:9], v[101:102]
	s_cbranch_execz .LBB82_110
; %bb.109:                              ;   in Loop: Header=BB82_85 Depth=1
	s_clause 0x1
	buffer_load_dword v12, off, s[36:39], 0 offset:112
	buffer_load_dword v28, off, s[36:39], 0 offset:120
	s_waitcnt vmcnt(1)
	v_add_co_u32 v101, vcc_lo, v12, v35
	buffer_load_dword v12, off, s[36:39], 0 offset:116 ; 4-byte Folded Reload
	s_waitcnt vmcnt(0)
	v_add_co_ci_u32_e64 v102, null, v12, v36, vcc_lo
	global_load_ushort v12, v[101:102], off
	v_add_co_u32 v101, vcc_lo, v28, v35
	buffer_load_dword v28, off, s[36:39], 0 offset:124 ; 4-byte Folded Reload
	s_waitcnt vmcnt(1)
	v_cvt_f32_f16_e32 v12, v12
	s_waitcnt vmcnt(0)
	v_add_co_ci_u32_e64 v102, null, v28, v36, vcc_lo
	global_load_ushort v28, v[101:102], off
	s_waitcnt vmcnt(0)
	v_cvt_f32_f16_e32 v28, v28
.LBB82_110:                             ;   in Loop: Header=BB82_85 Depth=1
	;; [unrolled: 26-line block ×8, first 2 shown]
	s_or_b32 exec_lo, exec_lo, s12
	buffer_load_dword v103, off, s[36:39], 0 offset:168 ; 4-byte Folded Reload
	s_waitcnt vmcnt(2)
	ds_bpermute_b32 v102, v2, v0
	s_waitcnt vmcnt(1)
	ds_bpermute_b32 v101, v2, v100
	s_mov_b32 s12, 0
	s_waitcnt lgkmcnt(1)
	v_sub_f32_e32 v19, v19, v102
	ds_bpermute_b32 v102, v2, v0 offset:4
	v_mul_f32_e32 v19, v3, v19
	s_waitcnt lgkmcnt(1)
	v_fma_f32 v19, v19, v101, v98
	ds_bpermute_b32 v101, v2, v100 offset:4
	s_waitcnt lgkmcnt(1)
	v_sub_f32_e32 v20, v20, v102
	v_mul_f32_e32 v20, v4, v20
	s_waitcnt lgkmcnt(0)
	v_fmac_f32_e32 v19, v20, v101
	ds_bpermute_b32 v20, v2, v0 offset:8
	s_waitcnt lgkmcnt(0)
	v_sub_f32_e32 v20, v21, v20
	v_mul_f32_e32 v20, v5, v20
	s_waitcnt vmcnt(0)
	v_add_f32_e32 v3, v103, v3
	v_add_f32_e32 v3, v4, v3
	ds_bpermute_b32 v4, v2, v100 offset:8
	v_add_f32_e32 v3, v5, v3
	ds_bpermute_b32 v5, v2, v0 offset:12
	v_add_f32_e32 v3, v6, v3
	v_add_f32_e32 v3, v7, v3
	;; [unrolled: 1-line block ×3, first 2 shown]
	s_waitcnt lgkmcnt(1)
	v_fmac_f32_e32 v19, v20, v4
	ds_bpermute_b32 v4, v2, v100 offset:12
	v_add_f32_e32 v3, v9, v3
	s_waitcnt lgkmcnt(1)
	v_sub_f32_e32 v5, v22, v5
	v_add_f32_e32 v3, v10, v3
	v_mul_f32_e32 v5, v6, v5
	v_add_f32_e32 v3, v11, v3
	v_add_f32_e32 v3, v12, v3
	s_waitcnt lgkmcnt(0)
	v_fmac_f32_e32 v19, v5, v4
	ds_bpermute_b32 v5, v2, v0 offset:16
	ds_bpermute_b32 v4, v2, v100 offset:16
	v_add_f32_e32 v3, v13, v3
	v_add_f32_e32 v3, v14, v3
	;; [unrolled: 1-line block ×4, first 2 shown]
	s_waitcnt lgkmcnt(1)
	v_sub_f32_e32 v5, v23, v5
	v_add_f32_e32 v3, v17, v3
	v_mul_f32_e32 v5, v7, v5
	s_waitcnt lgkmcnt(0)
	v_fmac_f32_e32 v19, v5, v4
	ds_bpermute_b32 v5, v2, v0 offset:20
	ds_bpermute_b32 v4, v2, v100 offset:20
	s_waitcnt lgkmcnt(1)
	v_sub_f32_e32 v5, v24, v5
	v_mul_f32_e32 v5, v8, v5
	s_waitcnt lgkmcnt(0)
	v_fmac_f32_e32 v19, v5, v4
	ds_bpermute_b32 v5, v2, v0 offset:24
	ds_bpermute_b32 v4, v2, v100 offset:24
	s_waitcnt lgkmcnt(1)
	v_sub_f32_e32 v5, v25, v5
	v_mul_f32_e32 v5, v9, v5
	s_waitcnt lgkmcnt(0)
	v_fmac_f32_e32 v19, v5, v4
	ds_bpermute_b32 v5, v2, v0 offset:28
	ds_bpermute_b32 v4, v2, v100 offset:28
	s_waitcnt lgkmcnt(1)
	v_sub_f32_e32 v5, v26, v5
	v_mul_f32_e32 v5, v10, v5
	s_waitcnt lgkmcnt(0)
	v_fmac_f32_e32 v19, v5, v4
	ds_bpermute_b32 v5, v2, v0 offset:32
	ds_bpermute_b32 v4, v2, v100 offset:32
	s_waitcnt lgkmcnt(1)
	v_sub_f32_e32 v5, v27, v5
	v_mul_f32_e32 v5, v11, v5
	s_waitcnt lgkmcnt(0)
	v_fmac_f32_e32 v19, v5, v4
	ds_bpermute_b32 v5, v2, v0 offset:36
	ds_bpermute_b32 v4, v2, v100 offset:36
	s_waitcnt lgkmcnt(1)
	v_sub_f32_e32 v5, v28, v5
	v_mul_f32_e32 v5, v12, v5
	s_waitcnt lgkmcnt(0)
	v_fmac_f32_e32 v19, v5, v4
	ds_bpermute_b32 v5, v2, v0 offset:40
	ds_bpermute_b32 v4, v2, v100 offset:40
	s_waitcnt lgkmcnt(1)
	v_sub_f32_e32 v5, v29, v5
	v_mul_f32_e32 v5, v13, v5
	s_waitcnt lgkmcnt(0)
	v_fmac_f32_e32 v19, v5, v4
	ds_bpermute_b32 v5, v2, v0 offset:44
	ds_bpermute_b32 v4, v2, v100 offset:44
	s_waitcnt lgkmcnt(1)
	v_sub_f32_e32 v5, v30, v5
	v_mul_f32_e32 v5, v14, v5
	s_waitcnt lgkmcnt(0)
	v_fmac_f32_e32 v19, v5, v4
	ds_bpermute_b32 v5, v2, v0 offset:48
	ds_bpermute_b32 v4, v2, v100 offset:48
	s_waitcnt lgkmcnt(1)
	v_sub_f32_e32 v5, v31, v5
	v_mul_f32_e32 v5, v15, v5
	s_waitcnt lgkmcnt(0)
	v_fmac_f32_e32 v19, v5, v4
	ds_bpermute_b32 v5, v2, v0 offset:52
	ds_bpermute_b32 v4, v2, v100 offset:52
	s_waitcnt lgkmcnt(1)
	v_sub_f32_e32 v5, v32, v5
	v_mul_f32_e32 v5, v16, v5
	s_waitcnt lgkmcnt(0)
	v_fmac_f32_e32 v19, v5, v4
	ds_bpermute_b32 v5, v2, v0 offset:56
	ds_bpermute_b32 v4, v2, v100 offset:56
	;; [unrolled: 1-line block ×3, first 2 shown]
	s_waitcnt lgkmcnt(2)
	v_sub_f32_e32 v5, v33, v5
	s_waitcnt lgkmcnt(0)
	v_sub_f32_e32 v0, v34, v0
	v_mul_f32_e32 v5, v17, v5
	v_mul_f32_e32 v0, v18, v0
	v_fmac_f32_e32 v19, v5, v4
	ds_bpermute_b32 v4, v2, v100 offset:60
	s_waitcnt lgkmcnt(0)
	v_fmac_f32_e32 v19, v0, v4
	v_add_f32_e32 v0, v18, v3
.LBB82_123:                             ;   in Loop: Header=BB82_85 Depth=1
	s_and_b32 vcc_lo, exec_lo, s12
	s_cbranch_vccz .LBB82_129
; %bb.124:                              ;   in Loop: Header=BB82_85 Depth=1
	s_load_dword s12, s[0:1], 0x0
	v_mov_b32_e32 v5, 0
	s_waitcnt lgkmcnt(0)
	s_cmp_lt_u32 s6, s12
	s_cselect_b32 s12, 12, 18
	s_add_u32 s12, s0, s12
	s_addc_u32 s13, s1, 0
	global_load_ushort v0, v2, s[12:13]
	s_clause 0x1
	buffer_load_dword v3, off, s[36:39], 0 offset:156
	buffer_load_dword v4, off, s[36:39], 0 offset:160
	s_mov_b32 s12, exec_lo
	s_waitcnt vmcnt(0)
	v_mad_u32_u24 v0, v4, v0, v3
	v_and_b32_e32 v3, 31, v0
	v_mov_b32_e32 v0, 0
	v_cmpx_gt_u32_e32 16, v3
	s_cbranch_execz .LBB82_128
; %bb.125:                              ;   in Loop: Header=BB82_85 Depth=1
	v_add_co_u32 v0, vcc_lo, v1, v3
	v_add_co_ci_u32_e64 v1, null, 0, v99, vcc_lo
	v_mov_b32_e32 v5, 0
	v_add_co_u32 v3, vcc_lo, 0xffffff01, v0
	v_add_co_ci_u32_e64 v4, null, -1, v1, vcc_lo
	v_mov_b32_e32 v0, 0
	s_mov_b32 s13, exec_lo
	v_cmpx_gt_i64_e64 s[8:9], v[3:4]
	s_cbranch_execz .LBB82_127
; %bb.126:                              ;   in Loop: Header=BB82_85 Depth=1
	v_lshlrev_b64 v[0:1], 2, v[3:4]
	v_add_co_u32 v3, vcc_lo, s16, v0
	v_add_co_ci_u32_e64 v4, null, s17, v1, vcc_lo
	v_add_co_u32 v0, vcc_lo, s18, v0
	v_add_co_ci_u32_e64 v1, null, s19, v1, vcc_lo
	global_load_dword v5, v[3:4], off
	global_load_dword v0, v[0:1], off
.LBB82_127:                             ;   in Loop: Header=BB82_85 Depth=1
	s_or_b32 exec_lo, exec_lo, s13
.LBB82_128:                             ;   in Loop: Header=BB82_85 Depth=1
	s_or_b32 exec_lo, exec_lo, s12
	buffer_load_dword v1, off, s[36:39], 0 offset:8 ; 4-byte Folded Reload
	s_waitcnt vmcnt(0)
	v_add_co_u32 v3, vcc_lo, v1, v35
	buffer_load_dword v1, off, s[36:39], 0 offset:12 ; 4-byte Folded Reload
	s_waitcnt vmcnt(0)
	v_add_co_ci_u32_e64 v4, null, v1, v36, vcc_lo
	buffer_load_dword v1, off, s[36:39], 0  ; 4-byte Folded Reload
	global_load_ushort v6, v[3:4], off
	s_waitcnt vmcnt(1)
	v_add_co_u32 v3, vcc_lo, v1, v35
	buffer_load_dword v1, off, s[36:39], 0 offset:4 ; 4-byte Folded Reload
	s_waitcnt vmcnt(0)
	v_add_co_ci_u32_e64 v4, null, v1, v36, vcc_lo
	global_load_ushort v1, v[3:4], off
	ds_bpermute_b32 v4, v2, v5
	v_cvt_f32_f16_e32 v3, v6
	s_waitcnt lgkmcnt(0)
	v_sub_f32_e32 v3, v3, v4
	ds_bpermute_b32 v4, v2, v0
	s_waitcnt vmcnt(0)
	v_cvt_f32_f16_e32 v1, v1
	v_mul_f32_e32 v3, v3, v1
	s_waitcnt lgkmcnt(0)
	v_fmac_f32_e32 v98, v3, v4
	v_add_co_u32 v3, vcc_lo, v67, v35
	v_add_co_ci_u32_e64 v4, null, v68, v36, vcc_lo
	global_load_ushort v6, v[3:4], off
	v_add_co_u32 v3, vcc_lo, v37, v35
	v_add_co_ci_u32_e64 v4, null, v38, v36, vcc_lo
	global_load_ushort v3, v[3:4], off
	s_waitcnt vmcnt(1)
	v_cvt_f32_f16_e32 v4, v6
	ds_bpermute_b32 v6, v2, v5 offset:4
	s_waitcnt vmcnt(0)
	v_cvt_f32_f16_e32 v3, v3
	s_waitcnt lgkmcnt(0)
	v_sub_f32_e32 v4, v4, v6
	ds_bpermute_b32 v6, v2, v0 offset:4
	v_mul_f32_e32 v4, v4, v3
	s_waitcnt lgkmcnt(0)
	v_fmac_f32_e32 v98, v4, v6
	v_add_co_u32 v6, vcc_lo, v69, v35
	v_add_co_ci_u32_e64 v7, null, v70, v36, vcc_lo
	global_load_ushort v4, v[6:7], off
	v_add_co_u32 v6, vcc_lo, v39, v35
	v_add_co_ci_u32_e64 v7, null, v40, v36, vcc_lo
	global_load_ushort v6, v[6:7], off
	ds_bpermute_b32 v7, v2, v5 offset:8
	s_waitcnt vmcnt(1)
	v_cvt_f32_f16_e32 v4, v4
	s_waitcnt lgkmcnt(0)
	v_sub_f32_e32 v7, v4, v7
	s_waitcnt vmcnt(0)
	v_cvt_f32_f16_e32 v4, v6
	v_mul_f32_e32 v6, v7, v4
	ds_bpermute_b32 v7, v2, v0 offset:8
	s_waitcnt lgkmcnt(0)
	v_fmac_f32_e32 v98, v6, v7
	v_add_co_u32 v6, vcc_lo, v71, v35
	v_add_co_ci_u32_e64 v7, null, v72, v36, vcc_lo
	global_load_ushort v8, v[6:7], off
	v_add_co_u32 v6, vcc_lo, v41, v35
	v_add_co_ci_u32_e64 v7, null, v42, v36, vcc_lo
	global_load_ushort v6, v[6:7], off
	s_waitcnt vmcnt(1)
	v_cvt_f32_f16_e32 v7, v8
	ds_bpermute_b32 v8, v2, v5 offset:12
	s_waitcnt vmcnt(0)
	v_cvt_f32_f16_e32 v6, v6
	s_waitcnt lgkmcnt(0)
	v_sub_f32_e32 v7, v7, v8
	ds_bpermute_b32 v8, v2, v0 offset:12
	v_mul_f32_e32 v7, v7, v6
	s_waitcnt lgkmcnt(0)
	v_fmac_f32_e32 v98, v7, v8
	v_add_co_u32 v7, vcc_lo, v73, v35
	v_add_co_ci_u32_e64 v8, null, v74, v36, vcc_lo
	global_load_ushort v9, v[7:8], off
	v_add_co_u32 v7, vcc_lo, v43, v35
	v_add_co_ci_u32_e64 v8, null, v44, v36, vcc_lo
	global_load_ushort v7, v[7:8], off
	s_waitcnt vmcnt(1)
	v_cvt_f32_f16_e32 v8, v9
	ds_bpermute_b32 v9, v2, v5 offset:16
	s_waitcnt vmcnt(0)
	v_cvt_f32_f16_e32 v7, v7
	s_waitcnt lgkmcnt(0)
	v_sub_f32_e32 v8, v8, v9
	ds_bpermute_b32 v9, v2, v0 offset:16
	v_mul_f32_e32 v8, v8, v7
	;; [unrolled: 17-line block ×4, first 2 shown]
	s_waitcnt lgkmcnt(0)
	v_fmac_f32_e32 v98, v10, v11
	v_add_co_u32 v10, vcc_lo, v79, v35
	v_add_co_ci_u32_e64 v11, null, v80, v36, vcc_lo
	global_load_ushort v12, v[10:11], off
	v_add_co_u32 v10, vcc_lo, v49, v35
	v_add_co_ci_u32_e64 v11, null, v50, v36, vcc_lo
	global_load_ushort v10, v[10:11], off
	s_waitcnt vmcnt(1)
	v_cvt_f32_f16_e32 v11, v12
	ds_bpermute_b32 v12, v2, v5 offset:28
	s_waitcnt lgkmcnt(0)
	v_sub_f32_e32 v11, v11, v12
	s_waitcnt vmcnt(0)
	v_cvt_f32_f16_e32 v12, v10
	v_mul_f32_e32 v10, v11, v12
	ds_bpermute_b32 v11, v2, v0 offset:28
	s_waitcnt lgkmcnt(0)
	v_fmac_f32_e32 v98, v10, v11
	v_add_co_u32 v10, vcc_lo, v81, v35
	v_add_co_ci_u32_e64 v11, null, v82, v36, vcc_lo
	global_load_ushort v13, v[10:11], off
	v_add_co_u32 v10, vcc_lo, v51, v35
	v_add_co_ci_u32_e64 v11, null, v52, v36, vcc_lo
	global_load_ushort v10, v[10:11], off
	s_waitcnt vmcnt(1)
	v_cvt_f32_f16_e32 v11, v13
	ds_bpermute_b32 v13, v2, v5 offset:32
	s_waitcnt lgkmcnt(0)
	v_sub_f32_e32 v11, v11, v13
	s_waitcnt vmcnt(0)
	v_cvt_f32_f16_e32 v13, v10
	v_mul_f32_e32 v10, v11, v13
	ds_bpermute_b32 v11, v2, v0 offset:32
	;; [unrolled: 17-line block ×7, first 2 shown]
	s_waitcnt lgkmcnt(0)
	v_fmac_f32_e32 v98, v10, v11
	v_add_co_u32 v10, vcc_lo, v93, v35
	v_add_co_ci_u32_e64 v11, null, v94, v36, vcc_lo
	global_load_ushort v19, v[10:11], off
	v_add_co_u32 v10, vcc_lo, v63, v35
	v_add_co_ci_u32_e64 v11, null, v64, v36, vcc_lo
	global_load_ushort v10, v[10:11], off
	s_waitcnt vmcnt(1)
	v_cvt_f32_f16_e32 v11, v19
	ds_bpermute_b32 v19, v2, v5 offset:56
	ds_bpermute_b32 v5, v2, v5 offset:60
	s_waitcnt lgkmcnt(1)
	v_sub_f32_e32 v11, v11, v19
	s_waitcnt vmcnt(0)
	v_cvt_f32_f16_e32 v19, v10
	v_mul_f32_e32 v10, v11, v19
	ds_bpermute_b32 v11, v2, v0 offset:56
	ds_bpermute_b32 v0, v2, v0 offset:60
	s_waitcnt lgkmcnt(1)
	v_fmac_f32_e32 v98, v10, v11
	v_add_co_u32 v10, vcc_lo, v95, v35
	v_add_co_ci_u32_e64 v11, null, v96, v36, vcc_lo
	global_load_ushort v20, v[10:11], off
	v_add_co_u32 v10, vcc_lo, v65, v35
	v_add_co_ci_u32_e64 v11, null, v66, v36, vcc_lo
	global_load_ushort v10, v[10:11], off
	s_waitcnt vmcnt(1)
	v_cvt_f32_f16_e32 v11, v20
	v_sub_f32_e32 v5, v11, v5
	s_waitcnt vmcnt(0)
	v_cvt_f32_f16_e32 v10, v10
	v_mul_f32_e32 v5, v5, v10
	s_waitcnt lgkmcnt(0)
	v_fmac_f32_e32 v98, v5, v0
	v_add_f32_e32 v0, v103, v1
	v_add_f32_e32 v0, v0, v3
	;; [unrolled: 1-line block ×15, first 2 shown]
	v_mov_b32_e32 v19, v98
	v_add_f32_e32 v0, v0, v10
.LBB82_129:                             ;   in Loop: Header=BB82_85 Depth=1
	buffer_load_dword v1, off, s[36:39], 0  ; 4-byte Folded Reload
	s_add_u32 s2, s2, s7
	s_addc_u32 s3, s3, 0
	s_add_u32 s22, s22, s7
	v_cmp_ge_i64_e64 s12, s[2:3], s[8:9]
	s_addc_u32 s23, s23, 0
	s_waitcnt vmcnt(0)
	v_add_co_u32 v1, vcc_lo, v1, s20
	buffer_store_dword v1, off, s[36:39], 0 ; 4-byte Folded Spill
	buffer_load_dword v1, off, s[36:39], 0 offset:4 ; 4-byte Folded Reload
	s_waitcnt vmcnt(0)
	v_add_co_ci_u32_e64 v1, null, s21, v1, vcc_lo
	buffer_store_dword v1, off, s[36:39], 0 offset:4 ; 4-byte Folded Spill
	buffer_load_dword v1, off, s[36:39], 0 offset:8 ; 4-byte Folded Reload
	s_waitcnt vmcnt(0)
	v_add_co_u32 v1, vcc_lo, v1, s20
	buffer_store_dword v1, off, s[36:39], 0 offset:8 ; 4-byte Folded Spill
	buffer_load_dword v1, off, s[36:39], 0 offset:12 ; 4-byte Folded Reload
	s_waitcnt vmcnt(0)
	v_add_co_ci_u32_e64 v1, null, s21, v1, vcc_lo
	v_add_co_u32 v37, vcc_lo, v37, s20
	v_add_co_ci_u32_e64 v38, null, s21, v38, vcc_lo
	buffer_store_dword v1, off, s[36:39], 0 offset:12 ; 4-byte Folded Spill
	buffer_load_dword v1, off, s[36:39], 0 offset:16 ; 4-byte Folded Reload
	v_add_co_u32 v39, vcc_lo, v39, s20
	v_add_co_ci_u32_e64 v40, null, s21, v40, vcc_lo
	v_add_co_u32 v41, vcc_lo, v41, s20
	v_add_co_ci_u32_e64 v42, null, s21, v42, vcc_lo
	;; [unrolled: 2-line block ×29, first 2 shown]
	s_waitcnt vmcnt(0)
	v_add_co_u32 v1, vcc_lo, v1, s20
	buffer_store_dword v1, off, s[36:39], 0 offset:16 ; 4-byte Folded Spill
	buffer_load_dword v1, off, s[36:39], 0 offset:20 ; 4-byte Folded Reload
	s_waitcnt vmcnt(0)
	v_add_co_ci_u32_e64 v1, null, s21, v1, vcc_lo
	buffer_store_dword v1, off, s[36:39], 0 offset:20 ; 4-byte Folded Spill
	buffer_load_dword v1, off, s[36:39], 0 offset:24 ; 4-byte Folded Reload
	s_waitcnt vmcnt(0)
	v_add_co_u32 v1, vcc_lo, v1, s20
	buffer_store_dword v1, off, s[36:39], 0 offset:24 ; 4-byte Folded Spill
	buffer_load_dword v1, off, s[36:39], 0 offset:28 ; 4-byte Folded Reload
	s_waitcnt vmcnt(0)
	v_add_co_ci_u32_e64 v1, null, s21, v1, vcc_lo
	buffer_store_dword v1, off, s[36:39], 0 offset:28 ; 4-byte Folded Spill
	buffer_load_dword v1, off, s[36:39], 0 offset:32 ; 4-byte Folded Reload
	;; [unrolled: 8-line block ×17, first 2 shown]
	s_waitcnt vmcnt(0)
	v_add_co_u32 v1, vcc_lo, v1, s20
	v_add_co_ci_u32_e64 v104, null, s21, v104, vcc_lo
	v_add_co_u32 v105, vcc_lo, v105, s20
	v_add_co_ci_u32_e64 v106, null, s21, v106, vcc_lo
	;; [unrolled: 2-line block ×13, first 2 shown]
	s_and_b32 vcc_lo, exec_lo, s12
	buffer_store_dword v1, off, s[36:39], 0 offset:152 ; 4-byte Folded Spill
	s_cbranch_vccnz .LBB82_131
; %bb.130:                              ;   in Loop: Header=BB82_85 Depth=1
	v_mov_b32_e32 v103, v0
	v_mov_b32_e32 v98, v19
	s_branch .LBB82_85
.LBB82_131:
	s_clause 0x1
	buffer_load_dword v125, off, s[36:39], 0 offset:156
	buffer_load_dword v1, off, s[36:39], 0 offset:160
.LBB82_132:
	s_waitcnt vmcnt(0)
	v_mad_u32_u24 v3, 0x41, v1, v125
	s_mov_b32 s0, exec_lo
	v_lshl_add_u32 v2, v3, 2, 0
	v_sub_nc_u32_e32 v4, v3, v1
	ds_write_b32 v2, v19
	ds_write_b32 v2, v0 offset:4160
	s_waitcnt lgkmcnt(0)
	s_waitcnt_vscnt null, 0x0
	s_barrier
	buffer_gl0_inv
	v_cmpx_gt_u32_e32 0x800, v4
	s_cbranch_execz .LBB82_148
; %bb.133:
	s_load_dwordx4 s[12:15], s[4:5], 0x30
	v_and_b32_e32 v0, 31, v125
	v_lshrrev_b32_e32 v3, 5, v4
                                        ; implicit-def: $vgpr1
	v_cmp_gt_u32_e64 s0, 16, v0
	v_mul_u32_u24_e32 v5, 0x41, v0
                                        ; implicit-def: $vgpr0
	s_and_saveexec_b32 s1, s0
	s_cbranch_execz .LBB82_135
; %bb.134:
	v_add_nc_u32_e32 v0, v3, v5
	v_lshl_add_u32 v0, v0, 2, 0
	ds_read_b32 v1, v0
	ds_read_b32 v0, v0 offset:4160
.LBB82_135:
	s_or_b32 exec_lo, exec_lo, s1
	v_mbcnt_lo_u32_b32 v2, -1, 0
	s_mov_b32 s7, 0
	v_cmp_eq_u32_e64 s1, 0, v125
	s_lshl_b64 s[2:3], s[6:7], 6
	s_waitcnt lgkmcnt(0)
	s_cmp_lg_u64 s[12:13], 0
	v_xor_b32_e32 v6, 8, v2
	v_xor_b32_e32 v7, 4, v2
	s_cselect_b32 s5, -1, 0
	s_cmp_lg_u64 s[14:15], 0
	s_cselect_b32 s4, -1, 0
	v_cmp_gt_i32_e32 vcc_lo, 32, v6
	v_cndmask_b32_e32 v6, v2, v6, vcc_lo
	v_cmp_gt_i32_e32 vcc_lo, 32, v7
	v_lshlrev_b32_e32 v6, 2, v6
	v_cndmask_b32_e32 v7, v2, v7, vcc_lo
	ds_bpermute_b32 v8, v6, v1
	ds_bpermute_b32 v9, v6, v0
	v_lshlrev_b32_e32 v7, 2, v7
	s_waitcnt lgkmcnt(1)
	v_add_f32_e32 v1, v1, v8
	s_waitcnt lgkmcnt(0)
	v_add_f32_e32 v0, v0, v9
	v_xor_b32_e32 v8, 2, v2
	ds_bpermute_b32 v9, v7, v1
	ds_bpermute_b32 v10, v7, v0
	v_cmp_gt_i32_e32 vcc_lo, 32, v8
	v_cndmask_b32_e32 v8, v2, v8, vcc_lo
	v_lshlrev_b32_e32 v8, 2, v8
	s_waitcnt lgkmcnt(1)
	v_add_f32_e32 v1, v1, v9
	s_waitcnt lgkmcnt(0)
	v_add_f32_e32 v0, v0, v10
	v_xor_b32_e32 v9, 1, v2
	ds_bpermute_b32 v10, v8, v1
	ds_bpermute_b32 v11, v8, v0
	v_cmp_gt_i32_e32 vcc_lo, 32, v9
	v_cndmask_b32_e32 v2, v2, v9, vcc_lo
	v_lshlrev_b32_e32 v9, 2, v2
	v_mov_b32_e32 v2, s3
	s_waitcnt lgkmcnt(1)
	v_add_f32_e32 v10, v1, v10
	s_waitcnt lgkmcnt(0)
	v_add_f32_e32 v0, v0, v11
	v_or_b32_e32 v1, s2, v3
	ds_bpermute_b32 v11, v9, v10
	ds_bpermute_b32 v12, v9, v0
	v_cmp_gt_i64_e32 vcc_lo, s[10:11], v[1:2]
	s_and_b32 s7, s1, vcc_lo
	s_waitcnt lgkmcnt(1)
	v_add_f32_e32 v10, v10, v11
	s_waitcnt lgkmcnt(0)
	v_add_f32_e32 v11, v0, v12
	s_and_saveexec_b32 s6, s7
	s_cbranch_execz .LBB82_140
; %bb.136:
	v_lshlrev_b64 v[0:1], 1, v[1:2]
	s_andn2_b32 vcc_lo, exec_lo, s5
	s_cbranch_vccnz .LBB82_138
; %bb.137:
	v_add_co_u32 v12, vcc_lo, s12, v0
	v_add_co_ci_u32_e64 v13, null, s13, v1, vcc_lo
	v_cvt_f16_f32_e32 v2, v10
	global_store_short v[12:13], v2, off
.LBB82_138:
	s_andn2_b32 vcc_lo, exec_lo, s4
	s_cbranch_vccnz .LBB82_140
; %bb.139:
	v_add_co_u32 v0, vcc_lo, s14, v0
	v_add_co_ci_u32_e64 v1, null, s15, v1, vcc_lo
	v_cvt_f16_f32_e32 v2, v11
	global_store_short v[0:1], v2, off
.LBB82_140:
	s_or_b32 exec_lo, exec_lo, s6
	v_cmp_gt_u32_e32 vcc_lo, 0x400, v4
	s_and_b32 exec_lo, exec_lo, vcc_lo
	s_cbranch_execz .LBB82_148
; %bb.141:
	s_and_saveexec_b32 s6, s0
	s_cbranch_execz .LBB82_143
; %bb.142:
	v_add_nc_u32_e32 v0, v3, v5
	v_lshl_add_u32 v0, v0, 2, 0
	ds_read_b32 v10, v0 offset:128
	ds_read_b32 v11, v0 offset:4288
.LBB82_143:
	s_or_b32 exec_lo, exec_lo, s6
	s_waitcnt lgkmcnt(1)
	ds_bpermute_b32 v0, v6, v10
	s_waitcnt lgkmcnt(1)
	ds_bpermute_b32 v1, v6, v11
	v_add_nc_u32_e32 v5, 32, v3
	v_mov_b32_e32 v6, s3
	v_or_b32_e32 v5, s2, v5
	v_cmp_gt_i64_e32 vcc_lo, s[10:11], v[5:6]
	s_and_b32 s0, s1, vcc_lo
	s_waitcnt lgkmcnt(1)
	v_add_f32_e32 v0, v10, v0
	s_waitcnt lgkmcnt(0)
	v_add_f32_e32 v1, v11, v1
	ds_bpermute_b32 v2, v7, v0
	ds_bpermute_b32 v4, v7, v1
	s_waitcnt lgkmcnt(1)
	v_add_f32_e32 v0, v0, v2
	s_waitcnt lgkmcnt(0)
	v_add_f32_e32 v1, v1, v4
	ds_bpermute_b32 v2, v8, v0
	ds_bpermute_b32 v4, v8, v1
	;; [unrolled: 6-line block ×3, first 2 shown]
	s_and_b32 exec_lo, exec_lo, s0
	s_cbranch_execz .LBB82_148
; %bb.144:
	s_andn2_b32 vcc_lo, exec_lo, s5
	s_cbranch_vccnz .LBB82_146
; %bb.145:
	v_add_co_u32 v5, s0, s2, v3
	v_add_co_ci_u32_e64 v6, null, s3, 0, s0
	s_waitcnt lgkmcnt(1)
	v_add_f32_e32 v2, v2, v4
	v_lshlrev_b64 v[5:6], 1, v[5:6]
	v_cvt_f16_f32_e32 v2, v2
	v_add_co_u32 v4, vcc_lo, s12, v5
	v_add_co_ci_u32_e64 v5, null, s13, v6, vcc_lo
	global_store_short v[4:5], v2, off offset:64
.LBB82_146:
	s_andn2_b32 vcc_lo, exec_lo, s4
	s_cbranch_vccnz .LBB82_148
; %bb.147:
	v_add_co_u32 v2, s0, s2, v3
	v_add_co_ci_u32_e64 v3, null, s3, 0, s0
	s_waitcnt lgkmcnt(0)
	v_add_f32_e32 v4, v0, v1
	v_lshlrev_b64 v[2:3], 1, v[2:3]
	v_add_co_u32 v0, vcc_lo, s14, v2
	v_add_co_ci_u32_e64 v1, null, s15, v3, vcc_lo
	v_cvt_f16_f32_e32 v2, v4
	global_store_short v[0:1], v2, off offset:64
.LBB82_148:
	s_endpgm
	.section	.rodata,"a",@progbits
	.p2align	6, 0x0
	.amdhsa_kernel _ZN2at6native12_GLOBAL__N_135GammaBetaBackwardCUDAKernelTemplateIN3c104HalfEfLj64ELj16ELj256ELb0ELb0ELb0EEEvllPKT_S7_PKT0_SA_PS5_SB_
		.amdhsa_group_segment_fixed_size 0
		.amdhsa_private_segment_fixed_size 176
		.amdhsa_kernarg_size 320
		.amdhsa_user_sgpr_count 6
		.amdhsa_user_sgpr_private_segment_buffer 1
		.amdhsa_user_sgpr_dispatch_ptr 0
		.amdhsa_user_sgpr_queue_ptr 0
		.amdhsa_user_sgpr_kernarg_segment_ptr 1
		.amdhsa_user_sgpr_dispatch_id 0
		.amdhsa_user_sgpr_flat_scratch_init 0
		.amdhsa_user_sgpr_private_segment_size 0
		.amdhsa_wavefront_size32 1
		.amdhsa_uses_dynamic_stack 0
		.amdhsa_system_sgpr_private_segment_wavefront_offset 1
		.amdhsa_system_sgpr_workgroup_id_x 1
		.amdhsa_system_sgpr_workgroup_id_y 1
		.amdhsa_system_sgpr_workgroup_id_z 0
		.amdhsa_system_sgpr_workgroup_info 0
		.amdhsa_system_vgpr_workitem_id 1
		.amdhsa_next_free_vgpr 128
		.amdhsa_next_free_sgpr 40
		.amdhsa_reserve_vcc 1
		.amdhsa_reserve_flat_scratch 0
		.amdhsa_float_round_mode_32 0
		.amdhsa_float_round_mode_16_64 0
		.amdhsa_float_denorm_mode_32 3
		.amdhsa_float_denorm_mode_16_64 3
		.amdhsa_dx10_clamp 1
		.amdhsa_ieee_mode 1
		.amdhsa_fp16_overflow 0
		.amdhsa_workgroup_processor_mode 1
		.amdhsa_memory_ordered 1
		.amdhsa_forward_progress 1
		.amdhsa_shared_vgpr_count 0
		.amdhsa_exception_fp_ieee_invalid_op 0
		.amdhsa_exception_fp_denorm_src 0
		.amdhsa_exception_fp_ieee_div_zero 0
		.amdhsa_exception_fp_ieee_overflow 0
		.amdhsa_exception_fp_ieee_underflow 0
		.amdhsa_exception_fp_ieee_inexact 0
		.amdhsa_exception_int_div_zero 0
	.end_amdhsa_kernel
	.section	.text._ZN2at6native12_GLOBAL__N_135GammaBetaBackwardCUDAKernelTemplateIN3c104HalfEfLj64ELj16ELj256ELb0ELb0ELb0EEEvllPKT_S7_PKT0_SA_PS5_SB_,"axG",@progbits,_ZN2at6native12_GLOBAL__N_135GammaBetaBackwardCUDAKernelTemplateIN3c104HalfEfLj64ELj16ELj256ELb0ELb0ELb0EEEvllPKT_S7_PKT0_SA_PS5_SB_,comdat
.Lfunc_end82:
	.size	_ZN2at6native12_GLOBAL__N_135GammaBetaBackwardCUDAKernelTemplateIN3c104HalfEfLj64ELj16ELj256ELb0ELb0ELb0EEEvllPKT_S7_PKT0_SA_PS5_SB_, .Lfunc_end82-_ZN2at6native12_GLOBAL__N_135GammaBetaBackwardCUDAKernelTemplateIN3c104HalfEfLj64ELj16ELj256ELb0ELb0ELb0EEEvllPKT_S7_PKT0_SA_PS5_SB_
                                        ; -- End function
	.set _ZN2at6native12_GLOBAL__N_135GammaBetaBackwardCUDAKernelTemplateIN3c104HalfEfLj64ELj16ELj256ELb0ELb0ELb0EEEvllPKT_S7_PKT0_SA_PS5_SB_.num_vgpr, 128
	.set _ZN2at6native12_GLOBAL__N_135GammaBetaBackwardCUDAKernelTemplateIN3c104HalfEfLj64ELj16ELj256ELb0ELb0ELb0EEEvllPKT_S7_PKT0_SA_PS5_SB_.num_agpr, 0
	.set _ZN2at6native12_GLOBAL__N_135GammaBetaBackwardCUDAKernelTemplateIN3c104HalfEfLj64ELj16ELj256ELb0ELb0ELb0EEEvllPKT_S7_PKT0_SA_PS5_SB_.numbered_sgpr, 40
	.set _ZN2at6native12_GLOBAL__N_135GammaBetaBackwardCUDAKernelTemplateIN3c104HalfEfLj64ELj16ELj256ELb0ELb0ELb0EEEvllPKT_S7_PKT0_SA_PS5_SB_.num_named_barrier, 0
	.set _ZN2at6native12_GLOBAL__N_135GammaBetaBackwardCUDAKernelTemplateIN3c104HalfEfLj64ELj16ELj256ELb0ELb0ELb0EEEvllPKT_S7_PKT0_SA_PS5_SB_.private_seg_size, 176
	.set _ZN2at6native12_GLOBAL__N_135GammaBetaBackwardCUDAKernelTemplateIN3c104HalfEfLj64ELj16ELj256ELb0ELb0ELb0EEEvllPKT_S7_PKT0_SA_PS5_SB_.uses_vcc, 1
	.set _ZN2at6native12_GLOBAL__N_135GammaBetaBackwardCUDAKernelTemplateIN3c104HalfEfLj64ELj16ELj256ELb0ELb0ELb0EEEvllPKT_S7_PKT0_SA_PS5_SB_.uses_flat_scratch, 0
	.set _ZN2at6native12_GLOBAL__N_135GammaBetaBackwardCUDAKernelTemplateIN3c104HalfEfLj64ELj16ELj256ELb0ELb0ELb0EEEvllPKT_S7_PKT0_SA_PS5_SB_.has_dyn_sized_stack, 0
	.set _ZN2at6native12_GLOBAL__N_135GammaBetaBackwardCUDAKernelTemplateIN3c104HalfEfLj64ELj16ELj256ELb0ELb0ELb0EEEvllPKT_S7_PKT0_SA_PS5_SB_.has_recursion, 0
	.set _ZN2at6native12_GLOBAL__N_135GammaBetaBackwardCUDAKernelTemplateIN3c104HalfEfLj64ELj16ELj256ELb0ELb0ELb0EEEvllPKT_S7_PKT0_SA_PS5_SB_.has_indirect_call, 0
	.section	.AMDGPU.csdata,"",@progbits
; Kernel info:
; codeLenInByte = 18176
; TotalNumSgprs: 42
; NumVgprs: 128
; ScratchSize: 176
; MemoryBound: 0
; FloatMode: 240
; IeeeMode: 1
; LDSByteSize: 0 bytes/workgroup (compile time only)
; SGPRBlocks: 0
; VGPRBlocks: 15
; NumSGPRsForWavesPerEU: 42
; NumVGPRsForWavesPerEU: 128
; Occupancy: 8
; WaveLimiterHint : 0
; COMPUTE_PGM_RSRC2:SCRATCH_EN: 1
; COMPUTE_PGM_RSRC2:USER_SGPR: 6
; COMPUTE_PGM_RSRC2:TRAP_HANDLER: 0
; COMPUTE_PGM_RSRC2:TGID_X_EN: 1
; COMPUTE_PGM_RSRC2:TGID_Y_EN: 1
; COMPUTE_PGM_RSRC2:TGID_Z_EN: 0
; COMPUTE_PGM_RSRC2:TIDIG_COMP_CNT: 1
	.section	.text._ZN2at6native12_GLOBAL__N_135GammaBetaBackwardCUDAKernelTemplateIN3c104HalfEfLj32ELj1ELj32ELb1ELb1ELb0EEEvllPKT_S7_PKT0_SA_PS5_SB_,"axG",@progbits,_ZN2at6native12_GLOBAL__N_135GammaBetaBackwardCUDAKernelTemplateIN3c104HalfEfLj32ELj1ELj32ELb1ELb1ELb0EEEvllPKT_S7_PKT0_SA_PS5_SB_,comdat
	.globl	_ZN2at6native12_GLOBAL__N_135GammaBetaBackwardCUDAKernelTemplateIN3c104HalfEfLj32ELj1ELj32ELb1ELb1ELb0EEEvllPKT_S7_PKT0_SA_PS5_SB_ ; -- Begin function _ZN2at6native12_GLOBAL__N_135GammaBetaBackwardCUDAKernelTemplateIN3c104HalfEfLj32ELj1ELj32ELb1ELb1ELb0EEEvllPKT_S7_PKT0_SA_PS5_SB_
	.p2align	8
	.type	_ZN2at6native12_GLOBAL__N_135GammaBetaBackwardCUDAKernelTemplateIN3c104HalfEfLj32ELj1ELj32ELb1ELb1ELb0EEEvllPKT_S7_PKT0_SA_PS5_SB_,@function
_ZN2at6native12_GLOBAL__N_135GammaBetaBackwardCUDAKernelTemplateIN3c104HalfEfLj32ELj1ELj32ELb1ELb1ELb0EEEvllPKT_S7_PKT0_SA_PS5_SB_: ; @_ZN2at6native12_GLOBAL__N_135GammaBetaBackwardCUDAKernelTemplateIN3c104HalfEfLj32ELj1ELj32ELb1ELb1ELb0EEEvllPKT_S7_PKT0_SA_PS5_SB_
; %bb.0:
	s_load_dwordx4 s[16:19], s[4:5], 0x0
	s_lshl_b32 s2, s7, 5
	s_mov_b32 s3, 0
	s_waitcnt lgkmcnt(0)
	v_cmp_gt_i64_e64 s0, s[16:17], s[2:3]
	s_and_b32 vcc_lo, exec_lo, s0
	s_cbranch_vccnz .LBB83_2
; %bb.1:
	s_add_u32 s24, s4, 64
	s_addc_u32 s25, s5, 0
	s_mov_b32 s0, s3
	s_branch .LBB83_3
.LBB83_2:
	s_mov_b32 s0, -1
                                        ; implicit-def: $sgpr24_sgpr25
.LBB83_3:
	s_load_dwordx4 s[20:23], s[4:5], 0x30
	v_mov_b32_e32 v5, 0
	v_mov_b32_e32 v4, 0
	s_andn2_b32 vcc_lo, exec_lo, s0
	s_cbranch_vccnz .LBB83_9
; %bb.4:
	s_clause 0x2
	s_load_dword s0, s[4:5], 0x4c
	s_load_dword s1, s[4:5], 0x44
	s_load_dwordx8 s[8:15], s[4:5], 0x10
	v_lshlrev_b32_e32 v4, 5, v1
	s_add_u32 s24, s4, 64
	s_addc_u32 s25, s5, 0
	v_mov_b32_e32 v3, 0
	v_lshl_or_b32 v2, s6, 5, v0
	v_mov_b32_e32 v8, 4
	v_mov_b32_e32 v9, 8
	v_mov_b32_e32 v10, 12
	v_mov_b32_e32 v11, 16
	v_lshlrev_b64 v[39:40], 1, v[2:3]
	v_mov_b32_e32 v12, 20
	v_mov_b32_e32 v13, 24
	;; [unrolled: 1-line block ×7, first 2 shown]
	s_waitcnt lgkmcnt(0)
	s_and_b32 s0, s0, 0xffff
	s_lshl_b32 s26, s1, 5
	v_mad_u32_u24 v5, v1, s0, v0
	v_add_co_u32 v42, s0, v4, s2
	v_add_co_ci_u32_e64 v43, null, 0, 0, s0
	v_and_b32_e32 v41, 31, v5
	v_mul_lo_u32 v6, s19, v42
	v_mad_u64_u32 v[4:5], null, s18, v42, 0
	v_mul_lo_u32 v7, s18, v43
	s_mul_i32 s0, s19, s26
	s_mul_hi_u32 s1, s18, s26
	v_mov_b32_e32 v19, 48
	v_mov_b32_e32 v20, 52
	;; [unrolled: 1-line block ×5, first 2 shown]
	v_add3_u32 v5, v5, v7, v6
	v_mov_b32_e32 v24, 0x44
	v_mov_b32_e32 v25, 0x48
	;; [unrolled: 1-line block ×4, first 2 shown]
	v_lshlrev_b64 v[6:7], 1, v[4:5]
	v_add_co_u32 v4, vcc_lo, v42, v41
	v_add_co_ci_u32_e64 v5, null, 0, v43, vcc_lo
	v_mov_b32_e32 v28, 0x54
	v_add_co_u32 v2, vcc_lo, v6, v39
	v_add_co_ci_u32_e64 v39, null, v7, v40, vcc_lo
	v_lshlrev_b64 v[6:7], 2, v[4:5]
	v_mov_b32_e32 v29, 0x58
	v_mov_b32_e32 v30, 0x5c
	;; [unrolled: 1-line block ×12, first 2 shown]
	s_mov_b32 s27, 0
	s_add_i32 s1, s1, s0
	s_mul_i32 s0, s18, s26
	s_lshl_b64 s[28:29], s[26:27], 2
	s_lshl_b64 s[4:5], s[0:1], 1
	;; [unrolled: 1-line block ×3, first 2 shown]
	s_branch .LBB83_6
.LBB83_5:                               ;   in Loop: Header=BB83_6 Depth=1
	s_or_b32 exec_lo, exec_lo, s0
	v_add_co_u32 v45, vcc_lo, s10, v2
	v_add_co_ci_u32_e64 v46, null, s11, v39, vcc_lo
	v_add_co_u32 v47, vcc_lo, s8, v2
	v_add_co_ci_u32_e64 v48, null, s9, v39, vcc_lo
	v_add_co_u32 v49, vcc_lo, v45, s30
	global_load_ushort v55, v[45:46], off
	v_add_co_ci_u32_e64 v50, null, s31, v46, vcc_lo
	v_add_co_u32 v46, vcc_lo, v47, s30
	global_load_ushort v44, v[47:48], off
	global_load_ushort v54, v[49:50], off
	v_add_co_ci_u32_e64 v47, null, s31, v48, vcc_lo
	v_add_co_u32 v48, vcc_lo, v49, s30
	v_add_co_ci_u32_e64 v49, null, s31, v50, vcc_lo
	global_load_ushort v45, v[46:47], off
	v_add_co_u32 v50, vcc_lo, v46, s30
	global_load_ushort v52, v[48:49], off
	v_add_co_ci_u32_e64 v51, null, s31, v47, vcc_lo
	v_add_co_u32 v48, vcc_lo, v48, s30
	v_add_co_ci_u32_e64 v49, null, s31, v49, vcc_lo
	global_load_ushort v46, v[50:51], off
	v_add_co_u32 v56, vcc_lo, v50, s30
	global_load_ushort v47, v[48:49], off
	v_add_co_ci_u32_e64 v57, null, s31, v51, vcc_lo
	v_add_co_u32 v58, vcc_lo, v48, s30
	v_add_co_ci_u32_e64 v59, null, s31, v49, vcc_lo
	global_load_ushort v51, v[56:57], off
	v_add_co_u32 v56, vcc_lo, v56, s30
	global_load_ushort v48, v[58:59], off
	v_add_co_ci_u32_e64 v57, null, s31, v57, vcc_lo
	v_add_co_u32 v58, vcc_lo, v58, s30
	v_add_co_ci_u32_e64 v59, null, s31, v59, vcc_lo
	global_load_ushort v50, v[56:57], off
	v_add_co_u32 v56, vcc_lo, v56, s30
	global_load_ushort v49, v[58:59], off
	v_add_co_ci_u32_e64 v57, null, s31, v57, vcc_lo
	v_add_co_u32 v58, s0, v58, s30
	v_add_co_ci_u32_e64 v59, null, s31, v59, s0
	global_load_ushort v53, v[56:57], off
	v_add_co_u32 v56, vcc_lo, v56, s30
	v_add_co_ci_u32_e64 v57, null, s31, v57, vcc_lo
	global_load_ushort v65, v[58:59], off
	v_add_co_u32 v62, s0, v58, s30
	global_load_ushort v64, v[56:57], off
	v_add_co_ci_u32_e64 v63, null, s31, v59, s0
	v_add_co_u32 v60, vcc_lo, v56, s30
	v_add_co_ci_u32_e64 v61, null, s31, v57, vcc_lo
	global_load_ushort v66, v[62:63], off
	v_add_co_u32 v56, vcc_lo, v62, s30
	global_load_ushort v67, v[60:61], off
	v_add_co_ci_u32_e64 v57, null, s31, v63, vcc_lo
	s_add_u32 s2, s2, s26
	s_addc_u32 s3, s3, 0
	global_load_ushort v69, v[56:57], off
	v_add_co_u32 v58, s0, v60, s30
	v_add_co_ci_u32_e64 v59, null, s31, v61, s0
	v_add_co_u32 v62, s0, v56, s30
	v_add_co_ci_u32_e64 v63, null, s31, v57, s0
	global_load_ushort v68, v[58:59], off
	v_add_co_u32 v60, vcc_lo, v58, s30
	v_add_co_ci_u32_e64 v61, null, s31, v59, vcc_lo
	v_add_co_u32 v56, vcc_lo, v62, s30
	global_load_ushort v62, v[62:63], off
	v_add_co_ci_u32_e64 v57, null, s31, v63, vcc_lo
	global_load_ushort v63, v[60:61], off
	v_add_co_u32 v58, s0, v60, s30
	v_add_co_u32 v60, vcc_lo, v56, s30
	global_load_ushort v70, v[56:57], off
	s_waitcnt vmcnt(22)
	ds_bpermute_b32 v56, v3, v42
	v_add_co_ci_u32_e64 v59, null, s31, v61, s0
	v_add_co_ci_u32_e64 v61, null, s31, v57, vcc_lo
	ds_bpermute_b32 v57, v8, v42
	global_load_ushort v71, v[58:59], off
	v_cmp_lt_i64_e64 s0, s[2:3], s[16:17]
	global_load_ushort v72, v[60:61], off
	s_waitcnt vmcnt(22)
	v_cvt_f32_f16_e32 v55, v55
	s_waitcnt vmcnt(21)
	v_cvt_f32_f16_e32 v44, v44
	s_waitcnt lgkmcnt(1)
	v_sub_f32_e32 v55, v55, v56
	ds_bpermute_b32 v56, v3, v41
	s_waitcnt vmcnt(20)
	v_cvt_f32_f16_e32 v54, v54
	v_add_f32_e32 v43, v43, v44
	v_mul_f32_e32 v55, v55, v44
	ds_bpermute_b32 v44, v31, v42
	s_waitcnt lgkmcnt(2)
	v_sub_f32_e32 v54, v54, v57
	ds_bpermute_b32 v57, v8, v41
	s_waitcnt vmcnt(19)
	v_cvt_f32_f16_e32 v45, v45
	s_waitcnt vmcnt(18)
	v_cvt_f32_f16_e32 v52, v52
	v_mul_f32_e32 v54, v54, v45
	v_add_f32_e32 v43, v43, v45
	ds_bpermute_b32 v45, v32, v42
	s_waitcnt vmcnt(17)
	v_cvt_f32_f16_e32 v46, v46
	s_waitcnt vmcnt(16)
	v_cvt_f32_f16_e32 v47, v47
	s_waitcnt lgkmcnt(3)
	v_fmac_f32_e32 v40, v55, v56
	v_add_co_u32 v55, vcc_lo, v58, s30
	v_add_co_ci_u32_e64 v56, null, s31, v59, vcc_lo
	v_add_f32_e32 v43, v43, v46
	s_waitcnt lgkmcnt(1)
	v_fmac_f32_e32 v40, v54, v57
	ds_bpermute_b32 v54, v9, v42
	v_add_co_u32 v57, vcc_lo, v60, s30
	v_add_co_ci_u32_e64 v58, null, s31, v61, vcc_lo
	v_add_co_u32 v59, vcc_lo, v55, s30
	global_load_ushort v73, v[55:56], off
	ds_bpermute_b32 v55, v11, v41
	s_waitcnt vmcnt(15)
	v_cvt_f32_f16_e32 v48, v48
	v_add_co_ci_u32_e64 v60, null, s31, v56, vcc_lo
	ds_bpermute_b32 v56, v12, v41
	s_waitcnt vmcnt(13)
	v_cvt_f32_f16_e32 v49, v49
	global_load_ushort v74, v[57:58], off
	global_load_ushort v75, v[59:60], off
	s_waitcnt lgkmcnt(2)
	v_sub_f32_e32 v52, v52, v54
	ds_bpermute_b32 v54, v9, v41
	v_mul_f32_e32 v52, v52, v46
	s_waitcnt lgkmcnt(0)
	v_fmac_f32_e32 v40, v52, v54
	ds_bpermute_b32 v52, v10, v42
	ds_bpermute_b32 v54, v10, v41
	s_waitcnt lgkmcnt(1)
	v_sub_f32_e32 v52, v47, v52
	v_cvt_f32_f16_e32 v47, v51
	v_mul_f32_e32 v51, v52, v47
	v_add_f32_e32 v43, v43, v47
	ds_bpermute_b32 v47, v31, v41
	s_waitcnt lgkmcnt(1)
	v_fmac_f32_e32 v40, v51, v54
	ds_bpermute_b32 v54, v11, v42
	v_add_co_u32 v51, vcc_lo, v57, s30
	v_add_co_ci_u32_e64 v52, null, s31, v58, vcc_lo
	global_load_ushort v76, v[51:52], off
	s_waitcnt lgkmcnt(0)
	v_sub_f32_e32 v54, v48, v54
	v_cvt_f32_f16_e32 v48, v50
	v_mul_f32_e32 v50, v54, v48
	v_add_co_u32 v54, vcc_lo, v59, s30
	v_add_f32_e32 v43, v43, v48
	ds_bpermute_b32 v48, v33, v42
	v_fmac_f32_e32 v40, v50, v55
	ds_bpermute_b32 v50, v12, v42
	v_add_co_ci_u32_e64 v55, null, s31, v60, vcc_lo
	ds_bpermute_b32 v60, v17, v41
	s_waitcnt lgkmcnt(1)
	v_sub_f32_e32 v50, v49, v50
	s_waitcnt vmcnt(15)
	v_cvt_f32_f16_e32 v49, v53
	ds_bpermute_b32 v53, v14, v41
	v_mul_f32_e32 v50, v50, v49
	v_add_f32_e32 v43, v43, v49
	ds_bpermute_b32 v49, v32, v41
	v_fmac_f32_e32 v40, v50, v56
	ds_bpermute_b32 v50, v13, v42
	v_add_co_u32 v56, vcc_lo, v51, s30
	v_add_co_ci_u32_e64 v57, null, s31, v52, vcc_lo
	ds_bpermute_b32 v52, v13, v41
	s_waitcnt vmcnt(14)
	v_cvt_f32_f16_e32 v51, v65
	v_add_co_u32 v58, vcc_lo, v54, s30
	global_load_ushort v65, v[56:57], off
	v_add_co_ci_u32_e64 v59, null, s31, v55, vcc_lo
	s_waitcnt lgkmcnt(1)
	v_sub_f32_e32 v51, v51, v50
	s_waitcnt vmcnt(14)
	v_cvt_f32_f16_e32 v50, v64
	global_load_ushort v64, v[54:55], off
	v_add_co_u32 v54, vcc_lo, v56, s30
	ds_bpermute_b32 v56, v15, v41
	v_mul_f32_e32 v51, v51, v50
	v_add_co_ci_u32_e64 v55, null, s31, v57, vcc_lo
	v_add_f32_e32 v43, v43, v50
	s_waitcnt lgkmcnt(1)
	v_fmac_f32_e32 v40, v51, v52
	ds_bpermute_b32 v51, v14, v42
	s_waitcnt vmcnt(14)
	v_cvt_f32_f16_e32 v52, v66
	global_load_ushort v66, v[58:59], off
	s_waitcnt lgkmcnt(0)
	v_sub_f32_e32 v52, v52, v51
	s_waitcnt vmcnt(14)
	v_cvt_f32_f16_e32 v51, v67
	v_mul_f32_e32 v52, v52, v51
	v_add_f32_e32 v43, v43, v51
	v_fmac_f32_e32 v40, v52, v53
	ds_bpermute_b32 v52, v15, v42
	s_waitcnt vmcnt(13)
	v_cvt_f32_f16_e32 v53, v69
	s_waitcnt lgkmcnt(0)
	v_sub_f32_e32 v53, v53, v52
	s_waitcnt vmcnt(12)
	v_cvt_f32_f16_e32 v52, v68
	v_mul_f32_e32 v53, v53, v52
	v_add_f32_e32 v43, v43, v52
	v_fmac_f32_e32 v40, v53, v56
	ds_bpermute_b32 v53, v16, v42
	v_add_co_u32 v56, vcc_lo, v58, s30
	v_add_co_ci_u32_e64 v57, null, s31, v59, vcc_lo
	s_waitcnt vmcnt(11)
	v_cvt_f32_f16_e32 v58, v62
	ds_bpermute_b32 v59, v16, v41
	global_load_ushort v62, v[54:55], off
	s_waitcnt lgkmcnt(1)
	v_sub_f32_e32 v58, v58, v53
	s_waitcnt vmcnt(11)
	v_cvt_f32_f16_e32 v53, v63
	global_load_ushort v63, v[56:57], off
	v_mul_f32_e32 v58, v58, v53
	v_add_f32_e32 v43, v43, v53
	s_waitcnt lgkmcnt(0)
	v_fmac_f32_e32 v40, v58, v59
	v_add_co_u32 v58, vcc_lo, v54, s30
	v_add_co_ci_u32_e64 v59, null, s31, v55, vcc_lo
	ds_bpermute_b32 v54, v17, v42
	s_waitcnt vmcnt(11)
	v_cvt_f32_f16_e32 v55, v70
	global_load_ushort v68, v[58:59], off
	s_waitcnt lgkmcnt(0)
	v_sub_f32_e32 v55, v55, v54
	s_waitcnt vmcnt(11)
	v_cvt_f32_f16_e32 v54, v71
	v_mul_f32_e32 v55, v55, v54
	v_add_f32_e32 v43, v43, v54
	v_fmac_f32_e32 v40, v55, v60
	ds_bpermute_b32 v55, v18, v42
	v_add_co_u32 v60, vcc_lo, v56, s30
	s_waitcnt vmcnt(10)
	v_cvt_f32_f16_e32 v56, v72
	v_add_co_ci_u32_e64 v61, null, s31, v57, vcc_lo
	ds_bpermute_b32 v57, v19, v42
	s_waitcnt lgkmcnt(1)
	v_sub_f32_e32 v55, v56, v55
	ds_bpermute_b32 v56, v18, v41
	s_waitcnt vmcnt(9)
	v_cvt_f32_f16_e32 v67, v73
	v_mul_f32_e32 v55, v55, v67
	v_add_f32_e32 v43, v43, v67
	s_waitcnt vmcnt(7)
	v_cvt_f32_f16_e32 v69, v75
	v_add_f32_e32 v43, v43, v69
	s_waitcnt lgkmcnt(0)
	v_fmac_f32_e32 v40, v55, v56
	v_add_co_u32 v55, vcc_lo, v58, s30
	v_cvt_f32_f16_e32 v58, v74
	v_add_co_ci_u32_e64 v56, null, s31, v59, vcc_lo
	ds_bpermute_b32 v59, v20, v42
	v_sub_f32_e32 v57, v58, v57
	ds_bpermute_b32 v58, v19, v41
	global_load_ushort v70, v[55:56], off
	v_mul_f32_e32 v57, v57, v69
	s_waitcnt lgkmcnt(0)
	v_fmac_f32_e32 v40, v57, v58
	v_add_co_u32 v57, vcc_lo, v60, s30
	v_add_co_ci_u32_e64 v58, null, s31, v61, vcc_lo
	global_load_ushort v61, v[60:61], off
	s_waitcnt vmcnt(8)
	v_cvt_f32_f16_e32 v60, v76
	v_sub_f32_e32 v59, v60, v59
	ds_bpermute_b32 v60, v20, v41
	s_waitcnt vmcnt(6)
	v_cvt_f32_f16_e32 v64, v64
	v_mul_f32_e32 v59, v59, v64
	v_add_f32_e32 v43, v43, v64
	s_waitcnt lgkmcnt(0)
	v_fmac_f32_e32 v40, v59, v60
	v_add_co_u32 v59, vcc_lo, v55, s30
	ds_bpermute_b32 v55, v21, v42
	v_add_co_ci_u32_e64 v60, null, s31, v56, vcc_lo
	v_cvt_f32_f16_e32 v56, v65
	s_waitcnt vmcnt(5)
	v_cvt_f32_f16_e32 v65, v66
	global_load_ushort v66, v[57:58], off
	v_add_f32_e32 v43, v43, v65
	s_waitcnt lgkmcnt(0)
	v_sub_f32_e32 v55, v56, v55
	ds_bpermute_b32 v56, v21, v41
	v_mul_f32_e32 v55, v55, v65
	s_waitcnt lgkmcnt(0)
	v_fmac_f32_e32 v40, v55, v56
	v_add_co_u32 v55, vcc_lo, v57, s30
	ds_bpermute_b32 v57, v22, v42
	v_add_co_ci_u32_e64 v56, null, s31, v58, vcc_lo
	s_waitcnt vmcnt(5)
	v_cvt_f32_f16_e32 v58, v62
	s_waitcnt lgkmcnt(0)
	v_sub_f32_e32 v57, v58, v57
	ds_bpermute_b32 v58, v22, v41
	s_waitcnt vmcnt(4)
	v_cvt_f32_f16_e32 v62, v63
	global_load_ushort v63, v[59:60], off
	v_mul_f32_e32 v57, v57, v62
	v_add_f32_e32 v43, v43, v62
	s_waitcnt lgkmcnt(0)
	v_fmac_f32_e32 v40, v57, v58
	v_add_co_u32 v57, vcc_lo, v59, s30
	v_add_co_ci_u32_e64 v58, null, s31, v60, vcc_lo
	ds_bpermute_b32 v59, v23, v42
	s_waitcnt vmcnt(4)
	v_cvt_f32_f16_e32 v60, v68
	global_load_ushort v68, v[55:56], off
	s_waitcnt lgkmcnt(0)
	v_sub_f32_e32 v59, v60, v59
	ds_bpermute_b32 v60, v23, v41
	s_waitcnt vmcnt(3)
	v_cvt_f32_f16_e32 v61, v61
	v_mul_f32_e32 v59, v59, v61
	v_add_f32_e32 v43, v43, v61
	s_waitcnt lgkmcnt(0)
	v_fmac_f32_e32 v40, v59, v60
	v_add_co_u32 v59, vcc_lo, v55, s30
	ds_bpermute_b32 v55, v24, v42
	v_add_co_ci_u32_e64 v60, null, s31, v56, vcc_lo
	v_cvt_f32_f16_e32 v56, v70
	global_load_ushort v70, v[57:58], off
	s_waitcnt lgkmcnt(0)
	v_sub_f32_e32 v55, v56, v55
	ds_bpermute_b32 v56, v24, v41
	s_waitcnt vmcnt(3)
	v_cvt_f32_f16_e32 v66, v66
	v_mul_f32_e32 v55, v55, v66
	v_add_f32_e32 v43, v43, v66
	s_waitcnt lgkmcnt(0)
	v_fmac_f32_e32 v40, v55, v56
	v_add_co_u32 v55, vcc_lo, v57, s30
	ds_bpermute_b32 v57, v25, v42
	v_add_co_ci_u32_e64 v56, null, s31, v58, vcc_lo
	s_waitcnt vmcnt(2)
	v_cvt_f32_f16_e32 v58, v63
	s_waitcnt lgkmcnt(0)
	v_sub_f32_e32 v57, v58, v57
	ds_bpermute_b32 v58, v25, v41
	s_waitcnt vmcnt(1)
	v_cvt_f32_f16_e32 v63, v68
	v_mul_f32_e32 v57, v57, v63
	v_add_f32_e32 v43, v43, v63
	s_waitcnt lgkmcnt(0)
	v_fmac_f32_e32 v40, v57, v58
	v_add_co_u32 v57, vcc_lo, v59, s30
	global_load_ushort v59, v[59:60], off
	v_add_co_ci_u32_e64 v58, null, s31, v60, vcc_lo
	ds_bpermute_b32 v60, v26, v42
	s_waitcnt vmcnt(1)
	v_cvt_f32_f16_e32 v68, v70
	s_waitcnt lgkmcnt(0)
	v_sub_f32_e32 v60, v68, v60
	ds_bpermute_b32 v68, v26, v41
	s_waitcnt vmcnt(0)
	v_cvt_f32_f16_e32 v70, v59
	v_mul_f32_e32 v59, v60, v70
	v_add_f32_e32 v43, v43, v70
	s_waitcnt lgkmcnt(0)
	v_fmac_f32_e32 v40, v59, v68
	global_load_ushort v68, v[55:56], off
	v_add_co_u32 v59, vcc_lo, v55, s30
	v_add_co_ci_u32_e64 v60, null, s31, v56, vcc_lo
	v_add_co_u32 v55, vcc_lo, v57, s30
	global_load_ushort v57, v[57:58], off
	v_add_co_ci_u32_e64 v56, null, s31, v58, vcc_lo
	global_load_ushort v71, v[59:60], off
	s_waitcnt vmcnt(2)
	v_cvt_f32_f16_e32 v58, v68
	ds_bpermute_b32 v68, v27, v42
	s_waitcnt lgkmcnt(0)
	v_sub_f32_e32 v58, v58, v68
	s_waitcnt vmcnt(1)
	v_cvt_f32_f16_e32 v68, v57
	v_mul_f32_e32 v57, v58, v68
	ds_bpermute_b32 v58, v27, v41
	v_add_f32_e32 v43, v43, v68
	s_waitcnt lgkmcnt(0)
	v_fmac_f32_e32 v40, v57, v58
	v_add_co_u32 v57, vcc_lo, v59, s30
	v_add_co_ci_u32_e64 v58, null, s31, v60, vcc_lo
	v_add_co_u32 v59, vcc_lo, v55, s30
	global_load_ushort v55, v[55:56], off
	v_add_co_ci_u32_e64 v60, null, s31, v56, vcc_lo
	s_waitcnt vmcnt(1)
	v_cvt_f32_f16_e32 v56, v71
	ds_bpermute_b32 v71, v28, v42
	global_load_ushort v72, v[57:58], off
	s_waitcnt lgkmcnt(0)
	v_sub_f32_e32 v56, v56, v71
	s_waitcnt vmcnt(1)
	v_cvt_f32_f16_e32 v71, v55
	v_mul_f32_e32 v55, v56, v71
	ds_bpermute_b32 v56, v28, v41
	v_add_f32_e32 v43, v43, v71
	s_waitcnt lgkmcnt(0)
	v_fmac_f32_e32 v40, v55, v56
	v_add_co_u32 v55, vcc_lo, v57, s30
	v_add_co_ci_u32_e64 v56, null, s31, v58, vcc_lo
	v_add_co_u32 v57, vcc_lo, v59, s30
	global_load_ushort v59, v[59:60], off
	v_add_co_ci_u32_e64 v58, null, s31, v60, vcc_lo
	s_waitcnt vmcnt(1)
	v_cvt_f32_f16_e32 v60, v72
	ds_bpermute_b32 v72, v29, v42
	global_load_ushort v73, v[55:56], off
	;; [unrolled: 18-line block ×3, first 2 shown]
	global_load_ushort v75, v[55:56], off
	s_waitcnt lgkmcnt(0)
	v_sub_f32_e32 v58, v58, v73
	s_waitcnt vmcnt(2)
	v_cvt_f32_f16_e32 v73, v57
	v_mul_f32_e32 v57, v58, v73
	ds_bpermute_b32 v58, v30, v41
	s_waitcnt vmcnt(1)
	v_cvt_f32_f16_e32 v46, v74
	v_add_f32_e32 v43, v43, v73
	v_sub_f32_e32 v44, v46, v44
	s_waitcnt vmcnt(0)
	v_cvt_f32_f16_e32 v46, v75
	v_mul_f32_e32 v44, v44, v46
	v_add_f32_e32 v43, v43, v46
	ds_bpermute_b32 v46, v35, v41
	s_waitcnt lgkmcnt(1)
	v_fmac_f32_e32 v40, v57, v58
	v_add_co_u32 v57, vcc_lo, v59, s30
	v_add_co_ci_u32_e64 v58, null, s31, v60, vcc_lo
	v_add_co_u32 v59, vcc_lo, v55, s30
	v_add_co_ci_u32_e64 v60, null, s31, v56, vcc_lo
	global_load_ushort v76, v[57:58], off
	v_add_co_u32 v55, vcc_lo, v57, s30
	v_add_co_ci_u32_e64 v56, null, s31, v58, vcc_lo
	global_load_ushort v77, v[59:60], off
	;; [unrolled: 3-line block ×3, first 2 shown]
	v_add_co_u32 v59, vcc_lo, v55, s30
	global_load_ushort v79, v[57:58], off
	v_add_co_ci_u32_e64 v60, null, s31, v56, vcc_lo
	v_add_co_u32 v55, vcc_lo, v57, s30
	v_add_co_ci_u32_e64 v56, null, s31, v58, vcc_lo
	global_load_ushort v81, v[59:60], off
	v_add_co_u32 v57, vcc_lo, v55, s30
	v_add_co_ci_u32_e64 v58, null, s31, v56, vcc_lo
	global_load_ushort v80, v[55:56], off
	v_add_co_u32 v55, vcc_lo, v59, s30
	v_add_co_ci_u32_e64 v56, null, s31, v60, vcc_lo
	v_add_co_u32 v59, vcc_lo, v57, s30
	v_add_co_ci_u32_e64 v60, null, s31, v58, vcc_lo
	global_load_ushort v82, v[57:58], off
	v_add_co_u32 v57, vcc_lo, v55, s30
	v_add_co_ci_u32_e64 v58, null, s31, v56, vcc_lo
	global_load_ushort v83, v[55:56], off
	;; [unrolled: 3-line block ×6, first 2 shown]
	global_load_ushort v55, v[55:56], off
	global_load_ushort v56, v[57:58], off
	v_fmac_f32_e32 v40, v44, v47
	ds_bpermute_b32 v60, v37, v41
	v_add_co_u32 v2, vcc_lo, v2, s4
	v_add_co_ci_u32_e64 v39, null, s5, v39, vcc_lo
	v_add_co_u32 v6, vcc_lo, v6, s28
	v_add_co_ci_u32_e64 v7, null, s29, v7, vcc_lo
	;; [unrolled: 2-line block ×3, first 2 shown]
	s_and_b32 vcc_lo, exec_lo, s0
	s_waitcnt vmcnt(13)
	v_cvt_f32_f16_e32 v50, v76
	v_sub_f32_e32 v45, v50, v45
	ds_bpermute_b32 v50, v33, v41
	s_waitcnt vmcnt(12)
	v_cvt_f32_f16_e32 v51, v77
	s_waitcnt vmcnt(11)
	v_cvt_f32_f16_e32 v52, v78
	v_mul_f32_e32 v44, v45, v51
	ds_bpermute_b32 v45, v34, v42
	v_add_f32_e32 v43, v43, v51
	v_sub_f32_e32 v47, v52, v48
	s_waitcnt vmcnt(10)
	v_cvt_f32_f16_e32 v48, v79
	v_fmac_f32_e32 v40, v44, v49
	ds_bpermute_b32 v51, v36, v41
	s_waitcnt vmcnt(9)
	v_cvt_f32_f16_e32 v49, v81
	v_mul_f32_e32 v44, v47, v48
	ds_bpermute_b32 v47, v35, v42
	v_add_f32_e32 v43, v43, v48
	s_waitcnt vmcnt(8)
	v_cvt_f32_f16_e32 v52, v80
	s_waitcnt lgkmcnt(3)
	v_fmac_f32_e32 v40, v44, v50
	ds_bpermute_b32 v44, v34, v41
	ds_bpermute_b32 v50, v36, v42
	;; [unrolled: 1-line block ×3, first 2 shown]
	v_add_f32_e32 v43, v43, v52
	s_waitcnt lgkmcnt(5)
	v_sub_f32_e32 v45, v49, v45
	ds_bpermute_b32 v49, v37, v42
	ds_bpermute_b32 v42, v38, v42
	s_waitcnt vmcnt(7)
	v_cvt_f32_f16_e32 v53, v82
	v_mul_f32_e32 v45, v45, v52
	s_waitcnt vmcnt(6)
	v_cvt_f32_f16_e32 v54, v83
	v_add_f32_e32 v43, v43, v53
	s_waitcnt lgkmcnt(5)
	v_sub_f32_e32 v47, v54, v47
	s_waitcnt vmcnt(5)
	v_cvt_f32_f16_e32 v57, v84
	s_waitcnt lgkmcnt(4)
	v_fmac_f32_e32 v40, v45, v44
	s_waitcnt vmcnt(4)
	v_cvt_f32_f16_e32 v58, v85
	v_mul_f32_e32 v44, v47, v53
	v_add_f32_e32 v43, v43, v57
	s_waitcnt lgkmcnt(3)
	v_sub_f32_e32 v45, v58, v50
	s_waitcnt vmcnt(3)
	v_cvt_f32_f16_e32 v54, v86
	v_fmac_f32_e32 v40, v44, v46
	s_waitcnt vmcnt(2)
	v_cvt_f32_f16_e32 v47, v59
	v_mul_f32_e32 v44, v45, v57
	s_waitcnt vmcnt(1)
	v_cvt_f32_f16_e32 v46, v55
	v_add_f32_e32 v43, v43, v54
	s_waitcnt lgkmcnt(1)
	v_sub_f32_e32 v45, v47, v49
	s_waitcnt vmcnt(0)
	v_cvt_f32_f16_e32 v47, v56
	v_fmac_f32_e32 v40, v44, v51
	s_waitcnt lgkmcnt(0)
	v_sub_f32_e32 v42, v46, v42
	v_mul_f32_e32 v44, v45, v54
	v_add_f32_e32 v43, v43, v47
	v_mul_f32_e32 v42, v42, v47
	v_fmac_f32_e32 v40, v44, v60
	v_fmac_f32_e32 v40, v42, v41
	s_cbranch_vccz .LBB83_8
.LBB83_6:                               ; =>This Inner Loop Header: Depth=1
	v_mov_b32_e32 v41, 0
	v_mov_b32_e32 v42, 0
	s_mov_b32 s0, exec_lo
	v_cmpx_gt_i64_e64 s[16:17], v[4:5]
	s_cbranch_execz .LBB83_5
; %bb.7:                                ;   in Loop: Header=BB83_6 Depth=1
	v_add_co_u32 v41, vcc_lo, s12, v6
	v_add_co_ci_u32_e64 v42, null, s13, v7, vcc_lo
	v_add_co_u32 v44, vcc_lo, s14, v6
	v_add_co_ci_u32_e64 v45, null, s15, v7, vcc_lo
	global_load_dword v42, v[41:42], off
	global_load_dword v41, v[44:45], off
	s_branch .LBB83_5
.LBB83_8:
	v_cvt_f16_f32_e32 v5, v40
	v_cvt_f16_f32_e32 v4, v43
.LBB83_9:
	s_load_dword s0, s[24:25], 0xc
	v_mov_b32_e32 v2, 0
	s_waitcnt lgkmcnt(0)
	s_lshr_b32 s0, s0, 16
	v_mad_u64_u32 v[1:2], null, s0, s7, v[1:2]
	s_mov_b32 s7, 0
	s_lshl_b64 s[0:1], s[6:7], 5
	s_cmp_eq_u64 s[20:21], 0
	v_or_b32_e32 v7, s0, v0
	v_mov_b32_e32 v8, s1
	v_mul_lo_u32 v0, v2, s18
	v_mul_lo_u32 v6, v1, s19
	v_lshlrev_b64 v[2:3], 1, v[7:8]
	s_cbranch_scc1 .LBB83_11
; %bb.10:
	v_mad_u64_u32 v[7:8], null, v1, s18, 0
	v_add3_u32 v8, v8, v6, v0
	v_lshlrev_b64 v[7:8], 1, v[7:8]
	v_add_co_u32 v7, vcc_lo, s20, v7
	v_add_co_ci_u32_e64 v8, null, s21, v8, vcc_lo
	v_add_co_u32 v7, vcc_lo, v7, v2
	v_add_co_ci_u32_e64 v8, null, v8, v3, vcc_lo
	global_store_short v[7:8], v5, off
.LBB83_11:
	s_cmp_eq_u64 s[22:23], 0
	s_cbranch_scc1 .LBB83_13
; %bb.12:
	v_mad_u64_u32 v[7:8], null, v1, s18, 0
	v_add3_u32 v8, v8, v6, v0
	v_lshlrev_b64 v[0:1], 1, v[7:8]
	v_add_co_u32 v0, vcc_lo, s22, v0
	v_add_co_ci_u32_e64 v1, null, s23, v1, vcc_lo
	v_add_co_u32 v0, vcc_lo, v0, v2
	v_add_co_ci_u32_e64 v1, null, v1, v3, vcc_lo
	global_store_short v[0:1], v4, off
.LBB83_13:
	s_endpgm
	.section	.rodata,"a",@progbits
	.p2align	6, 0x0
	.amdhsa_kernel _ZN2at6native12_GLOBAL__N_135GammaBetaBackwardCUDAKernelTemplateIN3c104HalfEfLj32ELj1ELj32ELb1ELb1ELb0EEEvllPKT_S7_PKT0_SA_PS5_SB_
		.amdhsa_group_segment_fixed_size 0
		.amdhsa_private_segment_fixed_size 0
		.amdhsa_kernarg_size 320
		.amdhsa_user_sgpr_count 6
		.amdhsa_user_sgpr_private_segment_buffer 1
		.amdhsa_user_sgpr_dispatch_ptr 0
		.amdhsa_user_sgpr_queue_ptr 0
		.amdhsa_user_sgpr_kernarg_segment_ptr 1
		.amdhsa_user_sgpr_dispatch_id 0
		.amdhsa_user_sgpr_flat_scratch_init 0
		.amdhsa_user_sgpr_private_segment_size 0
		.amdhsa_wavefront_size32 1
		.amdhsa_uses_dynamic_stack 0
		.amdhsa_system_sgpr_private_segment_wavefront_offset 0
		.amdhsa_system_sgpr_workgroup_id_x 1
		.amdhsa_system_sgpr_workgroup_id_y 1
		.amdhsa_system_sgpr_workgroup_id_z 0
		.amdhsa_system_sgpr_workgroup_info 0
		.amdhsa_system_vgpr_workitem_id 1
		.amdhsa_next_free_vgpr 87
		.amdhsa_next_free_sgpr 32
		.amdhsa_reserve_vcc 1
		.amdhsa_reserve_flat_scratch 0
		.amdhsa_float_round_mode_32 0
		.amdhsa_float_round_mode_16_64 0
		.amdhsa_float_denorm_mode_32 3
		.amdhsa_float_denorm_mode_16_64 3
		.amdhsa_dx10_clamp 1
		.amdhsa_ieee_mode 1
		.amdhsa_fp16_overflow 0
		.amdhsa_workgroup_processor_mode 1
		.amdhsa_memory_ordered 1
		.amdhsa_forward_progress 1
		.amdhsa_shared_vgpr_count 0
		.amdhsa_exception_fp_ieee_invalid_op 0
		.amdhsa_exception_fp_denorm_src 0
		.amdhsa_exception_fp_ieee_div_zero 0
		.amdhsa_exception_fp_ieee_overflow 0
		.amdhsa_exception_fp_ieee_underflow 0
		.amdhsa_exception_fp_ieee_inexact 0
		.amdhsa_exception_int_div_zero 0
	.end_amdhsa_kernel
	.section	.text._ZN2at6native12_GLOBAL__N_135GammaBetaBackwardCUDAKernelTemplateIN3c104HalfEfLj32ELj1ELj32ELb1ELb1ELb0EEEvllPKT_S7_PKT0_SA_PS5_SB_,"axG",@progbits,_ZN2at6native12_GLOBAL__N_135GammaBetaBackwardCUDAKernelTemplateIN3c104HalfEfLj32ELj1ELj32ELb1ELb1ELb0EEEvllPKT_S7_PKT0_SA_PS5_SB_,comdat
.Lfunc_end83:
	.size	_ZN2at6native12_GLOBAL__N_135GammaBetaBackwardCUDAKernelTemplateIN3c104HalfEfLj32ELj1ELj32ELb1ELb1ELb0EEEvllPKT_S7_PKT0_SA_PS5_SB_, .Lfunc_end83-_ZN2at6native12_GLOBAL__N_135GammaBetaBackwardCUDAKernelTemplateIN3c104HalfEfLj32ELj1ELj32ELb1ELb1ELb0EEEvllPKT_S7_PKT0_SA_PS5_SB_
                                        ; -- End function
	.set _ZN2at6native12_GLOBAL__N_135GammaBetaBackwardCUDAKernelTemplateIN3c104HalfEfLj32ELj1ELj32ELb1ELb1ELb0EEEvllPKT_S7_PKT0_SA_PS5_SB_.num_vgpr, 87
	.set _ZN2at6native12_GLOBAL__N_135GammaBetaBackwardCUDAKernelTemplateIN3c104HalfEfLj32ELj1ELj32ELb1ELb1ELb0EEEvllPKT_S7_PKT0_SA_PS5_SB_.num_agpr, 0
	.set _ZN2at6native12_GLOBAL__N_135GammaBetaBackwardCUDAKernelTemplateIN3c104HalfEfLj32ELj1ELj32ELb1ELb1ELb0EEEvllPKT_S7_PKT0_SA_PS5_SB_.numbered_sgpr, 32
	.set _ZN2at6native12_GLOBAL__N_135GammaBetaBackwardCUDAKernelTemplateIN3c104HalfEfLj32ELj1ELj32ELb1ELb1ELb0EEEvllPKT_S7_PKT0_SA_PS5_SB_.num_named_barrier, 0
	.set _ZN2at6native12_GLOBAL__N_135GammaBetaBackwardCUDAKernelTemplateIN3c104HalfEfLj32ELj1ELj32ELb1ELb1ELb0EEEvllPKT_S7_PKT0_SA_PS5_SB_.private_seg_size, 0
	.set _ZN2at6native12_GLOBAL__N_135GammaBetaBackwardCUDAKernelTemplateIN3c104HalfEfLj32ELj1ELj32ELb1ELb1ELb0EEEvllPKT_S7_PKT0_SA_PS5_SB_.uses_vcc, 1
	.set _ZN2at6native12_GLOBAL__N_135GammaBetaBackwardCUDAKernelTemplateIN3c104HalfEfLj32ELj1ELj32ELb1ELb1ELb0EEEvllPKT_S7_PKT0_SA_PS5_SB_.uses_flat_scratch, 0
	.set _ZN2at6native12_GLOBAL__N_135GammaBetaBackwardCUDAKernelTemplateIN3c104HalfEfLj32ELj1ELj32ELb1ELb1ELb0EEEvllPKT_S7_PKT0_SA_PS5_SB_.has_dyn_sized_stack, 0
	.set _ZN2at6native12_GLOBAL__N_135GammaBetaBackwardCUDAKernelTemplateIN3c104HalfEfLj32ELj1ELj32ELb1ELb1ELb0EEEvllPKT_S7_PKT0_SA_PS5_SB_.has_recursion, 0
	.set _ZN2at6native12_GLOBAL__N_135GammaBetaBackwardCUDAKernelTemplateIN3c104HalfEfLj32ELj1ELj32ELb1ELb1ELb0EEEvllPKT_S7_PKT0_SA_PS5_SB_.has_indirect_call, 0
	.section	.AMDGPU.csdata,"",@progbits
; Kernel info:
; codeLenInByte = 4116
; TotalNumSgprs: 34
; NumVgprs: 87
; ScratchSize: 0
; MemoryBound: 0
; FloatMode: 240
; IeeeMode: 1
; LDSByteSize: 0 bytes/workgroup (compile time only)
; SGPRBlocks: 0
; VGPRBlocks: 10
; NumSGPRsForWavesPerEU: 34
; NumVGPRsForWavesPerEU: 87
; Occupancy: 10
; WaveLimiterHint : 0
; COMPUTE_PGM_RSRC2:SCRATCH_EN: 0
; COMPUTE_PGM_RSRC2:USER_SGPR: 6
; COMPUTE_PGM_RSRC2:TRAP_HANDLER: 0
; COMPUTE_PGM_RSRC2:TGID_X_EN: 1
; COMPUTE_PGM_RSRC2:TGID_Y_EN: 1
; COMPUTE_PGM_RSRC2:TGID_Z_EN: 0
; COMPUTE_PGM_RSRC2:TIDIG_COMP_CNT: 1
	.section	.text._ZN2at6native12_GLOBAL__N_135GammaBetaBackwardCUDAKernelTemplateIN3c104HalfEfLj32ELj1ELj32ELb1ELb0ELb0EEEvllPKT_S7_PKT0_SA_PS5_SB_,"axG",@progbits,_ZN2at6native12_GLOBAL__N_135GammaBetaBackwardCUDAKernelTemplateIN3c104HalfEfLj32ELj1ELj32ELb1ELb0ELb0EEEvllPKT_S7_PKT0_SA_PS5_SB_,comdat
	.globl	_ZN2at6native12_GLOBAL__N_135GammaBetaBackwardCUDAKernelTemplateIN3c104HalfEfLj32ELj1ELj32ELb1ELb0ELb0EEEvllPKT_S7_PKT0_SA_PS5_SB_ ; -- Begin function _ZN2at6native12_GLOBAL__N_135GammaBetaBackwardCUDAKernelTemplateIN3c104HalfEfLj32ELj1ELj32ELb1ELb0ELb0EEEvllPKT_S7_PKT0_SA_PS5_SB_
	.p2align	8
	.type	_ZN2at6native12_GLOBAL__N_135GammaBetaBackwardCUDAKernelTemplateIN3c104HalfEfLj32ELj1ELj32ELb1ELb0ELb0EEEvllPKT_S7_PKT0_SA_PS5_SB_,@function
_ZN2at6native12_GLOBAL__N_135GammaBetaBackwardCUDAKernelTemplateIN3c104HalfEfLj32ELj1ELj32ELb1ELb0ELb0EEEvllPKT_S7_PKT0_SA_PS5_SB_: ; @_ZN2at6native12_GLOBAL__N_135GammaBetaBackwardCUDAKernelTemplateIN3c104HalfEfLj32ELj1ELj32ELb1ELb0ELb0EEEvllPKT_S7_PKT0_SA_PS5_SB_
; %bb.0:
	s_mov_b64 s[38:39], s[2:3]
	s_mov_b64 s[36:37], s[0:1]
	s_mov_b32 s0, s7
	s_add_u32 s36, s36, s8
	s_clause 0x1
	s_load_dwordx8 s[8:15], s[4:5], 0x0
	s_load_dwordx4 s[16:19], s[4:5], 0x20
	s_addc_u32 s37, s37, 0
	s_lshl_b32 s7, s6, 5
	s_mov_b32 s21, 0
	s_or_b32 s20, s7, 31
	v_mov_b32_e32 v227, v0
	s_waitcnt lgkmcnt(0)
	v_cmp_le_i64_e64 s1, s[10:11], s[20:21]
	s_lshl_b32 s20, s0, 5
	v_cmp_gt_i64_e64 s28, s[8:9], s[20:21]
	s_and_b32 vcc_lo, exec_lo, s1
	v_cndmask_b32_e64 v0, 0, 1, s28
	v_cmp_ne_u32_e64 s1, 1, v0
	s_cbranch_vccz .LBB84_141
; %bb.1:
	v_mov_b32_e32 v203, 0
	v_mov_b32_e32 v201, 0
	s_and_b32 vcc_lo, exec_lo, s1
	s_cbranch_vccnz .LBB84_142
; %bb.2:
	v_lshlrev_b32_e32 v39, 5, v1
	v_mov_b32_e32 v2, 0
	v_add_nc_u32_e32 v9, s7, v227
	s_load_dword s2, s[4:5], 0x44
	s_add_u32 s22, s4, 64
	v_add_co_u32 v5, s1, v39, s20
	v_add_co_ci_u32_e64 v6, null, 0, 0, s1
	v_mov_b32_e32 v10, v2
	v_mul_lo_u32 v7, s11, v5
	v_mad_u64_u32 v[3:4], null, s10, v5, 0
	v_mul_lo_u32 v8, s10, v6
	v_cmp_gt_i64_e64 s1, s[10:11], v[9:10]
	v_lshlrev_b64 v[35:36], 1, v[9:10]
	s_addc_u32 s23, s5, 0
	v_mov_b32_e32 v40, v2
	v_mov_b32_e32 v201, 0
	;; [unrolled: 1-line block ×3, first 2 shown]
	s_mov_b64 s[26:27], s[20:21]
	v_add3_u32 v4, v4, v8, v7
	v_add_co_u32 v7, vcc_lo, v5, 31
	v_add_co_ci_u32_e64 v8, null, 0, v6, vcc_lo
	v_add_co_u32 v9, vcc_lo, v5, 30
	v_add_co_ci_u32_e64 v10, null, 0, v6, vcc_lo
	v_lshlrev_b64 v[15:16], 1, v[3:4]
	v_mul_lo_u32 v11, s11, v7
	v_mul_lo_u32 v12, s10, v8
	v_mad_u64_u32 v[7:8], null, s10, v7, 0
	v_mul_lo_u32 v13, s11, v9
	v_mul_lo_u32 v14, s10, v10
	v_mad_u64_u32 v[9:10], null, s10, v9, 0
	v_add_co_u32 v41, vcc_lo, s12, v15
	v_add_co_ci_u32_e64 v42, null, s13, v16, vcc_lo
	v_add_co_u32 v43, vcc_lo, s14, v15
	v_add3_u32 v8, v8, v12, v11
	v_add_co_ci_u32_e64 v44, null, s15, v16, vcc_lo
	v_add_co_u32 v11, vcc_lo, v5, 29
	v_add3_u32 v10, v10, v14, v13
	v_add_co_ci_u32_e64 v12, null, 0, v6, vcc_lo
	v_lshlrev_b64 v[15:16], 1, v[7:8]
	v_mul_lo_u32 v13, s11, v11
	v_lshlrev_b64 v[7:8], 1, v[9:10]
	v_mul_lo_u32 v12, s10, v12
	v_mad_u64_u32 v[9:10], null, s10, v11, 0
	v_add_co_u32 v45, vcc_lo, s12, v15
	v_add_co_ci_u32_e64 v46, null, s13, v16, vcc_lo
	v_add_co_u32 v47, vcc_lo, s14, v15
	v_add3_u32 v10, v10, v12, v13
	s_waitcnt lgkmcnt(0)
	s_lshl_b32 s29, s2, 5
	v_add_co_ci_u32_e64 v48, null, s15, v16, vcc_lo
	v_add_co_u32 v49, vcc_lo, s12, v7
	s_mul_i32 s2, s11, s29
	s_mul_hi_u32 s3, s10, s29
	v_add_co_ci_u32_e64 v50, null, s13, v8, vcc_lo
	v_add_co_u32 v11, vcc_lo, v5, 28
	s_add_i32 s25, s3, s2
	v_add_co_u32 v51, s2, s14, v7
	v_lshlrev_b64 v[15:16], 1, v[9:10]
	v_add_co_ci_u32_e64 v7, null, 0, v6, vcc_lo
	v_add_co_u32 v9, vcc_lo, v5, 27
	v_add_co_ci_u32_e64 v10, null, 0, v6, vcc_lo
	v_add_co_ci_u32_e64 v52, null, s15, v8, s2
	v_mul_lo_u32 v12, s11, v11
	v_mul_lo_u32 v13, s10, v7
	v_mad_u64_u32 v[7:8], null, s10, v11, 0
	v_mul_lo_u32 v11, s11, v9
	v_mul_lo_u32 v14, s10, v10
	v_mad_u64_u32 v[9:10], null, s10, v9, 0
	v_add_co_u32 v53, vcc_lo, s12, v15
	v_add_co_ci_u32_e64 v54, null, s13, v16, vcc_lo
	v_add_co_u32 v55, vcc_lo, s14, v15
	v_add_co_ci_u32_e64 v56, null, s15, v16, vcc_lo
	v_add3_u32 v10, v10, v14, v11
	v_add_co_u32 v11, vcc_lo, v5, 26
	v_add3_u32 v8, v8, v13, v12
	v_add_co_ci_u32_e64 v12, null, 0, v6, vcc_lo
	v_mul_lo_u32 v13, s11, v11
	s_mul_i32 s24, s10, s29
	v_lshlrev_b64 v[15:16], 1, v[7:8]
	v_lshlrev_b64 v[7:8], 1, v[9:10]
	v_mul_lo_u32 v12, s10, v12
	v_mad_u64_u32 v[9:10], null, s10, v11, 0
	v_add_co_u32 v57, vcc_lo, s12, v15
	v_add_co_ci_u32_e64 v58, null, s13, v16, vcc_lo
	v_add_co_u32 v59, vcc_lo, s14, v15
	v_add3_u32 v10, v10, v12, v13
	v_add_co_ci_u32_e64 v60, null, s15, v16, vcc_lo
	v_add_co_u32 v61, vcc_lo, s12, v7
	v_add_co_ci_u32_e64 v62, null, s13, v8, vcc_lo
	v_add_co_u32 v11, vcc_lo, v5, 25
	v_add_co_u32 v63, s2, s14, v7
	v_lshlrev_b64 v[15:16], 1, v[9:10]
	v_add_co_ci_u32_e64 v7, null, 0, v6, vcc_lo
	v_add_co_u32 v9, vcc_lo, v5, 24
	v_add_co_ci_u32_e64 v10, null, 0, v6, vcc_lo
	v_add_co_ci_u32_e64 v64, null, s15, v8, s2
	v_mul_lo_u32 v12, s11, v11
	v_mul_lo_u32 v13, s10, v7
	v_mad_u64_u32 v[7:8], null, s10, v11, 0
	v_mul_lo_u32 v11, s11, v9
	v_mul_lo_u32 v14, s10, v10
	v_mad_u64_u32 v[9:10], null, s10, v9, 0
	v_add_co_u32 v65, vcc_lo, s12, v15
	v_add_co_ci_u32_e64 v66, null, s13, v16, vcc_lo
	v_add_co_u32 v67, vcc_lo, s14, v15
	v_add_co_ci_u32_e64 v68, null, s15, v16, vcc_lo
	v_add3_u32 v10, v10, v14, v11
	v_add_co_u32 v11, vcc_lo, v5, 23
	v_add3_u32 v8, v8, v13, v12
	v_add_co_ci_u32_e64 v12, null, 0, v6, vcc_lo
	v_mul_lo_u32 v13, s11, v11
	v_lshlrev_b64 v[15:16], 1, v[7:8]
	v_lshlrev_b64 v[7:8], 1, v[9:10]
	v_mul_lo_u32 v12, s10, v12
	v_mad_u64_u32 v[9:10], null, s10, v11, 0
	v_add_co_u32 v69, vcc_lo, s12, v15
	v_add_co_ci_u32_e64 v70, null, s13, v16, vcc_lo
	v_add_co_u32 v71, vcc_lo, s14, v15
	v_add3_u32 v10, v10, v12, v13
	v_add_co_ci_u32_e64 v72, null, s15, v16, vcc_lo
	v_add_co_u32 v73, vcc_lo, s12, v7
	v_add_co_ci_u32_e64 v74, null, s13, v8, vcc_lo
	v_add_co_u32 v11, vcc_lo, v5, 22
	v_add_co_u32 v0, s2, s14, v7
	v_add_co_ci_u32_e64 v226, null, s15, v8, s2
	v_lshlrev_b64 v[7:8], 1, v[9:10]
	v_add_co_ci_u32_e64 v9, null, 0, v6, vcc_lo
	v_add_co_u32 v12, vcc_lo, v5, 21
	v_add_co_ci_u32_e64 v14, null, 0, v6, vcc_lo
	v_mul_lo_u32 v13, s11, v11
	v_mul_lo_u32 v15, s10, v9
	v_mad_u64_u32 v[9:10], null, s10, v11, 0
	v_mul_lo_u32 v16, s11, v12
	v_mul_lo_u32 v14, s10, v14
	v_mad_u64_u32 v[11:12], null, s10, v12, 0
	v_add_co_u32 v75, vcc_lo, s12, v7
	v_add_co_ci_u32_e64 v76, null, s13, v8, vcc_lo
	v_add_co_u32 v77, vcc_lo, s14, v7
	v_add3_u32 v10, v10, v15, v13
	v_add_co_ci_u32_e64 v78, null, s15, v8, vcc_lo
	v_add_co_u32 v13, vcc_lo, v5, 20
	v_add3_u32 v12, v12, v14, v16
	v_add_co_ci_u32_e64 v14, null, 0, v6, vcc_lo
	v_lshlrev_b64 v[7:8], 1, v[9:10]
	v_mul_lo_u32 v15, s11, v13
	v_lshlrev_b64 v[9:10], 1, v[11:12]
	v_mul_lo_u32 v14, s10, v14
	v_mad_u64_u32 v[11:12], null, s10, v13, 0
	v_add_co_u32 v79, vcc_lo, s12, v7
	v_add_co_ci_u32_e64 v80, null, s13, v8, vcc_lo
	v_add_co_u32 v81, vcc_lo, s14, v7
	v_add3_u32 v12, v12, v14, v15
	v_add_co_ci_u32_e64 v82, null, s15, v8, vcc_lo
	v_add_co_u32 v83, vcc_lo, s12, v9
	v_add_co_ci_u32_e64 v84, null, s13, v10, vcc_lo
	v_add_co_u32 v13, vcc_lo, v5, 19
	v_add_co_u32 v85, s2, s14, v9
	v_lshlrev_b64 v[7:8], 1, v[11:12]
	v_add_co_ci_u32_e64 v9, null, 0, v6, vcc_lo
	v_add_co_u32 v11, vcc_lo, v5, 18
	v_add_co_ci_u32_e64 v12, null, 0, v6, vcc_lo
	v_add_co_ci_u32_e64 v86, null, s15, v10, s2
	v_mul_lo_u32 v14, s11, v13
	v_mul_lo_u32 v15, s10, v9
	v_mad_u64_u32 v[9:10], null, s10, v13, 0
	v_mul_lo_u32 v13, s11, v11
	v_mul_lo_u32 v16, s10, v12
	v_mad_u64_u32 v[11:12], null, s10, v11, 0
	v_add_co_u32 v87, vcc_lo, s12, v7
	v_add_co_ci_u32_e64 v88, null, s13, v8, vcc_lo
	v_add_co_u32 v89, vcc_lo, s14, v7
	v_add_co_ci_u32_e64 v90, null, s15, v8, vcc_lo
	v_add3_u32 v12, v12, v16, v13
	v_add_co_u32 v13, vcc_lo, v5, 17
	v_add3_u32 v10, v10, v15, v14
	v_add_co_ci_u32_e64 v14, null, 0, v6, vcc_lo
	v_mul_lo_u32 v15, s11, v13
	v_lshlrev_b64 v[7:8], 1, v[9:10]
	v_lshlrev_b64 v[9:10], 1, v[11:12]
	v_mul_lo_u32 v14, s10, v14
	v_mad_u64_u32 v[11:12], null, s10, v13, 0
	v_add_co_u32 v91, vcc_lo, s12, v7
	v_add_co_ci_u32_e64 v92, null, s13, v8, vcc_lo
	v_add_co_u32 v93, vcc_lo, s14, v7
	v_add3_u32 v12, v12, v14, v15
	v_add_co_ci_u32_e64 v94, null, s15, v8, vcc_lo
	v_add_co_u32 v95, vcc_lo, s12, v9
	v_add_co_ci_u32_e64 v96, null, s13, v10, vcc_lo
	v_add_co_u32 v13, vcc_lo, v5, 16
	v_add_co_u32 v97, s2, s14, v9
	v_lshlrev_b64 v[7:8], 1, v[11:12]
	v_add_co_ci_u32_e64 v9, null, 0, v6, vcc_lo
	v_add_co_u32 v11, vcc_lo, v5, 15
	v_add_co_ci_u32_e64 v12, null, 0, v6, vcc_lo
	v_add_co_ci_u32_e64 v98, null, s15, v10, s2
	v_mul_lo_u32 v14, s11, v13
	v_mul_lo_u32 v15, s10, v9
	v_mad_u64_u32 v[9:10], null, s10, v13, 0
	v_mul_lo_u32 v13, s11, v11
	v_mul_lo_u32 v16, s10, v12
	v_mad_u64_u32 v[11:12], null, s10, v11, 0
	v_add_co_u32 v99, vcc_lo, s12, v7
	v_add_co_ci_u32_e64 v100, null, s13, v8, vcc_lo
	v_add_co_u32 v101, vcc_lo, s14, v7
	v_add_co_ci_u32_e64 v102, null, s15, v8, vcc_lo
	v_add3_u32 v12, v12, v16, v13
	v_add_co_u32 v13, vcc_lo, v5, 14
	v_add3_u32 v10, v10, v15, v14
	v_add_co_ci_u32_e64 v14, null, 0, v6, vcc_lo
	v_mul_lo_u32 v15, s11, v13
	v_lshlrev_b64 v[7:8], 1, v[9:10]
	;; [unrolled: 33-line block ×3, first 2 shown]
	v_lshlrev_b64 v[9:10], 1, v[11:12]
	v_mul_lo_u32 v14, s10, v14
	v_mad_u64_u32 v[11:12], null, s10, v13, 0
	v_add_co_u32 v115, vcc_lo, s12, v7
	v_add_co_ci_u32_e64 v116, null, s13, v8, vcc_lo
	v_add_co_u32 v117, vcc_lo, s14, v7
	v_add3_u32 v12, v12, v14, v15
	v_add_co_ci_u32_e64 v118, null, s15, v8, vcc_lo
	v_add_co_u32 v119, vcc_lo, s12, v9
	v_add_co_ci_u32_e64 v120, null, s13, v10, vcc_lo
	v_add_co_u32 v13, vcc_lo, v5, 10
	v_add_co_u32 v121, s2, s14, v9
	v_lshlrev_b64 v[7:8], 1, v[11:12]
	v_add_co_ci_u32_e64 v9, null, 0, v6, vcc_lo
	v_add_co_u32 v11, vcc_lo, v5, 9
	v_add_co_ci_u32_e64 v12, null, 0, v6, vcc_lo
	v_add_co_ci_u32_e64 v122, null, s15, v10, s2
	v_mul_lo_u32 v14, s11, v13
	v_mul_lo_u32 v15, s10, v9
	v_mad_u64_u32 v[9:10], null, s10, v13, 0
	v_mul_lo_u32 v13, s11, v11
	v_mul_lo_u32 v16, s10, v12
	v_mad_u64_u32 v[11:12], null, s10, v11, 0
	v_add_co_u32 v123, vcc_lo, s12, v7
	v_add_co_ci_u32_e64 v124, null, s13, v8, vcc_lo
	v_add_co_u32 v125, vcc_lo, s14, v7
	v_add3_u32 v10, v10, v15, v14
	v_add_co_ci_u32_e64 v126, null, s15, v8, vcc_lo
	v_add3_u32 v12, v12, v16, v13
	v_add_co_u32 v13, vcc_lo, v5, 8
	v_add_co_ci_u32_e64 v14, null, 0, v6, vcc_lo
	v_lshlrev_b64 v[7:8], 1, v[9:10]
	v_lshlrev_b64 v[9:10], 1, v[11:12]
	v_mul_lo_u32 v15, s11, v13
	v_mul_lo_u32 v14, s10, v14
	v_mad_u64_u32 v[11:12], null, s10, v13, 0
	v_add_co_u32 v127, vcc_lo, s12, v7
	v_add_co_ci_u32_e64 v128, null, s13, v8, vcc_lo
	v_add_co_u32 v129, vcc_lo, s14, v7
	v_add_co_ci_u32_e64 v130, null, s15, v8, vcc_lo
	v_add_co_u32 v131, vcc_lo, s12, v9
	v_add3_u32 v12, v12, v14, v15
	v_add_co_ci_u32_e64 v132, null, s13, v10, vcc_lo
	v_add_co_u32 v13, vcc_lo, v5, 7
	v_add_co_u32 v133, s2, s14, v9
	v_add_co_ci_u32_e64 v9, null, 0, v6, vcc_lo
	v_lshlrev_b64 v[7:8], 1, v[11:12]
	v_add_co_u32 v11, vcc_lo, v5, 6
	v_add_co_ci_u32_e64 v12, null, 0, v6, vcc_lo
	v_add_co_ci_u32_e64 v134, null, s15, v10, s2
	v_mul_lo_u32 v14, s11, v13
	v_mul_lo_u32 v15, s10, v9
	v_mad_u64_u32 v[9:10], null, s10, v13, 0
	v_mul_lo_u32 v13, s11, v11
	v_mul_lo_u32 v16, s10, v12
	v_mad_u64_u32 v[11:12], null, s10, v11, 0
	v_add_co_u32 v135, vcc_lo, s12, v7
	v_add3_u32 v10, v10, v15, v14
	v_add_co_ci_u32_e64 v136, null, s13, v8, vcc_lo
	v_add_co_u32 v137, vcc_lo, s14, v7
	v_add_co_ci_u32_e64 v138, null, s15, v8, vcc_lo
	v_add3_u32 v12, v12, v16, v13
	v_add_co_u32 v13, vcc_lo, v5, 5
	v_lshlrev_b64 v[7:8], 1, v[9:10]
	v_add_co_ci_u32_e64 v14, null, 0, v6, vcc_lo
	v_lshlrev_b64 v[9:10], 1, v[11:12]
	v_mul_lo_u32 v15, s11, v13
	v_mad_u64_u32 v[11:12], null, s10, v13, 0
	v_add_co_u32 v139, vcc_lo, s12, v7
	v_mul_lo_u32 v14, s10, v14
	v_add_co_ci_u32_e64 v140, null, s13, v8, vcc_lo
	v_add_co_u32 v141, vcc_lo, s14, v7
	v_add_co_ci_u32_e64 v142, null, s15, v8, vcc_lo
	v_add_co_u32 v143, vcc_lo, s12, v9
	;; [unrolled: 2-line block ×3, first 2 shown]
	v_add3_u32 v12, v12, v14, v15
	v_add_co_u32 v145, s2, s14, v9
	v_add_co_ci_u32_e64 v9, null, 0, v6, vcc_lo
	v_add_co_ci_u32_e64 v146, null, s15, v10, s2
	v_lshlrev_b64 v[7:8], 1, v[11:12]
	v_mul_lo_u32 v14, s11, v13
	v_add_co_u32 v11, vcc_lo, v5, 3
	v_mul_lo_u32 v15, s10, v9
	v_mad_u64_u32 v[9:10], null, s10, v13, 0
	v_add_co_ci_u32_e64 v12, null, 0, v6, vcc_lo
	v_mul_lo_u32 v13, s11, v11
	v_add_co_u32 v147, vcc_lo, s12, v7
	v_mul_lo_u32 v16, s10, v12
	v_mad_u64_u32 v[11:12], null, s10, v11, 0
	v_add3_u32 v10, v10, v15, v14
	v_add_co_ci_u32_e64 v148, null, s13, v8, vcc_lo
	v_add_co_u32 v149, vcc_lo, s14, v7
	v_add_co_ci_u32_e64 v150, null, s15, v8, vcc_lo
	v_lshlrev_b64 v[7:8], 1, v[9:10]
	v_add_co_u32 v9, vcc_lo, v5, 2
	v_add3_u32 v12, v12, v16, v13
	v_add_co_ci_u32_e64 v10, null, 0, v6, vcc_lo
	v_add_co_u32 v151, vcc_lo, s12, v7
	v_lshlrev_b64 v[5:6], 1, v[11:12]
	v_mul_lo_u32 v11, s11, v9
	v_mul_lo_u32 v12, s10, v10
	v_mad_u64_u32 v[9:10], null, s10, v9, 0
	v_add_co_ci_u32_e64 v152, null, s13, v8, vcc_lo
	v_add_co_u32 v153, vcc_lo, s14, v7
	v_add_co_ci_u32_e64 v154, null, s15, v8, vcc_lo
	v_add_co_u32 v155, vcc_lo, s12, v5
	v_add_co_ci_u32_e64 v156, null, s13, v6, vcc_lo
	v_add3_u32 v10, v10, v12, v11
	v_add_co_u32 v157, vcc_lo, s14, v5
	v_add_co_ci_u32_e64 v158, null, s15, v6, vcc_lo
	v_add_co_u32 v3, vcc_lo, v3, s10
	v_add_co_ci_u32_e64 v4, null, s11, v4, vcc_lo
	v_lshlrev_b64 v[5:6], 1, v[9:10]
	s_lshl_b64 s[2:3], s[24:25], 1
	s_mov_b64 s[24:25], 31
	v_lshlrev_b64 v[3:4], 1, v[3:4]
	v_add_co_u32 v159, vcc_lo, s12, v5
	v_add_co_ci_u32_e64 v160, null, s13, v6, vcc_lo
	v_add_co_u32 v161, vcc_lo, s14, v5
	v_add_co_ci_u32_e64 v162, null, s15, v6, vcc_lo
	;; [unrolled: 2-line block ×4, first 2 shown]
.LBB84_3:                               ; =>This Inner Loop Header: Depth=1
	s_add_u32 s30, s20, s24
	s_addc_u32 s31, 0, s25
	v_add_co_u32 v37, vcc_lo, s20, v39
	v_cmp_ge_i64_e64 s30, s[30:31], s[8:9]
	v_add_co_ci_u32_e64 v38, null, 0, v40, vcc_lo
                                        ; implicit-def: $vgpr3_vgpr4_vgpr5_vgpr6_vgpr7_vgpr8_vgpr9_vgpr10_vgpr11_vgpr12_vgpr13_vgpr14_vgpr15_vgpr16_vgpr17_vgpr18_vgpr19_vgpr20_vgpr21_vgpr22_vgpr23_vgpr24_vgpr25_vgpr26_vgpr27_vgpr28_vgpr29_vgpr30_vgpr31_vgpr32_vgpr33_vgpr34
                                        ; implicit-def: $vgpr169
                                        ; implicit-def: $vgpr186
                                        ; implicit-def: $vgpr3
                                        ; implicit-def: $vgpr203
                                        ; implicit-def: $vgpr4
	s_and_b32 vcc_lo, exec_lo, s30
	s_mov_b32 s30, -1
	s_cbranch_vccz .LBB84_71
; %bb.4:                                ;   in Loop: Header=BB84_3 Depth=1
	s_load_dword s30, s[22:23], 0xc
	v_mov_b32_e32 v170, 0
	v_mov_b32_e32 v169, 0
	;; [unrolled: 1-line block ×3, first 2 shown]
	s_waitcnt lgkmcnt(0)
	s_and_b32 s30, s30, 0xffff
	v_mad_u32_u24 v3, v1, s30, v227
	s_mov_b32 s30, exec_lo
	v_and_b32_e32 v3, 31, v3
	v_add_co_u32 v3, vcc_lo, v37, v3
	v_add_co_ci_u32_e64 v4, null, 0, v38, vcc_lo
	v_cmpx_gt_i64_e64 s[8:9], v[3:4]
	s_cbranch_execz .LBB84_6
; %bb.5:                                ;   in Loop: Header=BB84_3 Depth=1
	v_lshlrev_b64 v[3:4], 2, v[3:4]
	v_add_co_u32 v5, vcc_lo, s16, v3
	v_add_co_ci_u32_e64 v6, null, s17, v4, vcc_lo
	v_add_co_u32 v3, vcc_lo, s18, v3
	v_add_co_ci_u32_e64 v4, null, s19, v4, vcc_lo
	global_load_dword v168, v[5:6], off
	global_load_dword v169, v[3:4], off
.LBB84_6:                               ;   in Loop: Header=BB84_3 Depth=1
	s_or_b32 exec_lo, exec_lo, s30
	v_mov_b32_e32 v33, v2
	v_cmp_gt_i64_e32 vcc_lo, s[8:9], v[37:38]
	v_mov_b32_e32 v3, v2
	v_mov_b32_e32 v4, v2
	;; [unrolled: 1-line block ×62, first 2 shown]
	s_and_b32 s31, s1, vcc_lo
	s_and_saveexec_b32 s30, s31
	s_cbranch_execz .LBB84_8
; %bb.7:                                ;   in Loop: Header=BB84_3 Depth=1
	v_add_co_u32 v3, vcc_lo, v41, v35
	v_add_co_ci_u32_e64 v4, null, v42, v36, vcc_lo
	v_add_co_u32 v5, vcc_lo, v43, v35
	v_add_co_ci_u32_e64 v6, null, v44, v36, vcc_lo
	global_load_ushort v3, v[3:4], off
	global_load_ushort v170, v[5:6], off
	v_mov_b32_e32 v4, v2
	v_mov_b32_e32 v5, v2
	;; [unrolled: 1-line block ×31, first 2 shown]
	s_waitcnt vmcnt(1)
	v_cvt_f32_f16_e32 v3, v3
	s_waitcnt vmcnt(0)
	v_cvt_f32_f16_e32 v170, v170
.LBB84_8:                               ;   in Loop: Header=BB84_3 Depth=1
	s_or_b32 exec_lo, exec_lo, s30
	v_add_co_u32 v171, vcc_lo, v37, 1
	v_add_co_ci_u32_e64 v172, null, 0, v38, vcc_lo
	v_cmp_gt_i64_e32 vcc_lo, s[8:9], v[171:172]
	v_mov_b32_e32 v171, 0
	v_mov_b32_e32 v172, 0
	s_and_b32 s31, s1, vcc_lo
	s_and_saveexec_b32 s30, s31
	s_cbranch_execz .LBB84_10
; %bb.9:                                ;   in Loop: Header=BB84_3 Depth=1
	v_add_co_u32 v172, vcc_lo, v163, v35
	v_add_co_ci_u32_e64 v173, null, v164, v36, vcc_lo
	v_add_co_u32 v174, vcc_lo, v165, v35
	v_add_co_ci_u32_e64 v175, null, v166, v36, vcc_lo
	global_load_ushort v4, v[172:173], off
	global_load_ushort v172, v[174:175], off
	s_waitcnt vmcnt(1)
	v_cvt_f32_f16_e32 v4, v4
	s_waitcnt vmcnt(0)
	v_cvt_f32_f16_e32 v172, v172
.LBB84_10:                              ;   in Loop: Header=BB84_3 Depth=1
	s_or_b32 exec_lo, exec_lo, s30
	v_add_co_u32 v173, vcc_lo, v37, 2
	v_add_co_ci_u32_e64 v174, null, 0, v38, vcc_lo
	v_cmp_gt_i64_e32 vcc_lo, s[8:9], v[173:174]
	s_and_b32 s31, s1, vcc_lo
	s_and_saveexec_b32 s30, s31
	s_cbranch_execz .LBB84_12
; %bb.11:                               ;   in Loop: Header=BB84_3 Depth=1
	v_add_co_u32 v173, vcc_lo, v159, v35
	v_add_co_ci_u32_e64 v174, null, v160, v36, vcc_lo
	v_add_co_u32 v175, vcc_lo, v161, v35
	v_add_co_ci_u32_e64 v176, null, v162, v36, vcc_lo
	global_load_ushort v5, v[173:174], off
	global_load_ushort v171, v[175:176], off
	s_waitcnt vmcnt(1)
	v_cvt_f32_f16_e32 v5, v5
	s_waitcnt vmcnt(0)
	v_cvt_f32_f16_e32 v171, v171
.LBB84_12:                              ;   in Loop: Header=BB84_3 Depth=1
	s_or_b32 exec_lo, exec_lo, s30
	v_add_co_u32 v173, vcc_lo, v37, 3
	v_add_co_ci_u32_e64 v174, null, 0, v38, vcc_lo
	v_cmp_gt_i64_e32 vcc_lo, s[8:9], v[173:174]
	v_mov_b32_e32 v173, 0
	v_mov_b32_e32 v174, 0
	s_and_b32 s31, s1, vcc_lo
	s_and_saveexec_b32 s30, s31
	s_cbranch_execz .LBB84_14
; %bb.13:                               ;   in Loop: Header=BB84_3 Depth=1
	v_add_co_u32 v174, vcc_lo, v155, v35
	v_add_co_ci_u32_e64 v175, null, v156, v36, vcc_lo
	v_add_co_u32 v176, vcc_lo, v157, v35
	v_add_co_ci_u32_e64 v177, null, v158, v36, vcc_lo
	global_load_ushort v6, v[174:175], off
	global_load_ushort v174, v[176:177], off
	s_waitcnt vmcnt(1)
	v_cvt_f32_f16_e32 v6, v6
	s_waitcnt vmcnt(0)
	v_cvt_f32_f16_e32 v174, v174
.LBB84_14:                              ;   in Loop: Header=BB84_3 Depth=1
	s_or_b32 exec_lo, exec_lo, s30
	v_add_co_u32 v175, vcc_lo, v37, 4
	v_add_co_ci_u32_e64 v176, null, 0, v38, vcc_lo
	v_cmp_gt_i64_e32 vcc_lo, s[8:9], v[175:176]
	s_and_b32 s31, s1, vcc_lo
	s_and_saveexec_b32 s30, s31
	s_cbranch_execz .LBB84_16
; %bb.15:                               ;   in Loop: Header=BB84_3 Depth=1
	v_add_co_u32 v175, vcc_lo, v151, v35
	v_add_co_ci_u32_e64 v176, null, v152, v36, vcc_lo
	v_add_co_u32 v177, vcc_lo, v153, v35
	v_add_co_ci_u32_e64 v178, null, v154, v36, vcc_lo
	global_load_ushort v7, v[175:176], off
	global_load_ushort v173, v[177:178], off
	s_waitcnt vmcnt(1)
	v_cvt_f32_f16_e32 v7, v7
	s_waitcnt vmcnt(0)
	v_cvt_f32_f16_e32 v173, v173
.LBB84_16:                              ;   in Loop: Header=BB84_3 Depth=1
	s_or_b32 exec_lo, exec_lo, s30
	v_add_co_u32 v175, vcc_lo, v37, 5
	v_add_co_ci_u32_e64 v176, null, 0, v38, vcc_lo
	v_cmp_gt_i64_e32 vcc_lo, s[8:9], v[175:176]
	v_mov_b32_e32 v175, 0
	v_mov_b32_e32 v176, 0
	s_and_b32 s31, s1, vcc_lo
	s_and_saveexec_b32 s30, s31
	s_cbranch_execz .LBB84_18
; %bb.17:                               ;   in Loop: Header=BB84_3 Depth=1
	v_add_co_u32 v176, vcc_lo, v147, v35
	v_add_co_ci_u32_e64 v177, null, v148, v36, vcc_lo
	v_add_co_u32 v178, vcc_lo, v149, v35
	v_add_co_ci_u32_e64 v179, null, v150, v36, vcc_lo
	global_load_ushort v8, v[176:177], off
	global_load_ushort v176, v[178:179], off
	s_waitcnt vmcnt(1)
	v_cvt_f32_f16_e32 v8, v8
	s_waitcnt vmcnt(0)
	v_cvt_f32_f16_e32 v176, v176
.LBB84_18:                              ;   in Loop: Header=BB84_3 Depth=1
	;; [unrolled: 40-line block ×6, first 2 shown]
	s_or_b32 exec_lo, exec_lo, s30
	v_add_co_u32 v185, vcc_lo, v37, 14
	v_add_co_ci_u32_e64 v186, null, 0, v38, vcc_lo
	v_cmp_gt_i64_e32 vcc_lo, s[8:9], v[185:186]
	s_and_b32 s31, s1, vcc_lo
	s_and_saveexec_b32 s30, s31
	s_cbranch_execz .LBB84_36
; %bb.35:                               ;   in Loop: Header=BB84_3 Depth=1
	v_add_co_u32 v185, vcc_lo, v111, v35
	v_add_co_ci_u32_e64 v186, null, v112, v36, vcc_lo
	v_add_co_u32 v187, vcc_lo, v113, v35
	v_add_co_ci_u32_e64 v188, null, v114, v36, vcc_lo
	global_load_ushort v17, v[185:186], off
	global_load_ushort v183, v[187:188], off
	s_waitcnt vmcnt(1)
	v_cvt_f32_f16_e32 v17, v17
	s_waitcnt vmcnt(0)
	v_cvt_f32_f16_e32 v183, v183
.LBB84_36:                              ;   in Loop: Header=BB84_3 Depth=1
	s_or_b32 exec_lo, exec_lo, s30
	v_add_co_u32 v185, vcc_lo, v37, 15
	v_add_co_ci_u32_e64 v186, null, 0, v38, vcc_lo
	v_mov_b32_e32 v187, 0
	v_cmp_gt_i64_e32 vcc_lo, s[8:9], v[185:186]
	v_mov_b32_e32 v185, 0
	s_and_b32 s31, s1, vcc_lo
	s_and_saveexec_b32 s30, s31
	s_cbranch_execz .LBB84_38
; %bb.37:                               ;   in Loop: Header=BB84_3 Depth=1
	v_add_co_u32 v186, vcc_lo, v107, v35
	v_add_co_ci_u32_e64 v187, null, v108, v36, vcc_lo
	v_add_co_u32 v188, vcc_lo, v109, v35
	v_add_co_ci_u32_e64 v189, null, v110, v36, vcc_lo
	global_load_ushort v18, v[186:187], off
	global_load_ushort v186, v[188:189], off
	s_waitcnt vmcnt(1)
	v_cvt_f32_f16_e32 v18, v18
	s_waitcnt vmcnt(0)
	v_cvt_f32_f16_e32 v187, v186
.LBB84_38:                              ;   in Loop: Header=BB84_3 Depth=1
	s_or_b32 exec_lo, exec_lo, s30
	v_add_co_u32 v188, vcc_lo, v37, 16
	v_add_co_ci_u32_e64 v189, null, 0, v38, vcc_lo
	v_cmp_gt_i64_e32 vcc_lo, s[8:9], v[188:189]
	s_and_b32 s31, s1, vcc_lo
	s_and_saveexec_b32 s30, s31
	s_cbranch_execz .LBB84_40
; %bb.39:                               ;   in Loop: Header=BB84_3 Depth=1
	v_add_co_u32 v185, vcc_lo, v103, v35
	v_add_co_ci_u32_e64 v186, null, v104, v36, vcc_lo
	v_add_co_u32 v188, vcc_lo, v105, v35
	v_add_co_ci_u32_e64 v189, null, v106, v36, vcc_lo
	global_load_ushort v19, v[185:186], off
	global_load_ushort v185, v[188:189], off
	s_waitcnt vmcnt(1)
	v_cvt_f32_f16_e32 v19, v19
	s_waitcnt vmcnt(0)
	v_cvt_f32_f16_e32 v185, v185
.LBB84_40:                              ;   in Loop: Header=BB84_3 Depth=1
	s_or_b32 exec_lo, exec_lo, s30
	v_add_co_u32 v188, vcc_lo, v37, 17
	v_add_co_ci_u32_e64 v189, null, 0, v38, vcc_lo
	v_cmp_gt_i64_e32 vcc_lo, s[8:9], v[188:189]
	v_mov_b32_e32 v188, 0
	v_mov_b32_e32 v189, 0
	s_and_b32 s31, s1, vcc_lo
	s_and_saveexec_b32 s30, s31
	s_cbranch_execz .LBB84_42
; %bb.41:                               ;   in Loop: Header=BB84_3 Depth=1
	v_add_co_u32 v189, vcc_lo, v99, v35
	v_add_co_ci_u32_e64 v190, null, v100, v36, vcc_lo
	v_add_co_u32 v191, vcc_lo, v101, v35
	v_add_co_ci_u32_e64 v192, null, v102, v36, vcc_lo
	global_load_ushort v20, v[189:190], off
	global_load_ushort v186, v[191:192], off
	s_waitcnt vmcnt(1)
	v_cvt_f32_f16_e32 v20, v20
	s_waitcnt vmcnt(0)
	v_cvt_f32_f16_e32 v189, v186
.LBB84_42:                              ;   in Loop: Header=BB84_3 Depth=1
	s_or_b32 exec_lo, exec_lo, s30
	v_add_co_u32 v190, vcc_lo, v37, 18
	v_add_co_ci_u32_e64 v191, null, 0, v38, vcc_lo
	v_cmp_gt_i64_e32 vcc_lo, s[8:9], v[190:191]
	s_and_b32 s31, s1, vcc_lo
	s_and_saveexec_b32 s30, s31
	s_cbranch_execz .LBB84_44
; %bb.43:                               ;   in Loop: Header=BB84_3 Depth=1
	v_add_co_u32 v190, vcc_lo, v95, v35
	v_add_co_ci_u32_e64 v191, null, v96, v36, vcc_lo
	v_add_co_u32 v192, vcc_lo, v97, v35
	v_add_co_ci_u32_e64 v193, null, v98, v36, vcc_lo
	global_load_ushort v21, v[190:191], off
	global_load_ushort v186, v[192:193], off
	s_waitcnt vmcnt(1)
	v_cvt_f32_f16_e32 v21, v21
	s_waitcnt vmcnt(0)
	v_cvt_f32_f16_e32 v188, v186
.LBB84_44:                              ;   in Loop: Header=BB84_3 Depth=1
	s_or_b32 exec_lo, exec_lo, s30
	v_add_co_u32 v190, vcc_lo, v37, 19
	v_add_co_ci_u32_e64 v191, null, 0, v38, vcc_lo
	v_cmp_gt_i64_e32 vcc_lo, s[8:9], v[190:191]
	v_mov_b32_e32 v190, 0
	;; [unrolled: 40-line block ×6, first 2 shown]
	v_mov_b32_e32 v199, 0
	s_and_b32 s31, s1, vcc_lo
	s_and_saveexec_b32 s30, s31
	s_cbranch_execz .LBB84_62
; %bb.61:                               ;   in Loop: Header=BB84_3 Depth=1
	v_add_co_u32 v199, vcc_lo, v61, v35
	v_add_co_ci_u32_e64 v200, null, v62, v36, vcc_lo
	v_add_co_u32 v202, vcc_lo, v63, v35
	v_add_co_ci_u32_e64 v203, null, v64, v36, vcc_lo
	global_load_ushort v30, v[199:200], off
	global_load_ushort v186, v[202:203], off
	s_waitcnt vmcnt(1)
	v_cvt_f32_f16_e32 v30, v30
	s_waitcnt vmcnt(0)
	v_cvt_f32_f16_e32 v199, v186
.LBB84_62:                              ;   in Loop: Header=BB84_3 Depth=1
	s_or_b32 exec_lo, exec_lo, s30
	v_add_co_u32 v202, vcc_lo, v37, 28
	v_add_co_ci_u32_e64 v203, null, 0, v38, vcc_lo
	v_cmp_gt_i64_e32 vcc_lo, s[8:9], v[202:203]
	s_and_b32 s31, s1, vcc_lo
	s_and_saveexec_b32 s30, s31
	s_cbranch_execz .LBB84_64
; %bb.63:                               ;   in Loop: Header=BB84_3 Depth=1
	v_add_co_u32 v202, vcc_lo, v57, v35
	v_add_co_ci_u32_e64 v203, null, v58, v36, vcc_lo
	v_add_co_u32 v204, vcc_lo, v59, v35
	v_add_co_ci_u32_e64 v205, null, v60, v36, vcc_lo
	global_load_ushort v31, v[202:203], off
	global_load_ushort v186, v[204:205], off
	s_waitcnt vmcnt(1)
	v_cvt_f32_f16_e32 v31, v31
	s_waitcnt vmcnt(0)
	v_cvt_f32_f16_e32 v198, v186
.LBB84_64:                              ;   in Loop: Header=BB84_3 Depth=1
	s_or_b32 exec_lo, exec_lo, s30
	v_add_co_u32 v202, vcc_lo, v37, 29
	v_add_co_ci_u32_e64 v203, null, 0, v38, vcc_lo
	v_mov_b32_e32 v200, 0
	v_cmp_gt_i64_e32 vcc_lo, s[8:9], v[202:203]
	v_mov_b32_e32 v202, 0
	s_and_b32 s31, s1, vcc_lo
	s_and_saveexec_b32 s30, s31
	s_cbranch_execz .LBB84_66
; %bb.65:                               ;   in Loop: Header=BB84_3 Depth=1
	v_add_co_u32 v202, vcc_lo, v53, v35
	v_add_co_ci_u32_e64 v203, null, v54, v36, vcc_lo
	v_add_co_u32 v204, vcc_lo, v55, v35
	v_add_co_ci_u32_e64 v205, null, v56, v36, vcc_lo
	global_load_ushort v32, v[202:203], off
	global_load_ushort v186, v[204:205], off
	s_waitcnt vmcnt(1)
	v_cvt_f32_f16_e32 v32, v32
	s_waitcnt vmcnt(0)
	v_cvt_f32_f16_e32 v202, v186
.LBB84_66:                              ;   in Loop: Header=BB84_3 Depth=1
	s_or_b32 exec_lo, exec_lo, s30
	v_add_co_u32 v203, vcc_lo, v37, 30
	v_add_co_ci_u32_e64 v204, null, 0, v38, vcc_lo
	v_cmp_gt_i64_e32 vcc_lo, s[8:9], v[203:204]
	s_and_b32 s31, s1, vcc_lo
	s_and_saveexec_b32 s30, s31
	s_cbranch_execz .LBB84_68
; %bb.67:                               ;   in Loop: Header=BB84_3 Depth=1
	v_add_co_u32 v203, vcc_lo, v49, v35
	v_add_co_ci_u32_e64 v204, null, v50, v36, vcc_lo
	v_add_co_u32 v205, vcc_lo, v51, v35
	v_add_co_ci_u32_e64 v206, null, v52, v36, vcc_lo
	global_load_ushort v33, v[203:204], off
	global_load_ushort v186, v[205:206], off
	s_waitcnt vmcnt(1)
	v_cvt_f32_f16_e32 v33, v33
	s_waitcnt vmcnt(0)
	v_cvt_f32_f16_e32 v200, v186
.LBB84_68:                              ;   in Loop: Header=BB84_3 Depth=1
	s_or_b32 exec_lo, exec_lo, s30
	v_add_co_u32 v203, vcc_lo, v37, 31
	v_add_co_ci_u32_e64 v204, null, 0, v38, vcc_lo
	v_mov_b32_e32 v186, 0
	v_cmp_gt_i64_e32 vcc_lo, s[8:9], v[203:204]
	s_and_b32 s31, s1, vcc_lo
	s_and_saveexec_b32 s30, s31
	s_cbranch_execz .LBB84_70
; %bb.69:                               ;   in Loop: Header=BB84_3 Depth=1
	v_add_co_u32 v203, vcc_lo, v45, v35
	v_add_co_ci_u32_e64 v204, null, v46, v36, vcc_lo
	v_add_co_u32 v205, vcc_lo, v47, v35
	v_add_co_ci_u32_e64 v206, null, v48, v36, vcc_lo
	global_load_ushort v34, v[203:204], off
	global_load_ushort v186, v[205:206], off
	s_waitcnt vmcnt(1)
	v_cvt_f32_f16_e32 v34, v34
	s_waitcnt vmcnt(0)
	v_cvt_f32_f16_e32 v186, v186
.LBB84_70:                              ;   in Loop: Header=BB84_3 Depth=1
	s_or_b32 exec_lo, exec_lo, s30
	s_waitcnt vmcnt(1)
	ds_bpermute_b32 v203, v2, v168
	ds_bpermute_b32 v207, v2, v168 offset:4
	s_waitcnt vmcnt(0)
	ds_bpermute_b32 v204, v2, v169
	ds_bpermute_b32 v209, v2, v168 offset:8
	ds_bpermute_b32 v206, v2, v169 offset:4
	;; [unrolled: 1-line block ×5, first 2 shown]
	v_add_f32_e32 v205, v201, v3
	ds_bpermute_b32 v210, v2, v169 offset:12
	ds_bpermute_b32 v215, v2, v168 offset:20
	;; [unrolled: 1-line block ×11, first 2 shown]
	s_waitcnt lgkmcnt(18)
	v_sub_f32_e32 v170, v170, v203
	s_waitcnt lgkmcnt(17)
	v_sub_f32_e32 v172, v172, v207
	ds_bpermute_b32 v225, v2, v168 offset:40
	s_waitcnt lgkmcnt(16)
	v_sub_f32_e32 v171, v171, v209
	ds_bpermute_b32 v222, v2, v169 offset:36
	v_mul_f32_e32 v3, v3, v170
	v_mul_f32_e32 v172, v4, v172
	v_add_f32_e32 v4, v4, v205
	s_waitcnt lgkmcnt(15)
	v_sub_f32_e32 v174, v174, v211
	v_mul_f32_e32 v171, v5, v171
	v_fma_f32 v203, v3, v204, v167
	ds_bpermute_b32 v207, v2, v168 offset:44
	v_add_f32_e32 v4, v5, v4
	s_waitcnt lgkmcnt(14)
	v_sub_f32_e32 v5, v173, v213
	v_mul_f32_e32 v173, v6, v174
	v_fmac_f32_e32 v203, v172, v206
	s_waitcnt lgkmcnt(8)
	v_sub_f32_e32 v174, v178, v219
	v_add_f32_e32 v4, v6, v4
	v_sub_f32_e32 v6, v176, v215
	v_mul_f32_e32 v5, v7, v5
	v_fmac_f32_e32 v203, v171, v208
	ds_bpermute_b32 v224, v2, v169 offset:40
	v_add_f32_e32 v4, v7, v4
	v_sub_f32_e32 v7, v175, v217
	v_mul_f32_e32 v6, v8, v6
	v_fmac_f32_e32 v203, v173, v210
	ds_bpermute_b32 v172, v2, v168 offset:48
	v_add_f32_e32 v4, v8, v4
	v_mul_f32_e32 v7, v9, v7
	s_waitcnt lgkmcnt(8)
	v_sub_f32_e32 v8, v177, v221
	v_fmac_f32_e32 v203, v5, v212
	v_mul_f32_e32 v174, v10, v174
	ds_bpermute_b32 v170, v2, v169 offset:44
	ds_bpermute_b32 v173, v2, v168 offset:52
	v_add_f32_e32 v4, v9, v4
	v_fmac_f32_e32 v203, v6, v214
	s_waitcnt lgkmcnt(8)
	v_sub_f32_e32 v9, v180, v223
	v_mul_f32_e32 v8, v11, v8
	ds_bpermute_b32 v3, v2, v169 offset:48
	ds_bpermute_b32 v6, v2, v168 offset:56
	v_fmac_f32_e32 v203, v7, v216
	v_add_f32_e32 v4, v10, v4
	v_mul_f32_e32 v9, v12, v9
	ds_bpermute_b32 v171, v2, v169 offset:52
	ds_bpermute_b32 v10, v2, v168 offset:60
	v_fmac_f32_e32 v203, v174, v218
	s_waitcnt lgkmcnt(10)
	v_sub_f32_e32 v174, v179, v225
	v_add_f32_e32 v4, v11, v4
	s_waitcnt lgkmcnt(8)
	v_sub_f32_e32 v11, v182, v207
	ds_bpermute_b32 v5, v2, v169 offset:56
	v_fmac_f32_e32 v203, v8, v220
	v_mul_f32_e32 v174, v13, v174
	v_add_f32_e32 v4, v12, v4
	s_waitcnt lgkmcnt(7)
	v_sub_f32_e32 v12, v181, v172
	v_mul_f32_e32 v11, v14, v11
	v_fmac_f32_e32 v203, v9, v222
	ds_bpermute_b32 v9, v2, v168 offset:64
	ds_bpermute_b32 v7, v2, v169 offset:60
	v_add_f32_e32 v4, v13, v4
	ds_bpermute_b32 v13, v2, v168 offset:68
	v_fmac_f32_e32 v203, v174, v224
	s_waitcnt lgkmcnt(8)
	v_sub_f32_e32 v172, v184, v173
	v_mul_f32_e32 v12, v15, v12
	ds_bpermute_b32 v8, v2, v169 offset:64
	v_add_f32_e32 v4, v14, v4
	v_fmac_f32_e32 v203, v11, v170
	ds_bpermute_b32 v11, v2, v168 offset:72
	s_waitcnt lgkmcnt(8)
	v_sub_f32_e32 v6, v183, v6
	v_mul_f32_e32 v14, v16, v172
	s_waitcnt lgkmcnt(6)
	v_sub_f32_e32 v10, v187, v10
	v_fmac_f32_e32 v203, v12, v3
	ds_bpermute_b32 v3, v2, v169 offset:68
	v_mul_f32_e32 v6, v17, v6
	ds_bpermute_b32 v12, v2, v169 offset:72
	v_mul_f32_e32 v10, v18, v10
	v_fmac_f32_e32 v203, v14, v171
	ds_bpermute_b32 v14, v2, v168 offset:76
	v_add_f32_e32 v4, v15, v4
	s_mov_b32 s30, 0
	s_waitcnt lgkmcnt(8)
	v_fmac_f32_e32 v203, v6, v5
	s_waitcnt lgkmcnt(7)
	v_sub_f32_e32 v5, v185, v9
	ds_bpermute_b32 v6, v2, v168 offset:80
	s_waitcnt lgkmcnt(6)
	v_sub_f32_e32 v9, v189, v13
	v_add_f32_e32 v4, v16, v4
	v_fmac_f32_e32 v203, v10, v7
	v_mul_f32_e32 v5, v19, v5
	ds_bpermute_b32 v7, v2, v169 offset:76
	v_mul_f32_e32 v9, v20, v9
	s_waitcnt lgkmcnt(5)
	v_sub_f32_e32 v10, v188, v11
	ds_bpermute_b32 v11, v2, v168 offset:84
	v_fmac_f32_e32 v203, v5, v8
	v_add_f32_e32 v4, v17, v4
	ds_bpermute_b32 v5, v2, v169 offset:80
	v_mul_f32_e32 v8, v21, v10
	ds_bpermute_b32 v10, v2, v169 offset:84
	s_waitcnt lgkmcnt(7)
	v_fmac_f32_e32 v203, v9, v3
	s_waitcnt lgkmcnt(5)
	v_sub_f32_e32 v3, v191, v14
	ds_bpermute_b32 v9, v2, v168 offset:88
	v_add_f32_e32 v4, v18, v4
	v_fmac_f32_e32 v203, v8, v12
	v_mul_f32_e32 v3, v22, v3
	ds_bpermute_b32 v8, v2, v168 offset:92
	v_add_f32_e32 v4, v19, v4
	s_waitcnt lgkmcnt(6)
	v_sub_f32_e32 v6, v190, v6
	ds_bpermute_b32 v12, v2, v169 offset:116
	s_waitcnt lgkmcnt(6)
	v_fmac_f32_e32 v203, v3, v7
	ds_bpermute_b32 v3, v2, v169 offset:88
	v_add_f32_e32 v4, v20, v4
	v_mul_f32_e32 v6, v23, v6
	s_waitcnt lgkmcnt(6)
	v_sub_f32_e32 v7, v193, v11
	ds_bpermute_b32 v11, v2, v168 offset:96
	v_add_f32_e32 v4, v21, v4
	s_waitcnt lgkmcnt(6)
	v_fmac_f32_e32 v203, v6, v5
	ds_bpermute_b32 v5, v2, v169 offset:92
	v_mul_f32_e32 v6, v24, v7
	s_waitcnt lgkmcnt(5)
	v_sub_f32_e32 v7, v192, v9
	ds_bpermute_b32 v9, v2, v168 offset:100
	v_add_f32_e32 v4, v22, v4
	v_fmac_f32_e32 v203, v6, v10
	ds_bpermute_b32 v6, v2, v169 offset:96
	v_mul_f32_e32 v7, v25, v7
	ds_bpermute_b32 v10, v2, v168 offset:104
	v_add_f32_e32 v4, v23, v4
	s_waitcnt lgkmcnt(7)
	v_sub_f32_e32 v8, v195, v8
	s_waitcnt lgkmcnt(5)
	v_fmac_f32_e32 v203, v7, v3
	ds_bpermute_b32 v3, v2, v169 offset:100
	v_add_f32_e32 v4, v24, v4
	v_mul_f32_e32 v7, v26, v8
	s_waitcnt lgkmcnt(5)
	v_sub_f32_e32 v8, v194, v11
	ds_bpermute_b32 v11, v2, v168 offset:108
	v_add_f32_e32 v4, v25, v4
	s_waitcnt lgkmcnt(5)
	v_fmac_f32_e32 v203, v7, v5
	v_mul_f32_e32 v5, v27, v8
	ds_bpermute_b32 v7, v2, v169 offset:104
	s_waitcnt lgkmcnt(5)
	v_sub_f32_e32 v8, v197, v9
	ds_bpermute_b32 v9, v2, v168 offset:112
	v_add_f32_e32 v4, v26, v4
	s_waitcnt lgkmcnt(5)
	v_fmac_f32_e32 v203, v5, v6
	ds_bpermute_b32 v5, v2, v169 offset:108
	v_mul_f32_e32 v6, v28, v8
	s_waitcnt lgkmcnt(5)
	v_sub_f32_e32 v8, v196, v10
	ds_bpermute_b32 v10, v2, v168 offset:116
	v_add_f32_e32 v4, v27, v4
	s_waitcnt lgkmcnt(5)
	v_fmac_f32_e32 v203, v6, v3
	ds_bpermute_b32 v6, v2, v169 offset:112
	v_mul_f32_e32 v3, v29, v8
	ds_bpermute_b32 v8, v2, v168 offset:120
	s_waitcnt lgkmcnt(6)
	v_sub_f32_e32 v11, v199, v11
	v_add_f32_e32 v4, v28, v4
	s_waitcnt lgkmcnt(5)
	v_fmac_f32_e32 v203, v3, v7
	v_mul_f32_e32 v3, v30, v11
	v_add_f32_e32 v4, v29, v4
	s_waitcnt lgkmcnt(4)
	v_sub_f32_e32 v7, v198, v9
	ds_bpermute_b32 v9, v2, v169 offset:120
	ds_bpermute_b32 v169, v2, v169 offset:124
	s_waitcnt lgkmcnt(5)
	v_fmac_f32_e32 v203, v3, v5
	v_add_f32_e32 v4, v30, v4
	v_mul_f32_e32 v5, v31, v7
	s_waitcnt lgkmcnt(4)
	v_sub_f32_e32 v7, v202, v10
	ds_bpermute_b32 v3, v2, v168 offset:124
	v_add_f32_e32 v4, v31, v4
	s_waitcnt lgkmcnt(4)
	v_fmac_f32_e32 v203, v5, v6
	v_mul_f32_e32 v5, v32, v7
	s_waitcnt lgkmcnt(3)
	v_sub_f32_e32 v6, v200, v8
	v_add_f32_e32 v4, v32, v4
	v_fmac_f32_e32 v203, v5, v12
	v_mul_f32_e32 v5, v33, v6
	v_add_f32_e32 v4, v33, v4
	s_waitcnt lgkmcnt(2)
	v_fmac_f32_e32 v203, v5, v9
.LBB84_71:                              ;   in Loop: Header=BB84_3 Depth=1
	s_and_b32 vcc_lo, exec_lo, s30
	s_cbranch_vccz .LBB84_137
; %bb.72:                               ;   in Loop: Header=BB84_3 Depth=1
	s_load_dword s30, s[22:23], 0x0
	v_mov_b32_e32 v168, 0
	s_waitcnt lgkmcnt(0)
	s_cmp_lt_u32 s6, s30
	s_cselect_b32 s30, 12, 18
	s_add_u32 s30, s22, s30
	s_addc_u32 s31, s23, 0
	global_load_ushort v3, v2, s[30:31]
	s_mov_b32 s30, exec_lo
	s_waitcnt vmcnt(0)
	v_mad_u32_u24 v3, v1, v3, v227
	v_and_b32_e32 v3, 31, v3
	v_add_co_u32 v3, vcc_lo, v37, v3
	v_add_co_ci_u32_e64 v4, null, 0, v38, vcc_lo
	v_mov_b32_e32 v38, 0
	v_mov_b32_e32 v37, 0
	v_cmpx_gt_i64_e64 s[8:9], v[3:4]
	s_cbranch_execz .LBB84_74
; %bb.73:                               ;   in Loop: Header=BB84_3 Depth=1
	v_lshlrev_b64 v[3:4], 2, v[3:4]
	v_add_co_u32 v5, vcc_lo, s16, v3
	v_add_co_ci_u32_e64 v6, null, s17, v4, vcc_lo
	v_add_co_u32 v3, vcc_lo, s18, v3
	v_add_co_ci_u32_e64 v4, null, s19, v4, vcc_lo
	global_load_dword v37, v[5:6], off
	global_load_dword v38, v[3:4], off
.LBB84_74:                              ;   in Loop: Header=BB84_3 Depth=1
	s_or_b32 exec_lo, exec_lo, s30
	v_mov_b32_e32 v33, v2
	v_mov_b32_e32 v3, v2
	;; [unrolled: 1-line block ×63, first 2 shown]
	s_and_saveexec_b32 s30, s1
	s_cbranch_execz .LBB84_76
; %bb.75:                               ;   in Loop: Header=BB84_3 Depth=1
	v_add_co_u32 v3, vcc_lo, v41, v35
	v_add_co_ci_u32_e64 v4, null, v42, v36, vcc_lo
	v_add_co_u32 v5, vcc_lo, v43, v35
	v_add_co_ci_u32_e64 v6, null, v44, v36, vcc_lo
	global_load_ushort v3, v[3:4], off
	global_load_ushort v168, v[5:6], off
	v_mov_b32_e32 v4, v2
	v_mov_b32_e32 v5, v2
	;; [unrolled: 1-line block ×31, first 2 shown]
	s_waitcnt vmcnt(1)
	v_cvt_f32_f16_e32 v3, v3
	s_waitcnt vmcnt(0)
	v_cvt_f32_f16_e32 v168, v168
.LBB84_76:                              ;   in Loop: Header=BB84_3 Depth=1
	s_or_b32 exec_lo, exec_lo, s30
	v_mov_b32_e32 v169, 0
	v_mov_b32_e32 v170, 0
	s_and_saveexec_b32 s30, s1
	s_cbranch_execz .LBB84_78
; %bb.77:                               ;   in Loop: Header=BB84_3 Depth=1
	v_add_co_u32 v170, vcc_lo, v163, v35
	v_add_co_ci_u32_e64 v171, null, v164, v36, vcc_lo
	v_add_co_u32 v172, vcc_lo, v165, v35
	v_add_co_ci_u32_e64 v173, null, v166, v36, vcc_lo
	global_load_ushort v4, v[170:171], off
	global_load_ushort v170, v[172:173], off
	s_waitcnt vmcnt(1)
	v_cvt_f32_f16_e32 v4, v4
	s_waitcnt vmcnt(0)
	v_cvt_f32_f16_e32 v170, v170
.LBB84_78:                              ;   in Loop: Header=BB84_3 Depth=1
	s_or_b32 exec_lo, exec_lo, s30
	s_and_saveexec_b32 s30, s1
	s_cbranch_execz .LBB84_80
; %bb.79:                               ;   in Loop: Header=BB84_3 Depth=1
	v_add_co_u32 v171, vcc_lo, v159, v35
	v_add_co_ci_u32_e64 v172, null, v160, v36, vcc_lo
	v_add_co_u32 v173, vcc_lo, v161, v35
	v_add_co_ci_u32_e64 v174, null, v162, v36, vcc_lo
	global_load_ushort v5, v[171:172], off
	global_load_ushort v169, v[173:174], off
	s_waitcnt vmcnt(1)
	v_cvt_f32_f16_e32 v5, v5
	s_waitcnt vmcnt(0)
	v_cvt_f32_f16_e32 v169, v169
.LBB84_80:                              ;   in Loop: Header=BB84_3 Depth=1
	s_or_b32 exec_lo, exec_lo, s30
	v_mov_b32_e32 v171, 0
	v_mov_b32_e32 v172, 0
	s_and_saveexec_b32 s30, s1
	s_cbranch_execz .LBB84_82
; %bb.81:                               ;   in Loop: Header=BB84_3 Depth=1
	v_add_co_u32 v172, vcc_lo, v155, v35
	v_add_co_ci_u32_e64 v173, null, v156, v36, vcc_lo
	v_add_co_u32 v174, vcc_lo, v157, v35
	v_add_co_ci_u32_e64 v175, null, v158, v36, vcc_lo
	global_load_ushort v6, v[172:173], off
	global_load_ushort v172, v[174:175], off
	s_waitcnt vmcnt(1)
	v_cvt_f32_f16_e32 v6, v6
	s_waitcnt vmcnt(0)
	v_cvt_f32_f16_e32 v172, v172
.LBB84_82:                              ;   in Loop: Header=BB84_3 Depth=1
	s_or_b32 exec_lo, exec_lo, s30
	s_and_saveexec_b32 s30, s1
	s_cbranch_execz .LBB84_84
; %bb.83:                               ;   in Loop: Header=BB84_3 Depth=1
	v_add_co_u32 v173, vcc_lo, v151, v35
	v_add_co_ci_u32_e64 v174, null, v152, v36, vcc_lo
	v_add_co_u32 v175, vcc_lo, v153, v35
	v_add_co_ci_u32_e64 v176, null, v154, v36, vcc_lo
	global_load_ushort v7, v[173:174], off
	global_load_ushort v171, v[175:176], off
	s_waitcnt vmcnt(1)
	v_cvt_f32_f16_e32 v7, v7
	s_waitcnt vmcnt(0)
	v_cvt_f32_f16_e32 v171, v171
.LBB84_84:                              ;   in Loop: Header=BB84_3 Depth=1
	;; [unrolled: 32-line block ×5, first 2 shown]
	s_or_b32 exec_lo, exec_lo, s30
	v_mov_b32_e32 v179, 0
	v_mov_b32_e32 v180, 0
	s_and_saveexec_b32 s30, s1
	s_cbranch_execz .LBB84_98
; %bb.97:                               ;   in Loop: Header=BB84_3 Depth=1
	v_add_co_u32 v180, vcc_lo, v123, v35
	v_add_co_ci_u32_e64 v181, null, v124, v36, vcc_lo
	v_add_co_u32 v182, vcc_lo, v125, v35
	v_add_co_ci_u32_e64 v183, null, v126, v36, vcc_lo
	global_load_ushort v14, v[180:181], off
	global_load_ushort v180, v[182:183], off
	s_waitcnt vmcnt(1)
	v_cvt_f32_f16_e32 v14, v14
	s_waitcnt vmcnt(0)
	v_cvt_f32_f16_e32 v180, v180
.LBB84_98:                              ;   in Loop: Header=BB84_3 Depth=1
	s_or_b32 exec_lo, exec_lo, s30
	s_and_saveexec_b32 s30, s1
	s_cbranch_execz .LBB84_100
; %bb.99:                               ;   in Loop: Header=BB84_3 Depth=1
	v_add_co_u32 v181, vcc_lo, v119, v35
	v_add_co_ci_u32_e64 v182, null, v120, v36, vcc_lo
	v_add_co_u32 v183, vcc_lo, v121, v35
	v_add_co_ci_u32_e64 v184, null, v122, v36, vcc_lo
	global_load_ushort v15, v[181:182], off
	global_load_ushort v179, v[183:184], off
	s_waitcnt vmcnt(1)
	v_cvt_f32_f16_e32 v15, v15
	s_waitcnt vmcnt(0)
	v_cvt_f32_f16_e32 v179, v179
.LBB84_100:                             ;   in Loop: Header=BB84_3 Depth=1
	s_or_b32 exec_lo, exec_lo, s30
	v_mov_b32_e32 v181, 0
	v_mov_b32_e32 v182, 0
	s_and_saveexec_b32 s30, s1
	s_cbranch_execz .LBB84_102
; %bb.101:                              ;   in Loop: Header=BB84_3 Depth=1
	v_add_co_u32 v182, vcc_lo, v115, v35
	v_add_co_ci_u32_e64 v183, null, v116, v36, vcc_lo
	v_add_co_u32 v184, vcc_lo, v117, v35
	v_add_co_ci_u32_e64 v185, null, v118, v36, vcc_lo
	global_load_ushort v16, v[182:183], off
	global_load_ushort v182, v[184:185], off
	s_waitcnt vmcnt(1)
	v_cvt_f32_f16_e32 v16, v16
	s_waitcnt vmcnt(0)
	v_cvt_f32_f16_e32 v182, v182
.LBB84_102:                             ;   in Loop: Header=BB84_3 Depth=1
	s_or_b32 exec_lo, exec_lo, s30
	s_and_saveexec_b32 s30, s1
	s_cbranch_execz .LBB84_104
; %bb.103:                              ;   in Loop: Header=BB84_3 Depth=1
	v_add_co_u32 v183, vcc_lo, v111, v35
	v_add_co_ci_u32_e64 v184, null, v112, v36, vcc_lo
	v_add_co_u32 v185, vcc_lo, v113, v35
	v_add_co_ci_u32_e64 v186, null, v114, v36, vcc_lo
	global_load_ushort v17, v[183:184], off
	global_load_ushort v181, v[185:186], off
	s_waitcnt vmcnt(1)
	v_cvt_f32_f16_e32 v17, v17
	s_waitcnt vmcnt(0)
	v_cvt_f32_f16_e32 v181, v181
.LBB84_104:                             ;   in Loop: Header=BB84_3 Depth=1
	s_or_b32 exec_lo, exec_lo, s30
	v_mov_b32_e32 v183, 0
	v_mov_b32_e32 v184, 0
	s_and_saveexec_b32 s30, s1
	s_cbranch_execz .LBB84_106
; %bb.105:                              ;   in Loop: Header=BB84_3 Depth=1
	v_add_co_u32 v184, vcc_lo, v107, v35
	v_add_co_ci_u32_e64 v185, null, v108, v36, vcc_lo
	v_add_co_u32 v186, vcc_lo, v109, v35
	v_add_co_ci_u32_e64 v187, null, v110, v36, vcc_lo
	global_load_ushort v18, v[184:185], off
	global_load_ushort v184, v[186:187], off
	s_waitcnt vmcnt(1)
	v_cvt_f32_f16_e32 v18, v18
	s_waitcnt vmcnt(0)
	v_cvt_f32_f16_e32 v184, v184
.LBB84_106:                             ;   in Loop: Header=BB84_3 Depth=1
	s_or_b32 exec_lo, exec_lo, s30
	s_and_saveexec_b32 s30, s1
	s_cbranch_execz .LBB84_108
; %bb.107:                              ;   in Loop: Header=BB84_3 Depth=1
	v_add_co_u32 v185, vcc_lo, v103, v35
	v_add_co_ci_u32_e64 v186, null, v104, v36, vcc_lo
	v_add_co_u32 v187, vcc_lo, v105, v35
	v_add_co_ci_u32_e64 v188, null, v106, v36, vcc_lo
	global_load_ushort v19, v[185:186], off
	global_load_ushort v183, v[187:188], off
	s_waitcnt vmcnt(1)
	v_cvt_f32_f16_e32 v19, v19
	s_waitcnt vmcnt(0)
	v_cvt_f32_f16_e32 v183, v183
.LBB84_108:                             ;   in Loop: Header=BB84_3 Depth=1
	;; [unrolled: 32-line block ×8, first 2 shown]
	s_or_b32 exec_lo, exec_lo, s30
	v_mov_b32_e32 v198, 0
	v_mov_b32_e32 v199, 0
	s_and_saveexec_b32 s30, s1
	s_cbranch_execnz .LBB84_139
; %bb.133:                              ;   in Loop: Header=BB84_3 Depth=1
	s_or_b32 exec_lo, exec_lo, s30
	s_and_saveexec_b32 s30, s1
	s_cbranch_execnz .LBB84_140
.LBB84_134:                             ;   in Loop: Header=BB84_3 Depth=1
	s_or_b32 exec_lo, exec_lo, s30
	v_mov_b32_e32 v186, 0
	s_and_saveexec_b32 s30, s1
	s_cbranch_execz .LBB84_136
.LBB84_135:                             ;   in Loop: Header=BB84_3 Depth=1
	v_add_co_u32 v202, vcc_lo, v45, v35
	v_add_co_ci_u32_e64 v203, null, v46, v36, vcc_lo
	v_add_co_u32 v204, vcc_lo, v47, v35
	v_add_co_ci_u32_e64 v205, null, v48, v36, vcc_lo
	global_load_ushort v34, v[202:203], off
	global_load_ushort v186, v[204:205], off
	s_waitcnt vmcnt(1)
	v_cvt_f32_f16_e32 v34, v34
	s_waitcnt vmcnt(0)
	v_cvt_f32_f16_e32 v186, v186
.LBB84_136:                             ;   in Loop: Header=BB84_3 Depth=1
	s_or_b32 exec_lo, exec_lo, s30
	s_waitcnt vmcnt(1)
	ds_bpermute_b32 v200, v2, v37
	ds_bpermute_b32 v204, v2, v37 offset:4
	s_waitcnt vmcnt(0)
	ds_bpermute_b32 v202, v2, v38
	ds_bpermute_b32 v206, v2, v37 offset:8
	ds_bpermute_b32 v203, v2, v38 offset:4
	;; [unrolled: 1-line block ×5, first 2 shown]
	v_add_f32_e32 v201, v201, v3
	ds_bpermute_b32 v207, v2, v38 offset:12
	ds_bpermute_b32 v212, v2, v37 offset:20
	;; [unrolled: 1-line block ×11, first 2 shown]
	s_waitcnt lgkmcnt(18)
	v_sub_f32_e32 v168, v168, v200
	s_waitcnt lgkmcnt(17)
	v_sub_f32_e32 v170, v170, v204
	ds_bpermute_b32 v200, v2, v37 offset:36
	s_waitcnt lgkmcnt(16)
	v_sub_f32_e32 v169, v169, v206
	ds_bpermute_b32 v219, v2, v38 offset:36
	v_mul_f32_e32 v3, v3, v168
	v_mul_f32_e32 v170, v4, v170
	v_add_f32_e32 v4, v4, v201
	s_waitcnt lgkmcnt(15)
	v_sub_f32_e32 v172, v172, v208
	v_mul_f32_e32 v169, v5, v169
	v_fmac_f32_e32 v167, v3, v202
	ds_bpermute_b32 v204, v2, v37 offset:44
	v_add_f32_e32 v4, v5, v4
	s_waitcnt lgkmcnt(14)
	v_sub_f32_e32 v5, v171, v210
	v_mul_f32_e32 v171, v6, v172
	v_fmac_f32_e32 v167, v170, v203
	s_waitcnt lgkmcnt(8)
	v_sub_f32_e32 v172, v176, v216
	v_add_f32_e32 v4, v6, v4
	v_sub_f32_e32 v6, v174, v212
	v_mul_f32_e32 v5, v7, v5
	v_fmac_f32_e32 v167, v169, v205
	ds_bpermute_b32 v220, v2, v38 offset:40
	v_add_f32_e32 v4, v7, v4
	v_sub_f32_e32 v7, v173, v214
	v_mul_f32_e32 v6, v8, v6
	v_fmac_f32_e32 v167, v171, v207
	ds_bpermute_b32 v170, v2, v37 offset:48
	v_add_f32_e32 v4, v8, v4
	v_mul_f32_e32 v7, v9, v7
	s_waitcnt lgkmcnt(8)
	v_sub_f32_e32 v8, v175, v218
	v_fmac_f32_e32 v167, v5, v209
	v_mul_f32_e32 v172, v10, v172
	ds_bpermute_b32 v168, v2, v38 offset:44
	ds_bpermute_b32 v171, v2, v37 offset:52
	v_add_f32_e32 v4, v9, v4
	v_fmac_f32_e32 v167, v6, v211
	s_waitcnt lgkmcnt(6)
	v_sub_f32_e32 v9, v178, v200
	v_mul_f32_e32 v8, v11, v8
	ds_bpermute_b32 v3, v2, v38 offset:48
	ds_bpermute_b32 v6, v2, v37 offset:56
	v_fmac_f32_e32 v167, v7, v213
	v_add_f32_e32 v4, v10, v4
	v_mul_f32_e32 v9, v12, v9
	ds_bpermute_b32 v169, v2, v38 offset:52
	ds_bpermute_b32 v10, v2, v37 offset:60
	v_fmac_f32_e32 v167, v172, v215
	v_sub_f32_e32 v172, v177, v221
	v_add_f32_e32 v4, v11, v4
	s_waitcnt lgkmcnt(8)
	v_sub_f32_e32 v11, v180, v204
	ds_bpermute_b32 v5, v2, v38 offset:56
	v_fmac_f32_e32 v167, v8, v217
	v_mul_f32_e32 v172, v13, v172
	v_add_f32_e32 v4, v12, v4
	s_waitcnt lgkmcnt(7)
	v_sub_f32_e32 v12, v179, v170
	v_mul_f32_e32 v11, v14, v11
	v_fmac_f32_e32 v167, v9, v219
	ds_bpermute_b32 v9, v2, v37 offset:64
	ds_bpermute_b32 v7, v2, v38 offset:60
	v_add_f32_e32 v4, v13, v4
	ds_bpermute_b32 v13, v2, v37 offset:68
	v_fmac_f32_e32 v167, v172, v220
	s_waitcnt lgkmcnt(8)
	v_sub_f32_e32 v170, v182, v171
	v_mul_f32_e32 v12, v15, v12
	ds_bpermute_b32 v8, v2, v38 offset:64
	v_add_f32_e32 v4, v14, v4
	v_fmac_f32_e32 v167, v11, v168
	ds_bpermute_b32 v11, v2, v37 offset:72
	s_waitcnt lgkmcnt(8)
	v_sub_f32_e32 v6, v181, v6
	v_mul_f32_e32 v14, v16, v170
	s_waitcnt lgkmcnt(6)
	v_sub_f32_e32 v10, v184, v10
	v_fmac_f32_e32 v167, v12, v3
	ds_bpermute_b32 v3, v2, v38 offset:68
	v_mul_f32_e32 v6, v17, v6
	ds_bpermute_b32 v12, v2, v38 offset:72
	v_mul_f32_e32 v10, v18, v10
	v_fmac_f32_e32 v167, v14, v169
	ds_bpermute_b32 v14, v2, v37 offset:76
	v_add_f32_e32 v4, v15, v4
	ds_bpermute_b32 v169, v2, v38 offset:124
	s_waitcnt lgkmcnt(9)
	v_fmac_f32_e32 v167, v6, v5
	s_waitcnt lgkmcnt(8)
	v_sub_f32_e32 v5, v183, v9
	ds_bpermute_b32 v9, v2, v37 offset:80
	s_waitcnt lgkmcnt(7)
	v_sub_f32_e32 v6, v187, v13
	v_add_f32_e32 v4, v16, v4
	v_fmac_f32_e32 v167, v10, v7
	v_mul_f32_e32 v5, v19, v5
	ds_bpermute_b32 v7, v2, v38 offset:76
	s_waitcnt lgkmcnt(6)
	v_sub_f32_e32 v10, v185, v11
	ds_bpermute_b32 v11, v2, v37 offset:84
	v_mul_f32_e32 v6, v20, v6
	v_fmac_f32_e32 v167, v5, v8
	ds_bpermute_b32 v5, v2, v38 offset:80
	v_mul_f32_e32 v8, v21, v10
	ds_bpermute_b32 v10, v2, v38 offset:84
	v_add_f32_e32 v4, v17, v4
	s_waitcnt lgkmcnt(8)
	v_fmac_f32_e32 v167, v6, v3
	ds_bpermute_b32 v3, v2, v37 offset:88
	s_waitcnt lgkmcnt(7)
	v_sub_f32_e32 v6, v189, v14
	v_add_f32_e32 v4, v18, v4
	v_fmac_f32_e32 v167, v8, v12
	ds_bpermute_b32 v8, v2, v37 offset:92
	v_mul_f32_e32 v6, v22, v6
	s_waitcnt lgkmcnt(6)
	v_sub_f32_e32 v9, v188, v9
	v_add_f32_e32 v4, v19, v4
	s_waitcnt lgkmcnt(5)
	v_fmac_f32_e32 v167, v6, v7
	ds_bpermute_b32 v6, v2, v38 offset:88
	v_mul_f32_e32 v7, v23, v9
	s_waitcnt lgkmcnt(5)
	v_sub_f32_e32 v9, v191, v11
	ds_bpermute_b32 v11, v2, v37 offset:96
	v_add_f32_e32 v4, v20, v4
	s_waitcnt lgkmcnt(5)
	v_fmac_f32_e32 v167, v7, v5
	ds_bpermute_b32 v5, v2, v38 offset:92
	v_mul_f32_e32 v7, v24, v9
	s_waitcnt lgkmcnt(4)
	v_sub_f32_e32 v3, v190, v3
	ds_bpermute_b32 v9, v2, v37 offset:100
	v_add_f32_e32 v4, v21, v4
	v_fmac_f32_e32 v167, v7, v10
	ds_bpermute_b32 v7, v2, v38 offset:96
	v_mul_f32_e32 v3, v25, v3
	s_waitcnt lgkmcnt(5)
	v_sub_f32_e32 v8, v193, v8
	ds_bpermute_b32 v10, v2, v37 offset:104
	v_add_f32_e32 v4, v22, v4
	s_waitcnt lgkmcnt(5)
	v_fmac_f32_e32 v167, v3, v6
	ds_bpermute_b32 v3, v2, v38 offset:100
	v_mul_f32_e32 v6, v26, v8
	s_waitcnt lgkmcnt(5)
	v_sub_f32_e32 v8, v192, v11
	ds_bpermute_b32 v11, v2, v37 offset:108
	v_add_f32_e32 v4, v23, v4
	s_waitcnt lgkmcnt(5)
	v_fmac_f32_e32 v167, v6, v5
	v_mul_f32_e32 v5, v27, v8
	ds_bpermute_b32 v6, v2, v38 offset:104
	v_add_f32_e32 v4, v24, v4
	s_waitcnt lgkmcnt(5)
	v_sub_f32_e32 v8, v195, v9
	ds_bpermute_b32 v9, v2, v37 offset:112
	s_waitcnt lgkmcnt(5)
	v_fmac_f32_e32 v167, v5, v7
	ds_bpermute_b32 v7, v2, v38 offset:108
	v_add_f32_e32 v4, v25, v4
	v_mul_f32_e32 v5, v28, v8
	s_waitcnt lgkmcnt(5)
	v_sub_f32_e32 v8, v194, v10
	ds_bpermute_b32 v10, v2, v37 offset:116
	v_add_f32_e32 v4, v26, v4
	s_waitcnt lgkmcnt(5)
	v_fmac_f32_e32 v167, v5, v3
	v_mul_f32_e32 v3, v29, v8
	ds_bpermute_b32 v5, v2, v38 offset:112
	s_waitcnt lgkmcnt(5)
	v_sub_f32_e32 v8, v197, v11
	ds_bpermute_b32 v11, v2, v37 offset:120
	v_add_f32_e32 v4, v27, v4
	s_waitcnt lgkmcnt(5)
	v_fmac_f32_e32 v167, v3, v6
	v_mul_f32_e32 v3, v30, v8
	ds_bpermute_b32 v6, v2, v38 offset:116
	v_add_f32_e32 v4, v28, v4
	s_waitcnt lgkmcnt(5)
	v_sub_f32_e32 v8, v196, v9
	s_waitcnt lgkmcnt(4)
	v_fmac_f32_e32 v167, v3, v7
	ds_bpermute_b32 v7, v2, v38 offset:120
	v_add_f32_e32 v4, v29, v4
	v_mul_f32_e32 v3, v31, v8
	s_waitcnt lgkmcnt(4)
	v_sub_f32_e32 v8, v199, v10
	v_add_f32_e32 v4, v30, v4
	s_waitcnt lgkmcnt(3)
	v_fmac_f32_e32 v167, v3, v5
	v_mul_f32_e32 v5, v32, v8
	s_waitcnt lgkmcnt(2)
	v_sub_f32_e32 v8, v198, v11
	ds_bpermute_b32 v3, v2, v37 offset:124
	v_add_f32_e32 v4, v31, v4
	s_waitcnt lgkmcnt(2)
	v_fmac_f32_e32 v167, v5, v6
	v_mul_f32_e32 v5, v33, v8
	v_add_f32_e32 v4, v32, v4
	s_waitcnt lgkmcnt(1)
	v_fmac_f32_e32 v167, v5, v7
	v_add_f32_e32 v4, v33, v4
	v_mov_b32_e32 v203, v167
.LBB84_137:                             ;   in Loop: Header=BB84_3 Depth=1
	v_add_co_u32 v41, vcc_lo, v41, s2
	v_add_co_ci_u32_e64 v42, null, s3, v42, vcc_lo
	v_add_co_u32 v43, vcc_lo, v43, s2
	v_add_co_ci_u32_e64 v44, null, s3, v44, vcc_lo
	;; [unrolled: 2-line block ×59, first 2 shown]
	v_add_co_u32 v157, vcc_lo, v157, s2
	s_waitcnt lgkmcnt(0)
	v_sub_f32_e32 v3, v186, v3
	v_add_co_ci_u32_e64 v158, null, s3, v158, vcc_lo
	v_add_co_u32 v159, vcc_lo, v159, s2
	v_add_co_ci_u32_e64 v160, null, s3, v160, vcc_lo
	v_add_co_u32 v161, vcc_lo, v161, s2
	s_add_u32 s26, s26, s29
	v_add_co_ci_u32_e64 v162, null, s3, v162, vcc_lo
	v_add_co_u32 v163, vcc_lo, v163, s2
	v_mul_f32_e32 v3, v34, v3
	s_addc_u32 s27, s27, 0
	v_add_co_ci_u32_e64 v164, null, s3, v164, vcc_lo
	v_add_co_u32 v165, vcc_lo, v165, s2
	v_cmp_lt_i64_e64 s30, s[26:27], s[8:9]
	v_add_co_ci_u32_e64 v166, null, s3, v166, vcc_lo
	v_add_co_u32 v39, vcc_lo, v39, s29
	v_add_f32_e32 v201, v4, v34
	v_fmac_f32_e32 v203, v3, v169
	v_add_co_ci_u32_e64 v40, null, 0, v40, vcc_lo
	s_add_u32 s24, s24, s29
	s_addc_u32 s25, 0, s25
	s_and_b32 vcc_lo, exec_lo, s30
	s_cbranch_vccz .LBB84_142
; %bb.138:                              ;   in Loop: Header=BB84_3 Depth=1
	v_mov_b32_e32 v167, v203
	s_branch .LBB84_3
.LBB84_139:                             ;   in Loop: Header=BB84_3 Depth=1
	v_add_co_u32 v199, vcc_lo, v53, v35
	v_add_co_ci_u32_e64 v200, null, v54, v36, vcc_lo
	v_add_co_u32 v202, vcc_lo, v55, v35
	v_add_co_ci_u32_e64 v203, null, v56, v36, vcc_lo
	global_load_ushort v32, v[199:200], off
	global_load_ushort v186, v[202:203], off
	s_waitcnt vmcnt(1)
	v_cvt_f32_f16_e32 v32, v32
	s_waitcnt vmcnt(0)
	v_cvt_f32_f16_e32 v199, v186
	s_or_b32 exec_lo, exec_lo, s30
	s_and_saveexec_b32 s30, s1
	s_cbranch_execz .LBB84_134
.LBB84_140:                             ;   in Loop: Header=BB84_3 Depth=1
	v_add_co_u32 v202, vcc_lo, v49, v35
	v_add_co_ci_u32_e64 v203, null, v50, v36, vcc_lo
	v_add_co_u32 v204, vcc_lo, v51, v35
	v_add_co_ci_u32_e64 v205, null, v52, v36, vcc_lo
	global_load_ushort v33, v[202:203], off
	global_load_ushort v186, v[204:205], off
	s_waitcnt vmcnt(1)
	v_cvt_f32_f16_e32 v33, v33
	s_waitcnt vmcnt(0)
	v_cvt_f32_f16_e32 v198, v186
	s_or_b32 exec_lo, exec_lo, s30
	v_mov_b32_e32 v186, 0
	s_and_saveexec_b32 s30, s1
	s_cbranch_execnz .LBB84_135
	s_branch .LBB84_136
.LBB84_141:
                                        ; implicit-def: $vgpr203
                                        ; implicit-def: $vgpr201
	s_branch .LBB84_143
.LBB84_142:
	s_cbranch_execnz .LBB84_220
.LBB84_143:
	v_mov_b32_e32 v203, 0
	v_mov_b32_e32 v201, 0
	s_andn2_b32 vcc_lo, exec_lo, s28
	s_cbranch_vccnz .LBB84_220
; %bb.144:
	v_mov_b32_e32 v0, v1
	v_lshlrev_b32_e32 v225, 5, v1
	s_add_u32 s2, s4, 64
	s_addc_u32 s3, s5, 0
	s_lshl_b64 s[22:23], s[20:21], 1
	buffer_store_dword v0, off, s[36:39], 0 offset:292 ; 4-byte Folded Spill
	buffer_store_dword v1, off, s[36:39], 0 offset:296 ; 4-byte Folded Spill
	v_add_co_u32 v0, s1, v225, s20
	v_mov_b32_e32 v223, 0
	v_mov_b32_e32 v204, 0
	v_mul_lo_u32 v6, s11, v0
	v_lshlrev_b32_e32 v2, 6, v1
	v_add_co_ci_u32_e64 v1, null, 0, 0, s1
	v_add_co_u32 v4, s1, v2, s22
	v_add_co_ci_u32_e64 v5, null, 0, s23, s1
	v_mul_lo_u32 v7, s10, v1
	v_add_co_u32 v8, vcc_lo, v4, 2
	v_add_co_ci_u32_e64 v9, null, 0, v5, vcc_lo
	v_mad_u64_u32 v[2:3], null, s10, v0, 0
	v_add_co_u32 v10, vcc_lo, v4, 4
	v_add_co_ci_u32_e64 v12, null, 0, v5, vcc_lo
	v_add_co_u32 v13, vcc_lo, v4, 6
	v_add_co_ci_u32_e64 v14, null, 0, v5, vcc_lo
	;; [unrolled: 2-line block ×4, first 2 shown]
	v_add3_u32 v3, v3, v7, v6
	v_add_co_u32 v6, vcc_lo, v4, 12
	v_mad_u64_u32 v[35:36], null, s10, v8, s[12:13]
	v_mul_lo_u32 v9, s10, v9
	v_mul_lo_u32 v11, s11, v8
	v_mad_u64_u32 v[49:50], null, s10, v8, s[14:15]
	v_add_co_ci_u32_e64 v7, null, 0, v5, vcc_lo
	v_add_co_u32 v23, vcc_lo, v4, 14
	v_mad_u64_u32 v[37:38], null, s10, v10, s[12:13]
	v_mul_lo_u32 v12, s10, v12
	v_mul_lo_u32 v15, s11, v10
	v_mad_u64_u32 v[53:54], null, s10, v10, s[14:15]
	v_add_co_ci_u32_e64 v24, null, 0, v5, vcc_lo
	v_add_co_u32 v26, vcc_lo, v4, 16
	v_add_co_ci_u32_e64 v27, null, 0, v5, vcc_lo
	v_mad_u64_u32 v[45:46], null, s10, v6, s[12:13]
	v_mul_lo_u32 v7, s10, v7
	v_mul_lo_u32 v25, s11, v6
	v_mad_u64_u32 v[63:64], null, s10, v6, s[14:15]
	v_add3_u32 v36, v11, v36, v9
	v_mad_u64_u32 v[47:48], null, s10, v23, s[12:13]
	v_mul_lo_u32 v24, s10, v24
	v_mul_lo_u32 v8, s11, v23
	v_add3_u32 v50, v11, v50, v9
	v_add_co_u32 v9, vcc_lo, v4, 18
	v_mad_u64_u32 v[65:66], null, s10, v23, s[14:15]
	v_add3_u32 v38, v15, v38, v12
	v_mad_u64_u32 v[51:52], null, s10, v26, s[12:13]
	v_add_co_ci_u32_e64 v10, null, 0, v5, vcc_lo
	v_mul_lo_u32 v11, s10, v27
	v_add3_u32 v54, v15, v54, v12
	v_mul_lo_u32 v12, s11, v26
	v_mad_u64_u32 v[67:68], null, s10, v26, s[14:15]
	v_add3_u32 v46, v25, v46, v7
	v_add3_u32 v64, v25, v64, v7
	v_add_co_u32 v7, vcc_lo, v4, 20
	v_mad_u64_u32 v[59:60], null, s10, v9, s[12:13]
	v_mul_lo_u32 v10, s10, v10
	v_mul_lo_u32 v6, s11, v9
	v_mad_u64_u32 v[69:70], null, s10, v9, s[14:15]
	v_add3_u32 v48, v8, v48, v24
	v_add3_u32 v66, v8, v66, v24
	v_add_co_ci_u32_e64 v8, null, 0, v5, vcc_lo
	v_add_co_u32 v9, vcc_lo, v4, 22
	v_add3_u32 v52, v12, v52, v11
	v_add3_u32 v68, v12, v68, v11
	v_add_co_ci_u32_e64 v11, null, 0, v5, vcc_lo
	v_mad_u64_u32 v[71:72], null, s10, v7, s[12:13]
	v_mul_lo_u32 v8, s10, v8
	v_mul_lo_u32 v12, s11, v7
	v_mad_u64_u32 v[73:74], null, s10, v7, s[14:15]
	v_add3_u32 v60, v6, v60, v10
	v_add3_u32 v70, v6, v70, v10
	v_mul_lo_u32 v6, s10, v11
	v_mul_lo_u32 v7, s11, v9
	v_mad_u64_u32 v[75:76], null, s10, v9, s[12:13]
	v_mad_u64_u32 v[77:78], null, s10, v9, s[14:15]
	v_add_co_u32 v9, vcc_lo, v4, 24
	v_add_co_ci_u32_e64 v10, null, 0, v5, vcc_lo
	v_add3_u32 v72, v12, v72, v8
	v_add3_u32 v74, v12, v74, v8
	v_add_co_u32 v8, vcc_lo, v4, 26
	v_add3_u32 v76, v7, v76, v6
	v_add3_u32 v78, v7, v78, v6
	v_mul_lo_u32 v6, s10, v10
	v_add_co_ci_u32_e64 v10, null, 0, v5, vcc_lo
	v_mul_lo_u32 v7, s11, v9
	v_mad_u64_u32 v[79:80], null, s10, v9, s[12:13]
	v_mad_u64_u32 v[81:82], null, s10, v9, s[14:15]
	v_mul_lo_u32 v9, s10, v10
	v_mul_lo_u32 v10, s11, v8
	v_mad_u64_u32 v[83:84], null, s10, v8, s[12:13]
	v_mad_u64_u32 v[85:86], null, s10, v8, s[14:15]
	v_add_co_u32 v8, vcc_lo, v4, 28
	v_add_co_ci_u32_e64 v11, null, 0, v5, vcc_lo
	v_add3_u32 v84, v10, v84, v9
	v_add3_u32 v80, v7, v80, v6
	;; [unrolled: 1-line block ×3, first 2 shown]
	v_add_co_u32 v9, vcc_lo, v4, 30
	v_add_co_ci_u32_e64 v10, null, 0, v5, vcc_lo
	v_add3_u32 v82, v7, v82, v6
	v_mul_lo_u32 v6, s10, v11
	v_mul_lo_u32 v7, s11, v8
	v_mad_u64_u32 v[87:88], null, s10, v8, s[12:13]
	v_mad_u64_u32 v[89:90], null, s10, v8, s[14:15]
	v_mul_lo_u32 v8, s10, v10
	v_mul_lo_u32 v10, s11, v9
	v_mad_u64_u32 v[91:92], null, s10, v9, s[12:13]
	v_mad_u64_u32 v[93:94], null, s10, v9, s[14:15]
	v_add_co_u32 v9, vcc_lo, v4, 32
	v_add_co_ci_u32_e64 v11, null, 0, v5, vcc_lo
	v_add3_u32 v88, v7, v88, v6
	v_add3_u32 v90, v7, v90, v6
	v_mul_lo_u32 v7, s11, v9
	v_mul_lo_u32 v6, s10, v11
	v_mad_u64_u32 v[95:96], null, s10, v9, s[12:13]
	v_mad_u64_u32 v[97:98], null, s10, v9, s[14:15]
	v_add3_u32 v92, v10, v92, v8
	v_add3_u32 v94, v10, v94, v8
	v_mad_u64_u32 v[39:40], null, s10, v13, s[12:13]
	v_add3_u32 v96, v7, v96, v6
	v_mul_lo_u32 v17, s11, v13
	v_add3_u32 v98, v7, v98, v6
	v_add_co_u32 v6, vcc_lo, v4, 34
	v_add_co_ci_u32_e64 v7, null, 0, v5, vcc_lo
	v_mad_u64_u32 v[55:56], null, s10, v13, s[14:15]
	v_mul_lo_u32 v8, s11, v6
	v_mul_lo_u32 v7, s10, v7
	v_mad_u64_u32 v[99:100], null, s10, v6, s[12:13]
	v_mad_u64_u32 v[101:102], null, s10, v6, s[14:15]
	v_add_co_u32 v6, vcc_lo, v4, 36
	v_mul_lo_u32 v14, s10, v14
	v_mad_u64_u32 v[41:42], null, s10, v16, s[12:13]
	v_add3_u32 v100, v8, v100, v7
	v_add3_u32 v102, v8, v102, v7
	v_add_co_ci_u32_e64 v7, null, 0, v5, vcc_lo
	v_mul_lo_u32 v8, s11, v6
	v_mad_u64_u32 v[103:104], null, s10, v6, s[12:13]
	v_mul_lo_u32 v7, s10, v7
	v_mad_u64_u32 v[105:106], null, s10, v6, s[14:15]
	v_add_co_u32 v6, vcc_lo, v4, 38
	v_add3_u32 v40, v17, v40, v14
	v_add3_u32 v56, v17, v56, v14
	v_mul_lo_u32 v21, s11, v16
	v_add3_u32 v104, v8, v104, v7
	v_add3_u32 v106, v8, v106, v7
	v_add_co_ci_u32_e64 v7, null, 0, v5, vcc_lo
	v_mul_lo_u32 v8, s11, v6
	v_mad_u64_u32 v[107:108], null, s10, v6, s[12:13]
	v_mul_lo_u32 v7, s10, v7
	v_mad_u64_u32 v[109:110], null, s10, v6, s[14:15]
	v_add_co_u32 v6, vcc_lo, v4, 40
	v_mad_u64_u32 v[57:58], null, s10, v16, s[14:15]
	v_mul_lo_u32 v18, s10, v18
	v_add3_u32 v108, v8, v108, v7
	v_add3_u32 v110, v8, v110, v7
	v_add_co_ci_u32_e64 v7, null, 0, v5, vcc_lo
	v_mul_lo_u32 v8, s11, v6
	v_mad_u64_u32 v[111:112], null, s10, v6, s[12:13]
	v_mul_lo_u32 v7, s10, v7
	v_mad_u64_u32 v[113:114], null, s10, v6, s[14:15]
	v_add_co_u32 v6, vcc_lo, v4, 42
	v_mad_u64_u32 v[43:44], null, s10, v19, s[12:13]
	v_mul_lo_u32 v22, s11, v19
	v_add3_u32 v112, v8, v112, v7
	v_add3_u32 v114, v8, v114, v7
	v_add_co_ci_u32_e64 v7, null, 0, v5, vcc_lo
	v_mul_lo_u32 v8, s11, v6
	v_mad_u64_u32 v[115:116], null, s10, v6, s[12:13]
	v_mul_lo_u32 v7, s10, v7
	v_mad_u64_u32 v[117:118], null, s10, v6, s[14:15]
	v_add_co_u32 v6, vcc_lo, v4, 44
	v_add3_u32 v42, v21, v42, v18
	v_mad_u64_u32 v[61:62], null, s10, v19, s[14:15]
	v_add3_u32 v116, v8, v116, v7
	v_add3_u32 v118, v8, v118, v7
	v_add_co_ci_u32_e64 v7, null, 0, v5, vcc_lo
	v_mul_lo_u32 v8, s11, v6
	v_mad_u64_u32 v[119:120], null, s10, v6, s[12:13]
	v_mul_lo_u32 v7, s10, v7
	v_mad_u64_u32 v[121:122], null, s10, v6, s[14:15]
	v_add_co_u32 v6, vcc_lo, v4, 46
	v_add3_u32 v58, v21, v58, v18
	v_mul_lo_u32 v20, s10, v20
	s_load_dword s1, s[4:5], 0x44
	v_add3_u32 v120, v8, v120, v7
	v_add3_u32 v122, v8, v122, v7
	v_add_co_ci_u32_e64 v7, null, 0, v5, vcc_lo
	v_mul_lo_u32 v8, s11, v6
	v_mad_u64_u32 v[123:124], null, s10, v6, s[12:13]
	v_mul_lo_u32 v7, s10, v7
	v_mad_u64_u32 v[125:126], null, s10, v6, s[14:15]
	v_add_co_u32 v6, vcc_lo, v4, 48
	v_add3_u32 v44, v22, v44, v20
	v_add3_u32 v62, v22, v62, v20
	s_mov_b64 s[22:23], s[20:21]
	v_add3_u32 v124, v8, v124, v7
	v_add3_u32 v126, v8, v126, v7
	v_add_co_ci_u32_e64 v7, null, 0, v5, vcc_lo
	v_mul_lo_u32 v8, s11, v6
	v_mad_u64_u32 v[127:128], null, s10, v6, s[12:13]
	v_mul_lo_u32 v7, s10, v7
	v_mad_u64_u32 v[129:130], null, s10, v6, s[14:15]
	v_add_co_u32 v6, vcc_lo, v4, 50
	s_waitcnt lgkmcnt(0)
	s_lshl_b32 s1, s1, 5
	v_add3_u32 v128, v8, v128, v7
	v_add3_u32 v130, v8, v130, v7
	v_add_co_ci_u32_e64 v7, null, 0, v5, vcc_lo
	v_mul_lo_u32 v8, s11, v6
	v_mad_u64_u32 v[131:132], null, s10, v6, s[12:13]
	v_mul_lo_u32 v7, s10, v7
	v_mad_u64_u32 v[133:134], null, s10, v6, s[14:15]
	v_add_co_u32 v6, vcc_lo, v4, 52
	v_add3_u32 v132, v8, v132, v7
	v_add3_u32 v134, v8, v134, v7
	v_add_co_ci_u32_e64 v7, null, 0, v5, vcc_lo
	v_mul_lo_u32 v8, s11, v6
	v_mad_u64_u32 v[135:136], null, s10, v6, s[12:13]
	v_mul_lo_u32 v7, s10, v7
	v_mad_u64_u32 v[137:138], null, s10, v6, s[14:15]
	v_add_co_u32 v6, vcc_lo, v4, 54
	;; [unrolled: 8-line block ×5, first 2 shown]
	v_add3_u32 v148, v8, v148, v7
	v_add3_u32 v150, v8, v150, v7
	v_add_co_ci_u32_e64 v7, null, 0, v5, vcc_lo
	v_add_co_u32 v4, vcc_lo, v4, 62
	v_add_co_ci_u32_e64 v5, null, 0, v5, vcc_lo
	v_mul_lo_u32 v8, s11, v6
	v_mad_u64_u32 v[151:152], null, s10, v6, s[12:13]
	v_mad_u64_u32 v[153:154], null, s10, v6, s[14:15]
	v_mul_lo_u32 v5, s10, v5
	v_mul_lo_u32 v6, s11, v4
	v_mad_u64_u32 v[155:156], null, s10, v4, s[12:13]
	v_mad_u64_u32 v[157:158], null, s10, v4, s[14:15]
	v_mul_lo_u32 v7, s10, v7
	v_add_co_u32 v4, vcc_lo, v0, 31
	v_add3_u32 v156, v6, v156, v5
	v_add3_u32 v158, v6, v158, v5
	v_add_co_ci_u32_e64 v5, null, 0, v1, vcc_lo
	v_add3_u32 v152, v8, v152, v7
	v_add3_u32 v154, v8, v154, v7
	v_mul_lo_u32 v7, s11, v4
	v_mul_lo_u32 v6, s10, v5
	v_mad_u64_u32 v[4:5], null, s10, v4, 0
	v_add3_u32 v5, v5, v6, v7
	v_add_co_u32 v6, vcc_lo, v0, 30
	v_add_co_ci_u32_e64 v7, null, 0, v1, vcc_lo
	v_mul_lo_u32 v9, s11, v6
	v_mul_lo_u32 v8, s10, v7
	v_mad_u64_u32 v[6:7], null, s10, v6, 0
	v_add3_u32 v7, v7, v8, v9
	v_add_co_u32 v8, vcc_lo, v0, 29
	v_add_co_ci_u32_e64 v9, null, 0, v1, vcc_lo
	;; [unrolled: 6-line block ×15, first 2 shown]
	v_mul_lo_u32 v162, s11, v34
	v_mul_lo_u32 v161, s10, v159
	v_mad_u64_u32 v[159:160], null, s10, v34, 0
	v_add_co_u32 v34, vcc_lo, v0, 15
	v_mul_lo_u32 v164, s11, v34
	v_add3_u32 v160, v160, v161, v162
	v_add_co_ci_u32_e64 v161, null, 0, v1, vcc_lo
	v_mul_lo_u32 v163, s10, v161
	v_mad_u64_u32 v[161:162], null, s10, v34, 0
	v_add_co_u32 v34, vcc_lo, v0, 14
	v_mad_u64_u32 v[168:169], null, s10, v34, 0
	v_add3_u32 v162, v162, v163, v164
	v_add_co_ci_u32_e64 v163, null, 0, v1, vcc_lo
	v_mul_lo_u32 v164, s11, v34
	v_add_co_u32 v34, vcc_lo, v0, 13
	v_mul_lo_u32 v163, s10, v163
	v_mad_u64_u32 v[170:171], null, s10, v34, 0
	v_add3_u32 v169, v169, v163, v164
	v_add_co_ci_u32_e64 v163, null, 0, v1, vcc_lo
	v_mul_lo_u32 v164, s11, v34
	v_add_co_u32 v34, vcc_lo, v0, 12
	v_mul_lo_u32 v163, s10, v163
	;; [unrolled: 6-line block ×11, first 2 shown]
	v_mad_u64_u32 v[190:191], null, s10, v34, 0
	v_add3_u32 v189, v189, v163, v164
	v_add_co_ci_u32_e64 v163, null, 0, v1, vcc_lo
	v_add_co_u32 v0, vcc_lo, v0, 2
	v_add_co_ci_u32_e64 v1, null, 0, v1, vcc_lo
	v_mul_lo_u32 v164, s11, v34
	v_mul_lo_u32 v34, s11, v0
	v_mad_u64_u32 v[193:194], null, s10, v0, 0
	v_mul_lo_u32 v1, s10, v1
	v_mul_lo_u32 v163, s10, v163
	v_add_co_u32 v197, vcc_lo, v2, s10
	v_add_co_ci_u32_e64 v198, null, s11, v3, vcc_lo
	v_add3_u32 v194, v194, v1, v34
	v_lshlrev_b64 v[0:1], 1, v[2:3]
	v_add3_u32 v191, v191, v163, v164
	v_add_co_u32 v164, vcc_lo, s12, v0
	v_add_co_ci_u32_e64 v165, null, s13, v1, vcc_lo
	v_add_co_u32 v166, vcc_lo, s14, v0
	v_add_co_ci_u32_e64 v167, null, s15, v1, vcc_lo
	v_lshlrev_b64 v[0:1], 1, v[4:5]
	v_mov_b32_e32 v4, v227
	v_add_co_u32 v2, vcc_lo, s12, v0
	buffer_store_dword v4, off, s[36:39], 0 offset:300 ; 4-byte Folded Spill
	buffer_store_dword v2, off, s[36:39], 0 ; 4-byte Folded Spill
	v_add_co_ci_u32_e64 v2, null, s13, v1, vcc_lo
	v_add_co_u32 v0, vcc_lo, s14, v0
	buffer_store_dword v2, off, s[36:39], 0 offset:4 ; 4-byte Folded Spill
	buffer_store_dword v0, off, s[36:39], 0 offset:8 ; 4-byte Folded Spill
	v_add_co_ci_u32_e64 v0, null, s15, v1, vcc_lo
	buffer_store_dword v0, off, s[36:39], 0 offset:12 ; 4-byte Folded Spill
	v_lshlrev_b64 v[0:1], 1, v[6:7]
	v_add_co_u32 v2, vcc_lo, s12, v0
	buffer_store_dword v2, off, s[36:39], 0 offset:16 ; 4-byte Folded Spill
	v_add_co_ci_u32_e64 v2, null, s13, v1, vcc_lo
	v_add_co_u32 v0, vcc_lo, s14, v0
	buffer_store_dword v2, off, s[36:39], 0 offset:20 ; 4-byte Folded Spill
	buffer_store_dword v0, off, s[36:39], 0 offset:24 ; 4-byte Folded Spill
	v_add_co_ci_u32_e64 v0, null, s15, v1, vcc_lo
	buffer_store_dword v0, off, s[36:39], 0 offset:28 ; 4-byte Folded Spill
	v_lshlrev_b64 v[0:1], 1, v[8:9]
	v_add_co_u32 v2, vcc_lo, s12, v0
	buffer_store_dword v2, off, s[36:39], 0 offset:32 ; 4-byte Folded Spill
	;; [unrolled: 9-line block ×14, first 2 shown]
	v_add_co_ci_u32_e64 v2, null, s13, v1, vcc_lo
	v_add_co_u32 v226, vcc_lo, s14, v0
	v_add_co_ci_u32_e64 v227, null, s15, v1, vcc_lo
	v_lshlrev_b64 v[0:1], 1, v[159:160]
	buffer_store_dword v2, off, s[36:39], 0 offset:228 ; 4-byte Folded Spill
	v_add_co_u32 v228, vcc_lo, s12, v0
	v_add_co_ci_u32_e64 v229, null, s13, v1, vcc_lo
	v_add_co_u32 v230, vcc_lo, s14, v0
	v_add_co_ci_u32_e64 v231, null, s15, v1, vcc_lo
	v_lshlrev_b64 v[0:1], 1, v[161:162]
	v_add_co_u32 v232, vcc_lo, s12, v0
	v_add_co_ci_u32_e64 v233, null, s13, v1, vcc_lo
	v_add_co_u32 v234, vcc_lo, s14, v0
	v_add_co_ci_u32_e64 v235, null, s15, v1, vcc_lo
	v_lshlrev_b64 v[0:1], 1, v[168:169]
	;; [unrolled: 5-line block ×15, first 2 shown]
	v_add_co_u32 v197, vcc_lo, s12, v2
	v_add_co_ci_u32_e64 v198, null, s13, v3, vcc_lo
	v_add_co_u32 v199, vcc_lo, s14, v2
	v_mov_b32_e32 v2, 0
	v_add_co_ci_u32_e64 v200, null, s15, v3, vcc_lo
	v_add_nc_u32_e32 v3, s7, v4
	s_mul_i32 s7, s11, s1
	v_mov_b32_e32 v4, v2
	s_mul_hi_u32 s12, s10, s1
	v_mov_b32_e32 v202, v2
	s_add_i32 s13, s12, s7
	s_mul_i32 s12, s10, s1
	v_lshlrev_b64 v[159:160], 1, v[3:4]
	s_lshl_b64 s[12:13], s[12:13], 1
	s_mov_b64 s[14:15], 31
.LBB84_145:                             ; =>This Inner Loop Header: Depth=1
	s_add_u32 s24, s20, s14
	s_addc_u32 s25, 0, s15
	v_add_co_u32 v161, vcc_lo, s20, v225
	v_cmp_ge_i64_e64 s7, s[24:25], s[8:9]
	v_add_co_ci_u32_e64 v162, null, 0, v202, vcc_lo
                                        ; implicit-def: $vgpr201
                                        ; implicit-def: $vgpr203
	s_and_b32 vcc_lo, exec_lo, s7
	s_mov_b32 s7, -1
	s_cbranch_vccz .LBB84_213
; %bb.146:                              ;   in Loop: Header=BB84_145 Depth=1
	s_load_dword s7, s[2:3], 0xc
	s_clause 0x2
	buffer_load_dword v3, off, s[36:39], 0 offset:292
	buffer_load_dword v4, off, s[36:39], 0 offset:296
	;; [unrolled: 1-line block ×3, first 2 shown]
	v_mov_b32_e32 v5, 0
	v_mov_b32_e32 v201, 0
	;; [unrolled: 1-line block ×3, first 2 shown]
	buffer_store_dword v5, off, s[36:39], 0 offset:232 ; 4-byte Folded Spill
	s_waitcnt lgkmcnt(0)
	s_and_b32 s7, s7, 0xffff
	s_waitcnt vmcnt(0)
	v_mad_u32_u24 v3, v3, s7, v4
	s_mov_b32 s7, exec_lo
	v_and_b32_e32 v3, 31, v3
	v_add_co_u32 v3, vcc_lo, v161, v3
	v_add_co_ci_u32_e64 v4, null, 0, v162, vcc_lo
	v_cmpx_gt_i64_e64 s[8:9], v[3:4]
	s_cbranch_execz .LBB84_148
; %bb.147:                              ;   in Loop: Header=BB84_145 Depth=1
	v_lshlrev_b64 v[3:4], 2, v[3:4]
	v_add_co_u32 v5, vcc_lo, s16, v3
	v_add_co_ci_u32_e64 v6, null, s17, v4, vcc_lo
	v_add_co_u32 v3, vcc_lo, s18, v3
	v_add_co_ci_u32_e64 v4, null, s19, v4, vcc_lo
	global_load_dword v205, v[5:6], off
	global_load_dword v201, v[3:4], off
.LBB84_148:                             ;   in Loop: Header=BB84_145 Depth=1
	s_or_b32 exec_lo, exec_lo, s7
	v_mov_b32_e32 v33, v2
	v_mov_b32_e32 v3, v2
	;; [unrolled: 1-line block ×63, first 2 shown]
	s_mov_b32 s7, exec_lo
	v_cmpx_gt_i64_e64 s[8:9], v[161:162]
	s_cbranch_execz .LBB84_150
; %bb.149:                              ;   in Loop: Header=BB84_145 Depth=1
	v_add_co_u32 v3, vcc_lo, v164, v159
	v_add_co_ci_u32_e64 v4, null, v165, v160, vcc_lo
	v_add_co_u32 v5, vcc_lo, v166, v159
	v_add_co_ci_u32_e64 v6, null, v167, v160, vcc_lo
	global_load_ushort v3, v[3:4], off
	global_load_ushort v203, v[5:6], off
	v_mov_b32_e32 v4, v2
	v_mov_b32_e32 v5, v2
	;; [unrolled: 1-line block ×31, first 2 shown]
	s_waitcnt vmcnt(1)
	v_cvt_f32_f16_e32 v3, v3
	s_waitcnt vmcnt(0)
	v_cvt_f32_f16_e32 v203, v203
	buffer_store_dword v203, off, s[36:39], 0 offset:232 ; 4-byte Folded Spill
.LBB84_150:                             ;   in Loop: Header=BB84_145 Depth=1
	s_or_b32 exec_lo, exec_lo, s7
	v_mov_b32_e32 v203, 0
	v_add_co_u32 v206, vcc_lo, v161, 1
	v_add_co_ci_u32_e64 v207, null, 0, v162, vcc_lo
	buffer_store_dword v203, off, s[36:39], 0 offset:236 ; 4-byte Folded Spill
	v_mov_b32_e32 v203, 0
	s_mov_b32 s7, exec_lo
	buffer_store_dword v203, off, s[36:39], 0 offset:240 ; 4-byte Folded Spill
	v_cmpx_gt_i64_e64 s[8:9], v[206:207]
	s_cbranch_execz .LBB84_152
; %bb.151:                              ;   in Loop: Header=BB84_145 Depth=1
	v_add_co_u32 v206, vcc_lo, v197, v159
	v_add_co_ci_u32_e64 v207, null, v198, v160, vcc_lo
	v_add_co_u32 v208, vcc_lo, v199, v159
	v_add_co_ci_u32_e64 v209, null, v200, v160, vcc_lo
	global_load_ushort v4, v[206:207], off
	global_load_ushort v203, v[208:209], off
	s_waitcnt vmcnt(1)
	v_cvt_f32_f16_e32 v4, v4
	s_waitcnt vmcnt(0)
	v_cvt_f32_f16_e32 v203, v203
	buffer_store_dword v203, off, s[36:39], 0 offset:240 ; 4-byte Folded Spill
.LBB84_152:                             ;   in Loop: Header=BB84_145 Depth=1
	s_or_b32 exec_lo, exec_lo, s7
	v_add_co_u32 v206, vcc_lo, v161, 2
	v_add_co_ci_u32_e64 v207, null, 0, v162, vcc_lo
	s_mov_b32 s7, exec_lo
	v_cmpx_gt_i64_e64 s[8:9], v[206:207]
	s_cbranch_execz .LBB84_154
; %bb.153:                              ;   in Loop: Header=BB84_145 Depth=1
	v_add_co_u32 v206, vcc_lo, v193, v159
	v_add_co_ci_u32_e64 v207, null, v194, v160, vcc_lo
	v_add_co_u32 v208, vcc_lo, v195, v159
	v_add_co_ci_u32_e64 v209, null, v196, v160, vcc_lo
	global_load_ushort v5, v[206:207], off
	global_load_ushort v206, v[208:209], off
	s_waitcnt vmcnt(1)
	v_cvt_f32_f16_e32 v5, v5
	s_waitcnt vmcnt(0)
	v_cvt_f32_f16_e32 v203, v206
	buffer_store_dword v203, off, s[36:39], 0 offset:236 ; 4-byte Folded Spill
.LBB84_154:                             ;   in Loop: Header=BB84_145 Depth=1
	s_or_b32 exec_lo, exec_lo, s7
	v_mov_b32_e32 v203, 0
	v_add_co_u32 v206, vcc_lo, v161, 3
	v_add_co_ci_u32_e64 v207, null, 0, v162, vcc_lo
	buffer_store_dword v203, off, s[36:39], 0 offset:244 ; 4-byte Folded Spill
	v_mov_b32_e32 v203, 0
	s_mov_b32 s7, exec_lo
	buffer_store_dword v203, off, s[36:39], 0 offset:248 ; 4-byte Folded Spill
	v_cmpx_gt_i64_e64 s[8:9], v[206:207]
	s_cbranch_execz .LBB84_156
; %bb.155:                              ;   in Loop: Header=BB84_145 Depth=1
	v_add_co_u32 v206, vcc_lo, v189, v159
	v_add_co_ci_u32_e64 v207, null, v190, v160, vcc_lo
	v_add_co_u32 v208, vcc_lo, v191, v159
	v_add_co_ci_u32_e64 v209, null, v192, v160, vcc_lo
	global_load_ushort v6, v[206:207], off
	global_load_ushort v206, v[208:209], off
	s_waitcnt vmcnt(1)
	v_cvt_f32_f16_e32 v6, v6
	s_waitcnt vmcnt(0)
	v_cvt_f32_f16_e32 v203, v206
	buffer_store_dword v203, off, s[36:39], 0 offset:248 ; 4-byte Folded Spill
.LBB84_156:                             ;   in Loop: Header=BB84_145 Depth=1
	s_or_b32 exec_lo, exec_lo, s7
	v_add_co_u32 v206, vcc_lo, v161, 4
	v_add_co_ci_u32_e64 v207, null, 0, v162, vcc_lo
	s_mov_b32 s7, exec_lo
	v_cmpx_gt_i64_e64 s[8:9], v[206:207]
	s_cbranch_execz .LBB84_158
; %bb.157:                              ;   in Loop: Header=BB84_145 Depth=1
	v_add_co_u32 v206, vcc_lo, v185, v159
	v_add_co_ci_u32_e64 v207, null, v186, v160, vcc_lo
	v_add_co_u32 v208, vcc_lo, v187, v159
	v_add_co_ci_u32_e64 v209, null, v188, v160, vcc_lo
	global_load_ushort v7, v[206:207], off
	global_load_ushort v206, v[208:209], off
	s_waitcnt vmcnt(1)
	v_cvt_f32_f16_e32 v7, v7
	s_waitcnt vmcnt(0)
	v_cvt_f32_f16_e32 v203, v206
	buffer_store_dword v203, off, s[36:39], 0 offset:244 ; 4-byte Folded Spill
.LBB84_158:                             ;   in Loop: Header=BB84_145 Depth=1
	;; [unrolled: 42-line block ×7, first 2 shown]
	s_or_b32 exec_lo, exec_lo, s7
	v_add_co_u32 v206, vcc_lo, v161, 15
	v_add_co_ci_u32_e64 v207, null, 0, v162, vcc_lo
	v_mov_b32_e32 v208, 0
	v_cmp_gt_i64_e32 vcc_lo, s[8:9], v[206:207]
	v_mov_b32_e32 v207, 0
	s_and_saveexec_b32 s7, vcc_lo
	s_cbranch_execz .LBB84_180
; %bb.179:                              ;   in Loop: Header=BB84_145 Depth=1
	v_add_co_u32 v208, vcc_lo, v232, v159
	v_add_co_ci_u32_e64 v209, null, v233, v160, vcc_lo
	v_add_co_u32 v210, vcc_lo, v234, v159
	v_add_co_ci_u32_e64 v211, null, v235, v160, vcc_lo
	global_load_ushort v18, v[208:209], off
	global_load_ushort v206, v[210:211], off
	s_waitcnt vmcnt(1)
	v_cvt_f32_f16_e32 v18, v18
	s_waitcnt vmcnt(0)
	v_cvt_f32_f16_e32 v208, v206
.LBB84_180:                             ;   in Loop: Header=BB84_145 Depth=1
	s_or_b32 exec_lo, exec_lo, s7
	v_add_co_u32 v209, vcc_lo, v161, 16
	v_add_co_ci_u32_e64 v210, null, 0, v162, vcc_lo
	s_mov_b32 s7, exec_lo
	v_cmpx_gt_i64_e64 s[8:9], v[209:210]
	s_cbranch_execz .LBB84_182
; %bb.181:                              ;   in Loop: Header=BB84_145 Depth=1
	v_add_co_u32 v206, vcc_lo, v228, v159
	v_add_co_ci_u32_e64 v207, null, v229, v160, vcc_lo
	v_add_co_u32 v209, vcc_lo, v230, v159
	v_add_co_ci_u32_e64 v210, null, v231, v160, vcc_lo
	global_load_ushort v19, v[206:207], off
	global_load_ushort v206, v[209:210], off
	s_waitcnt vmcnt(1)
	v_cvt_f32_f16_e32 v19, v19
	s_waitcnt vmcnt(0)
	v_cvt_f32_f16_e32 v207, v206
.LBB84_182:                             ;   in Loop: Header=BB84_145 Depth=1
	s_or_b32 exec_lo, exec_lo, s7
	v_add_co_u32 v209, vcc_lo, v161, 17
	v_add_co_ci_u32_e64 v210, null, 0, v162, vcc_lo
	v_cmp_gt_i64_e32 vcc_lo, s[8:9], v[209:210]
	v_mov_b32_e32 v209, 0
	v_mov_b32_e32 v210, 0
	s_and_saveexec_b32 s7, vcc_lo
	s_cbranch_execz .LBB84_184
; %bb.183:                              ;   in Loop: Header=BB84_145 Depth=1
	buffer_load_dword v20, off, s[36:39], 0 offset:224 ; 4-byte Folded Reload
	s_waitcnt vmcnt(0)
	v_add_co_u32 v210, vcc_lo, v20, v159
	buffer_load_dword v20, off, s[36:39], 0 offset:228 ; 4-byte Folded Reload
	s_waitcnt vmcnt(0)
	v_add_co_ci_u32_e64 v211, null, v20, v160, vcc_lo
	v_add_co_u32 v212, vcc_lo, v226, v159
	v_add_co_ci_u32_e64 v213, null, v227, v160, vcc_lo
	global_load_ushort v20, v[210:211], off
	global_load_ushort v206, v[212:213], off
	s_waitcnt vmcnt(1)
	v_cvt_f32_f16_e32 v20, v20
	s_waitcnt vmcnt(0)
	v_cvt_f32_f16_e32 v210, v206
.LBB84_184:                             ;   in Loop: Header=BB84_145 Depth=1
	s_or_b32 exec_lo, exec_lo, s7
	v_add_co_u32 v211, vcc_lo, v161, 18
	v_add_co_ci_u32_e64 v212, null, 0, v162, vcc_lo
	s_mov_b32 s7, exec_lo
	v_cmpx_gt_i64_e64 s[8:9], v[211:212]
	s_cbranch_execz .LBB84_186
; %bb.185:                              ;   in Loop: Header=BB84_145 Depth=1
	buffer_load_dword v21, off, s[36:39], 0 offset:208 ; 4-byte Folded Reload
	s_waitcnt vmcnt(0)
	v_add_co_u32 v211, vcc_lo, v21, v159
	buffer_load_dword v21, off, s[36:39], 0 offset:212 ; 4-byte Folded Reload
	s_waitcnt vmcnt(0)
	v_add_co_ci_u32_e64 v212, null, v21, v160, vcc_lo
	buffer_load_dword v21, off, s[36:39], 0 offset:216 ; 4-byte Folded Reload
	s_waitcnt vmcnt(0)
	v_add_co_u32 v213, vcc_lo, v21, v159
	buffer_load_dword v21, off, s[36:39], 0 offset:220 ; 4-byte Folded Reload
	s_waitcnt vmcnt(0)
	v_add_co_ci_u32_e64 v214, null, v21, v160, vcc_lo
	global_load_ushort v21, v[211:212], off
	global_load_ushort v206, v[213:214], off
	s_waitcnt vmcnt(1)
	v_cvt_f32_f16_e32 v21, v21
	s_waitcnt vmcnt(0)
	v_cvt_f32_f16_e32 v209, v206
.LBB84_186:                             ;   in Loop: Header=BB84_145 Depth=1
	s_or_b32 exec_lo, exec_lo, s7
	v_add_co_u32 v211, vcc_lo, v161, 19
	v_add_co_ci_u32_e64 v212, null, 0, v162, vcc_lo
	v_mov_b32_e32 v206, 0
	v_cmp_gt_i64_e32 vcc_lo, s[8:9], v[211:212]
	v_mov_b32_e32 v211, 0
	s_and_saveexec_b32 s7, vcc_lo
	s_cbranch_execz .LBB84_188
; %bb.187:                              ;   in Loop: Header=BB84_145 Depth=1
	buffer_load_dword v22, off, s[36:39], 0 offset:192 ; 4-byte Folded Reload
	s_waitcnt vmcnt(0)
	v_add_co_u32 v211, vcc_lo, v22, v159
	buffer_load_dword v22, off, s[36:39], 0 offset:196 ; 4-byte Folded Reload
	s_waitcnt vmcnt(0)
	v_add_co_ci_u32_e64 v212, null, v22, v160, vcc_lo
	buffer_load_dword v22, off, s[36:39], 0 offset:200 ; 4-byte Folded Reload
	s_waitcnt vmcnt(0)
	v_add_co_u32 v213, vcc_lo, v22, v159
	buffer_load_dword v22, off, s[36:39], 0 offset:204 ; 4-byte Folded Reload
	s_waitcnt vmcnt(0)
	v_add_co_ci_u32_e64 v214, null, v22, v160, vcc_lo
	global_load_ushort v22, v[211:212], off
	global_load_ushort v211, v[213:214], off
	s_waitcnt vmcnt(1)
	v_cvt_f32_f16_e32 v22, v22
	s_waitcnt vmcnt(0)
	v_cvt_f32_f16_e32 v211, v211
.LBB84_188:                             ;   in Loop: Header=BB84_145 Depth=1
	s_or_b32 exec_lo, exec_lo, s7
	v_add_co_u32 v212, vcc_lo, v161, 20
	v_add_co_ci_u32_e64 v213, null, 0, v162, vcc_lo
	s_mov_b32 s7, exec_lo
	v_cmpx_gt_i64_e64 s[8:9], v[212:213]
	s_cbranch_execz .LBB84_190
; %bb.189:                              ;   in Loop: Header=BB84_145 Depth=1
	buffer_load_dword v23, off, s[36:39], 0 offset:176 ; 4-byte Folded Reload
	s_waitcnt vmcnt(0)
	v_add_co_u32 v212, vcc_lo, v23, v159
	buffer_load_dword v23, off, s[36:39], 0 offset:180 ; 4-byte Folded Reload
	s_waitcnt vmcnt(0)
	v_add_co_ci_u32_e64 v213, null, v23, v160, vcc_lo
	buffer_load_dword v23, off, s[36:39], 0 offset:184 ; 4-byte Folded Reload
	s_waitcnt vmcnt(0)
	v_add_co_u32 v214, vcc_lo, v23, v159
	buffer_load_dword v23, off, s[36:39], 0 offset:188 ; 4-byte Folded Reload
	s_waitcnt vmcnt(0)
	v_add_co_ci_u32_e64 v215, null, v23, v160, vcc_lo
	global_load_ushort v23, v[212:213], off
	global_load_ushort v206, v[214:215], off
	s_waitcnt vmcnt(1)
	v_cvt_f32_f16_e32 v23, v23
	s_waitcnt vmcnt(0)
	v_cvt_f32_f16_e32 v206, v206
.LBB84_190:                             ;   in Loop: Header=BB84_145 Depth=1
	s_or_b32 exec_lo, exec_lo, s7
	v_add_co_u32 v212, vcc_lo, v161, 21
	v_add_co_ci_u32_e64 v213, null, 0, v162, vcc_lo
	v_mov_b32_e32 v215, 0
	v_cmp_gt_i64_e32 vcc_lo, s[8:9], v[212:213]
	v_mov_b32_e32 v213, 0
	s_and_saveexec_b32 s7, vcc_lo
	s_cbranch_execz .LBB84_192
; %bb.191:                              ;   in Loop: Header=BB84_145 Depth=1
	buffer_load_dword v24, off, s[36:39], 0 offset:160 ; 4-byte Folded Reload
	s_waitcnt vmcnt(0)
	v_add_co_u32 v214, vcc_lo, v24, v159
	buffer_load_dword v24, off, s[36:39], 0 offset:164 ; 4-byte Folded Reload
	s_waitcnt vmcnt(0)
	v_add_co_ci_u32_e64 v215, null, v24, v160, vcc_lo
	buffer_load_dword v24, off, s[36:39], 0 offset:168 ; 4-byte Folded Reload
	s_waitcnt vmcnt(0)
	v_add_co_u32 v216, vcc_lo, v24, v159
	buffer_load_dword v24, off, s[36:39], 0 offset:172 ; 4-byte Folded Reload
	s_waitcnt vmcnt(0)
	v_add_co_ci_u32_e64 v217, null, v24, v160, vcc_lo
	global_load_ushort v24, v[214:215], off
	global_load_ushort v212, v[216:217], off
	s_waitcnt vmcnt(1)
	v_cvt_f32_f16_e32 v24, v24
	s_waitcnt vmcnt(0)
	v_cvt_f32_f16_e32 v215, v212
.LBB84_192:                             ;   in Loop: Header=BB84_145 Depth=1
	;; [unrolled: 54-line block ×3, first 2 shown]
	s_or_b32 exec_lo, exec_lo, s7
	v_add_co_u32 v219, vcc_lo, v161, 24
	v_add_co_ci_u32_e64 v220, null, 0, v162, vcc_lo
	s_mov_b32 s7, exec_lo
	v_cmpx_gt_i64_e64 s[8:9], v[219:220]
	s_cbranch_execz .LBB84_198
; %bb.197:                              ;   in Loop: Header=BB84_145 Depth=1
	buffer_load_dword v27, off, s[36:39], 0 offset:112 ; 4-byte Folded Reload
	s_waitcnt vmcnt(0)
	v_add_co_u32 v216, vcc_lo, v27, v159
	buffer_load_dword v27, off, s[36:39], 0 offset:116 ; 4-byte Folded Reload
	s_waitcnt vmcnt(0)
	v_add_co_ci_u32_e64 v217, null, v27, v160, vcc_lo
	buffer_load_dword v27, off, s[36:39], 0 offset:120 ; 4-byte Folded Reload
	s_waitcnt vmcnt(0)
	v_add_co_u32 v219, vcc_lo, v27, v159
	buffer_load_dword v27, off, s[36:39], 0 offset:124 ; 4-byte Folded Reload
	s_waitcnt vmcnt(0)
	v_add_co_ci_u32_e64 v220, null, v27, v160, vcc_lo
	global_load_ushort v27, v[216:217], off
	global_load_ushort v212, v[219:220], off
	s_waitcnt vmcnt(1)
	v_cvt_f32_f16_e32 v27, v27
	s_waitcnt vmcnt(0)
	v_cvt_f32_f16_e32 v216, v212
.LBB84_198:                             ;   in Loop: Header=BB84_145 Depth=1
	s_or_b32 exec_lo, exec_lo, s7
	v_add_co_u32 v219, vcc_lo, v161, 25
	v_add_co_ci_u32_e64 v220, null, 0, v162, vcc_lo
	v_mov_b32_e32 v221, 0
	v_cmp_gt_i64_e32 vcc_lo, s[8:9], v[219:220]
	v_mov_b32_e32 v220, 0
	s_mov_b32 s7, exec_lo
	s_and_b32 s21, s7, vcc_lo
	buffer_store_dword v223, off, s[36:39], 0 offset:304 ; 4-byte Folded Spill
	s_mov_b32 exec_lo, s21
	s_cbranch_execz .LBB84_200
; %bb.199:                              ;   in Loop: Header=BB84_145 Depth=1
	buffer_load_dword v28, off, s[36:39], 0 offset:96 ; 4-byte Folded Reload
	s_waitcnt vmcnt(0)
	v_add_co_u32 v221, vcc_lo, v28, v159
	buffer_load_dword v28, off, s[36:39], 0 offset:100 ; 4-byte Folded Reload
	s_waitcnt vmcnt(0)
	v_add_co_ci_u32_e64 v222, null, v28, v160, vcc_lo
	buffer_load_dword v28, off, s[36:39], 0 offset:104 ; 4-byte Folded Reload
	s_waitcnt vmcnt(0)
	v_add_co_u32 v223, vcc_lo, v28, v159
	buffer_load_dword v28, off, s[36:39], 0 offset:108 ; 4-byte Folded Reload
	s_waitcnt vmcnt(0)
	v_add_co_ci_u32_e64 v224, null, v28, v160, vcc_lo
	global_load_ushort v28, v[221:222], off
	global_load_ushort v212, v[223:224], off
	s_waitcnt vmcnt(1)
	v_cvt_f32_f16_e32 v28, v28
	s_waitcnt vmcnt(0)
	v_cvt_f32_f16_e32 v221, v212
.LBB84_200:                             ;   in Loop: Header=BB84_145 Depth=1
	s_or_b32 exec_lo, exec_lo, s7
	v_add_co_u32 v222, vcc_lo, v161, 26
	v_add_co_ci_u32_e64 v223, null, 0, v162, vcc_lo
	s_mov_b32 s7, exec_lo
	v_cmpx_gt_i64_e64 s[8:9], v[222:223]
	s_cbranch_execz .LBB84_202
; %bb.201:                              ;   in Loop: Header=BB84_145 Depth=1
	buffer_load_dword v29, off, s[36:39], 0 offset:80 ; 4-byte Folded Reload
	s_waitcnt vmcnt(0)
	v_add_co_u32 v219, vcc_lo, v29, v159
	buffer_load_dword v29, off, s[36:39], 0 offset:84 ; 4-byte Folded Reload
	s_waitcnt vmcnt(0)
	v_add_co_ci_u32_e64 v220, null, v29, v160, vcc_lo
	buffer_load_dword v29, off, s[36:39], 0 offset:88 ; 4-byte Folded Reload
	s_waitcnt vmcnt(0)
	v_add_co_u32 v222, vcc_lo, v29, v159
	buffer_load_dword v29, off, s[36:39], 0 offset:92 ; 4-byte Folded Reload
	s_waitcnt vmcnt(0)
	v_add_co_ci_u32_e64 v223, null, v29, v160, vcc_lo
	global_load_ushort v29, v[219:220], off
	global_load_ushort v212, v[222:223], off
	s_waitcnt vmcnt(1)
	v_cvt_f32_f16_e32 v29, v29
	s_waitcnt vmcnt(0)
	v_cvt_f32_f16_e32 v220, v212
.LBB84_202:                             ;   in Loop: Header=BB84_145 Depth=1
	s_or_b32 exec_lo, exec_lo, s7
	v_add_co_u32 v222, vcc_lo, v161, 27
	v_add_co_ci_u32_e64 v223, null, 0, v162, vcc_lo
	v_mov_b32_e32 v212, 0
	v_mov_b32_e32 v214, 0
	v_cmp_gt_i64_e32 vcc_lo, s[8:9], v[222:223]
	s_mov_b32 s7, exec_lo
	v_mov_b32_e32 v203, v225
	s_and_b32 s21, s7, vcc_lo
	s_mov_b32 exec_lo, s21
	s_cbranch_execz .LBB84_204
; %bb.203:                              ;   in Loop: Header=BB84_145 Depth=1
	buffer_load_dword v30, off, s[36:39], 0 offset:64 ; 4-byte Folded Reload
	s_waitcnt vmcnt(0)
	v_add_co_u32 v222, vcc_lo, v30, v159
	buffer_load_dword v30, off, s[36:39], 0 offset:68 ; 4-byte Folded Reload
	s_waitcnt vmcnt(0)
	v_add_co_ci_u32_e64 v223, null, v30, v160, vcc_lo
	buffer_load_dword v30, off, s[36:39], 0 offset:72 ; 4-byte Folded Reload
	s_waitcnt vmcnt(0)
	v_add_co_u32 v224, vcc_lo, v30, v159
	buffer_load_dword v30, off, s[36:39], 0 offset:76 ; 4-byte Folded Reload
	s_waitcnt vmcnt(0)
	v_add_co_ci_u32_e64 v225, null, v30, v160, vcc_lo
	global_load_ushort v30, v[222:223], off
	global_load_ushort v214, v[224:225], off
	v_mov_b32_e32 v225, v203
	s_waitcnt vmcnt(1)
	v_cvt_f32_f16_e32 v30, v30
	s_waitcnt vmcnt(0)
	v_cvt_f32_f16_e32 v214, v214
.LBB84_204:                             ;   in Loop: Header=BB84_145 Depth=1
	s_or_b32 exec_lo, exec_lo, s7
	v_add_co_u32 v222, vcc_lo, v161, 28
	v_add_co_ci_u32_e64 v223, null, 0, v162, vcc_lo
	s_mov_b32 s7, exec_lo
	v_cmpx_gt_i64_e64 s[8:9], v[222:223]
	s_cbranch_execz .LBB84_206
; %bb.205:                              ;   in Loop: Header=BB84_145 Depth=1
	buffer_load_dword v31, off, s[36:39], 0 offset:48 ; 4-byte Folded Reload
	s_waitcnt vmcnt(0)
	v_add_co_u32 v222, vcc_lo, v31, v159
	buffer_load_dword v31, off, s[36:39], 0 offset:52 ; 4-byte Folded Reload
	s_waitcnt vmcnt(0)
	v_add_co_ci_u32_e64 v223, null, v31, v160, vcc_lo
	buffer_load_dword v31, off, s[36:39], 0 offset:56 ; 4-byte Folded Reload
	s_waitcnt vmcnt(0)
	v_add_co_u32 v224, vcc_lo, v31, v159
	buffer_load_dword v31, off, s[36:39], 0 offset:60 ; 4-byte Folded Reload
	s_waitcnt vmcnt(0)
	v_add_co_ci_u32_e64 v225, null, v31, v160, vcc_lo
	global_load_ushort v31, v[222:223], off
	global_load_ushort v212, v[224:225], off
	v_mov_b32_e32 v225, v203
	s_waitcnt vmcnt(1)
	v_cvt_f32_f16_e32 v31, v31
	s_waitcnt vmcnt(0)
	v_cvt_f32_f16_e32 v212, v212
.LBB84_206:                             ;   in Loop: Header=BB84_145 Depth=1
	s_or_b32 exec_lo, exec_lo, s7
	v_add_co_u32 v222, vcc_lo, v161, 29
	v_add_co_ci_u32_e64 v223, null, 0, v162, vcc_lo
	v_mov_b32_e32 v217, 0
	v_mov_b32_e32 v219, 0
	s_mov_b32 s7, exec_lo
	v_cmpx_gt_i64_e64 s[8:9], v[222:223]
	s_cbranch_execz .LBB84_208
; %bb.207:                              ;   in Loop: Header=BB84_145 Depth=1
	buffer_load_dword v32, off, s[36:39], 0 offset:32 ; 4-byte Folded Reload
	s_waitcnt vmcnt(0)
	v_add_co_u32 v222, vcc_lo, v32, v159
	buffer_load_dword v32, off, s[36:39], 0 offset:36 ; 4-byte Folded Reload
	s_waitcnt vmcnt(0)
	v_add_co_ci_u32_e64 v223, null, v32, v160, vcc_lo
	buffer_load_dword v32, off, s[36:39], 0 offset:40 ; 4-byte Folded Reload
	s_waitcnt vmcnt(0)
	v_add_co_u32 v224, vcc_lo, v32, v159
	buffer_load_dword v32, off, s[36:39], 0 offset:44 ; 4-byte Folded Reload
	s_waitcnt vmcnt(0)
	v_add_co_ci_u32_e64 v225, null, v32, v160, vcc_lo
	global_load_ushort v32, v[222:223], off
	global_load_ushort v219, v[224:225], off
	v_mov_b32_e32 v225, v203
	s_waitcnt vmcnt(1)
	v_cvt_f32_f16_e32 v32, v32
	s_waitcnt vmcnt(0)
	v_cvt_f32_f16_e32 v219, v219
.LBB84_208:                             ;   in Loop: Header=BB84_145 Depth=1
	s_or_b32 exec_lo, exec_lo, s7
	v_add_co_u32 v222, vcc_lo, v161, 30
	v_add_co_ci_u32_e64 v223, null, 0, v162, vcc_lo
	s_mov_b32 s7, exec_lo
	v_cmpx_gt_i64_e64 s[8:9], v[222:223]
	s_cbranch_execz .LBB84_210
; %bb.209:                              ;   in Loop: Header=BB84_145 Depth=1
	buffer_load_dword v33, off, s[36:39], 0 offset:16 ; 4-byte Folded Reload
	s_waitcnt vmcnt(0)
	v_add_co_u32 v222, vcc_lo, v33, v159
	buffer_load_dword v33, off, s[36:39], 0 offset:20 ; 4-byte Folded Reload
	s_waitcnt vmcnt(0)
	v_add_co_ci_u32_e64 v223, null, v33, v160, vcc_lo
	buffer_load_dword v33, off, s[36:39], 0 offset:24 ; 4-byte Folded Reload
	s_waitcnt vmcnt(0)
	v_add_co_u32 v224, vcc_lo, v33, v159
	buffer_load_dword v33, off, s[36:39], 0 offset:28 ; 4-byte Folded Reload
	s_waitcnt vmcnt(0)
	v_add_co_ci_u32_e64 v225, null, v33, v160, vcc_lo
	global_load_ushort v33, v[222:223], off
	global_load_ushort v217, v[224:225], off
	v_mov_b32_e32 v225, v203
	s_waitcnt vmcnt(1)
	v_cvt_f32_f16_e32 v33, v33
	s_waitcnt vmcnt(0)
	v_cvt_f32_f16_e32 v217, v217
.LBB84_210:                             ;   in Loop: Header=BB84_145 Depth=1
	s_or_b32 exec_lo, exec_lo, s7
	v_add_co_u32 v222, vcc_lo, v161, 31
	v_add_co_ci_u32_e64 v223, null, 0, v162, vcc_lo
	v_cmp_gt_i64_e32 vcc_lo, s[8:9], v[222:223]
	v_mov_b32_e32 v222, 0
	s_and_saveexec_b32 s7, vcc_lo
	s_cbranch_execz .LBB84_212
; %bb.211:                              ;   in Loop: Header=BB84_145 Depth=1
	buffer_load_dword v34, off, s[36:39], 0 ; 4-byte Folded Reload
	s_waitcnt vmcnt(0)
	v_add_co_u32 v222, vcc_lo, v34, v159
	buffer_load_dword v34, off, s[36:39], 0 offset:4 ; 4-byte Folded Reload
	s_waitcnt vmcnt(0)
	v_add_co_ci_u32_e64 v223, null, v34, v160, vcc_lo
	buffer_load_dword v34, off, s[36:39], 0 offset:8 ; 4-byte Folded Reload
	s_waitcnt vmcnt(0)
	v_add_co_u32 v224, vcc_lo, v34, v159
	buffer_load_dword v34, off, s[36:39], 0 offset:12 ; 4-byte Folded Reload
	s_waitcnt vmcnt(0)
	v_add_co_ci_u32_e64 v225, null, v34, v160, vcc_lo
	global_load_ushort v34, v[222:223], off
	global_load_ushort v222, v[224:225], off
	v_mov_b32_e32 v225, v203
	s_waitcnt vmcnt(1)
	v_cvt_f32_f16_e32 v34, v34
	s_waitcnt vmcnt(0)
	v_cvt_f32_f16_e32 v222, v222
.LBB84_212:                             ;   in Loop: Header=BB84_145 Depth=1
	s_or_b32 exec_lo, exec_lo, s7
	buffer_load_dword v203, off, s[36:39], 0 offset:232 ; 4-byte Folded Reload
	s_waitcnt vmcnt(2)
	ds_bpermute_b32 v223, v2, v205
	ds_bpermute_b32 v224, v2, v205 offset:4
	s_mov_b32 s7, 0
	s_waitcnt vmcnt(0) lgkmcnt(1)
	v_sub_f32_e32 v223, v203, v223
	buffer_load_dword v203, off, s[36:39], 0 offset:240 ; 4-byte Folded Reload
	s_waitcnt vmcnt(0) lgkmcnt(0)
	v_sub_f32_e32 v224, v203, v224
	v_mul_f32_e32 v203, v3, v223
	ds_bpermute_b32 v223, v2, v201
	s_waitcnt lgkmcnt(0)
	v_fma_f32 v203, v203, v223, v204
	v_mul_f32_e32 v223, v4, v224
	ds_bpermute_b32 v224, v2, v201 offset:4
	s_waitcnt lgkmcnt(0)
	v_fmac_f32_e32 v203, v223, v224
	buffer_load_dword v224, off, s[36:39], 0 offset:236 ; 4-byte Folded Reload
	ds_bpermute_b32 v223, v2, v205 offset:8
	s_waitcnt vmcnt(0) lgkmcnt(0)
	v_sub_f32_e32 v223, v224, v223
	ds_bpermute_b32 v224, v2, v201 offset:8
	v_mul_f32_e32 v223, v5, v223
	s_waitcnt lgkmcnt(0)
	v_fmac_f32_e32 v203, v223, v224
	buffer_load_dword v224, off, s[36:39], 0 offset:248 ; 4-byte Folded Reload
	ds_bpermute_b32 v223, v2, v205 offset:12
	s_waitcnt vmcnt(0) lgkmcnt(0)
	v_sub_f32_e32 v223, v224, v223
	ds_bpermute_b32 v224, v2, v201 offset:12
	v_mul_f32_e32 v223, v6, v223
	;; [unrolled: 8-line block ×13, first 2 shown]
	s_waitcnt lgkmcnt(0)
	v_fmac_f32_e32 v203, v223, v224
	ds_bpermute_b32 v223, v2, v205 offset:60
	s_waitcnt lgkmcnt(0)
	v_sub_f32_e32 v208, v208, v223
	ds_bpermute_b32 v223, v2, v201 offset:60
	v_mul_f32_e32 v208, v18, v208
	s_waitcnt lgkmcnt(0)
	v_fmac_f32_e32 v203, v208, v223
	buffer_load_dword v223, off, s[36:39], 0 offset:304 ; 4-byte Folded Reload
	ds_bpermute_b32 v208, v2, v205 offset:64
	s_waitcnt lgkmcnt(0)
	v_sub_f32_e32 v207, v207, v208
	ds_bpermute_b32 v208, v2, v201 offset:64
	v_mul_f32_e32 v207, v19, v207
	s_waitcnt lgkmcnt(0)
	v_fmac_f32_e32 v203, v207, v208
	ds_bpermute_b32 v207, v2, v205 offset:68
	ds_bpermute_b32 v208, v2, v201 offset:68
	s_waitcnt lgkmcnt(1)
	v_sub_f32_e32 v207, v210, v207
	v_mul_f32_e32 v207, v20, v207
	s_waitcnt lgkmcnt(0)
	v_fmac_f32_e32 v203, v207, v208
	ds_bpermute_b32 v207, v2, v205 offset:72
	ds_bpermute_b32 v208, v2, v201 offset:72
	s_waitcnt lgkmcnt(1)
	v_sub_f32_e32 v207, v209, v207
	;; [unrolled: 7-line block ×3, first 2 shown]
	v_mul_f32_e32 v207, v22, v207
	s_waitcnt lgkmcnt(0)
	v_fmac_f32_e32 v203, v207, v208
	ds_bpermute_b32 v207, v2, v205 offset:80
	s_waitcnt lgkmcnt(0)
	v_sub_f32_e32 v206, v206, v207
	ds_bpermute_b32 v207, v2, v201 offset:80
	v_mul_f32_e32 v206, v23, v206
	s_waitcnt lgkmcnt(0)
	v_fmac_f32_e32 v203, v206, v207
	ds_bpermute_b32 v206, v2, v205 offset:84
	ds_bpermute_b32 v207, v2, v201 offset:84
	s_waitcnt lgkmcnt(1)
	v_sub_f32_e32 v206, v215, v206
	v_mul_f32_e32 v206, v24, v206
	s_waitcnt lgkmcnt(0)
	v_fmac_f32_e32 v203, v206, v207
	ds_bpermute_b32 v206, v2, v205 offset:88
	ds_bpermute_b32 v207, v2, v201 offset:88
	s_waitcnt lgkmcnt(1)
	v_sub_f32_e32 v206, v213, v206
	;; [unrolled: 7-line block ×4, first 2 shown]
	v_mul_f32_e32 v206, v27, v206
	s_waitcnt lgkmcnt(0)
	v_fmac_f32_e32 v203, v206, v207
	ds_bpermute_b32 v206, v2, v205 offset:100
	ds_bpermute_b32 v207, v2, v201 offset:100
	s_waitcnt vmcnt(0)
	v_add_f32_e32 v3, v223, v3
	s_waitcnt lgkmcnt(1)
	v_sub_f32_e32 v206, v221, v206
	v_add_f32_e32 v3, v4, v3
	ds_bpermute_b32 v4, v2, v205 offset:108
	v_mul_f32_e32 v206, v28, v206
	v_add_f32_e32 v3, v5, v3
	ds_bpermute_b32 v5, v2, v201 offset:108
	s_waitcnt lgkmcnt(2)
	v_fmac_f32_e32 v203, v206, v207
	ds_bpermute_b32 v206, v2, v205 offset:104
	ds_bpermute_b32 v207, v2, v201 offset:104
	v_add_f32_e32 v3, v6, v3
	ds_bpermute_b32 v6, v2, v205 offset:116
	v_add_f32_e32 v3, v7, v3
	;; [unrolled: 2-line block ×3, first 2 shown]
	s_waitcnt lgkmcnt(5)
	v_sub_f32_e32 v4, v214, v4
	ds_bpermute_b32 v8, v2, v201 offset:120
	v_add_f32_e32 v3, v9, v3
	v_mul_f32_e32 v4, v30, v4
	ds_bpermute_b32 v9, v2, v201 offset:124
	s_waitcnt lgkmcnt(5)
	v_sub_f32_e32 v206, v220, v206
	v_add_f32_e32 v3, v10, v3
	s_waitcnt lgkmcnt(3)
	v_sub_f32_e32 v6, v219, v6
	v_mul_f32_e32 v206, v29, v206
	v_add_f32_e32 v3, v11, v3
	v_mul_f32_e32 v6, v32, v6
	v_fmac_f32_e32 v203, v206, v207
	v_add_f32_e32 v3, v12, v3
	v_fmac_f32_e32 v203, v4, v5
	ds_bpermute_b32 v4, v2, v205 offset:112
	v_add_f32_e32 v3, v13, v3
	ds_bpermute_b32 v5, v2, v201 offset:112
	v_add_f32_e32 v3, v14, v3
	v_add_f32_e32 v3, v15, v3
	;; [unrolled: 1-line block ×3, first 2 shown]
	s_waitcnt lgkmcnt(1)
	v_sub_f32_e32 v4, v212, v4
	v_add_f32_e32 v3, v17, v3
	v_mul_f32_e32 v4, v31, v4
	v_add_f32_e32 v3, v18, v3
	s_waitcnt lgkmcnt(0)
	v_fmac_f32_e32 v203, v4, v5
	v_add_f32_e32 v3, v19, v3
	ds_bpermute_b32 v4, v2, v205 offset:120
	ds_bpermute_b32 v5, v2, v201 offset:116
	v_add_f32_e32 v3, v20, v3
	v_add_f32_e32 v3, v21, v3
	;; [unrolled: 1-line block ×4, first 2 shown]
	s_waitcnt lgkmcnt(1)
	v_sub_f32_e32 v4, v217, v4
	s_waitcnt lgkmcnt(0)
	v_fmac_f32_e32 v203, v6, v5
	v_sub_f32_e32 v5, v222, v7
	v_add_f32_e32 v3, v24, v3
	v_mul_f32_e32 v4, v33, v4
	v_add_f32_e32 v3, v25, v3
	v_fmac_f32_e32 v203, v4, v8
	v_mul_f32_e32 v4, v34, v5
	v_add_f32_e32 v3, v26, v3
	v_fmac_f32_e32 v203, v4, v9
	v_add_f32_e32 v3, v27, v3
	v_add_f32_e32 v3, v28, v3
	;; [unrolled: 1-line block ×8, first 2 shown]
.LBB84_213:                             ;   in Loop: Header=BB84_145 Depth=1
	s_and_b32 vcc_lo, exec_lo, s7
	s_cbranch_vccz .LBB84_217
; %bb.214:                              ;   in Loop: Header=BB84_145 Depth=1
	s_load_dword s7, s[2:3], 0x0
	v_mov_b32_e32 v6, 0
	s_waitcnt lgkmcnt(0)
	s_cmp_lt_u32 s6, s7
	s_cselect_b32 s7, 12, 18
	s_add_u32 s24, s2, s7
	s_addc_u32 s25, s3, 0
	s_mov_b32 s7, exec_lo
	global_load_ushort v3, v2, s[24:25]
	s_clause 0x2
	buffer_load_dword v4, off, s[36:39], 0 offset:292
	buffer_load_dword v5, off, s[36:39], 0 offset:296
	;; [unrolled: 1-line block ×3, first 2 shown]
	s_waitcnt vmcnt(0)
	v_mad_u32_u24 v3, v4, v3, v5
	v_mov_b32_e32 v5, 0
	v_and_b32_e32 v3, 31, v3
	v_add_co_u32 v3, vcc_lo, v161, v3
	v_add_co_ci_u32_e64 v4, null, 0, v162, vcc_lo
	v_cmpx_gt_i64_e64 s[8:9], v[3:4]
	s_cbranch_execz .LBB84_216
; %bb.215:                              ;   in Loop: Header=BB84_145 Depth=1
	v_lshlrev_b64 v[3:4], 2, v[3:4]
	v_add_co_u32 v5, vcc_lo, s16, v3
	v_add_co_ci_u32_e64 v6, null, s17, v4, vcc_lo
	v_add_co_u32 v3, vcc_lo, s18, v3
	v_add_co_ci_u32_e64 v4, null, s19, v4, vcc_lo
	global_load_dword v6, v[5:6], off
	global_load_dword v5, v[3:4], off
.LBB84_216:                             ;   in Loop: Header=BB84_145 Depth=1
	s_or_b32 exec_lo, exec_lo, s7
	v_add_co_u32 v3, vcc_lo, v166, v159
	v_add_co_ci_u32_e64 v4, null, v167, v160, vcc_lo
	global_load_ushort v7, v[3:4], off
	v_add_co_u32 v3, vcc_lo, v164, v159
	v_add_co_ci_u32_e64 v4, null, v165, v160, vcc_lo
	global_load_ushort v3, v[3:4], off
	s_waitcnt vmcnt(1)
	v_cvt_f32_f16_e32 v4, v7
	ds_bpermute_b32 v7, v2, v6
	s_waitcnt vmcnt(0)
	v_cvt_f32_f16_e32 v3, v3
	s_waitcnt lgkmcnt(0)
	v_sub_f32_e32 v4, v4, v7
	ds_bpermute_b32 v7, v2, v5
	v_mul_f32_e32 v4, v4, v3
	v_add_f32_e32 v3, v223, v3
	s_waitcnt lgkmcnt(0)
	v_fmac_f32_e32 v204, v4, v7
	v_add_co_u32 v7, vcc_lo, v49, v159
	v_add_co_ci_u32_e64 v8, null, v50, v160, vcc_lo
	global_load_ushort v4, v[7:8], off
	v_add_co_u32 v7, vcc_lo, v35, v159
	v_add_co_ci_u32_e64 v8, null, v36, v160, vcc_lo
	global_load_ushort v7, v[7:8], off
	ds_bpermute_b32 v8, v2, v6 offset:4
	s_waitcnt vmcnt(1)
	v_cvt_f32_f16_e32 v4, v4
	s_waitcnt lgkmcnt(0)
	v_sub_f32_e32 v8, v4, v8
	s_waitcnt vmcnt(0)
	v_cvt_f32_f16_e32 v4, v7
	v_mul_f32_e32 v7, v8, v4
	ds_bpermute_b32 v8, v2, v5 offset:4
	v_add_f32_e32 v3, v3, v4
	s_waitcnt lgkmcnt(0)
	v_fmac_f32_e32 v204, v7, v8
	v_add_co_u32 v7, vcc_lo, v53, v159
	v_add_co_ci_u32_e64 v8, null, v54, v160, vcc_lo
	global_load_ushort v9, v[7:8], off
	v_add_co_u32 v7, vcc_lo, v37, v159
	v_add_co_ci_u32_e64 v8, null, v38, v160, vcc_lo
	global_load_ushort v7, v[7:8], off
	s_waitcnt vmcnt(1)
	v_cvt_f32_f16_e32 v8, v9
	ds_bpermute_b32 v9, v2, v6 offset:8
	s_waitcnt vmcnt(0)
	v_cvt_f32_f16_e32 v7, v7
	v_add_f32_e32 v3, v3, v7
	s_waitcnt lgkmcnt(0)
	v_sub_f32_e32 v8, v8, v9
	ds_bpermute_b32 v9, v2, v5 offset:8
	v_mul_f32_e32 v8, v8, v7
	s_waitcnt lgkmcnt(0)
	v_fmac_f32_e32 v204, v8, v9
	v_add_co_u32 v8, vcc_lo, v55, v159
	v_add_co_ci_u32_e64 v9, null, v56, v160, vcc_lo
	global_load_ushort v10, v[8:9], off
	v_add_co_u32 v8, vcc_lo, v39, v159
	v_add_co_ci_u32_e64 v9, null, v40, v160, vcc_lo
	global_load_ushort v8, v[8:9], off
	s_waitcnt vmcnt(1)
	v_cvt_f32_f16_e32 v9, v10
	ds_bpermute_b32 v10, v2, v6 offset:12
	s_waitcnt vmcnt(0)
	v_cvt_f32_f16_e32 v8, v8
	v_add_f32_e32 v3, v3, v8
	s_waitcnt lgkmcnt(0)
	v_sub_f32_e32 v9, v9, v10
	ds_bpermute_b32 v10, v2, v5 offset:12
	v_mul_f32_e32 v9, v9, v8
	;; [unrolled: 18-line block ×8, first 2 shown]
	s_waitcnt lgkmcnt(0)
	v_fmac_f32_e32 v204, v15, v16
	v_add_co_u32 v15, vcc_lo, v73, v159
	v_add_co_ci_u32_e64 v16, null, v74, v160, vcc_lo
	global_load_ushort v17, v[15:16], off
	v_add_co_u32 v15, vcc_lo, v71, v159
	v_add_co_ci_u32_e64 v16, null, v72, v160, vcc_lo
	global_load_ushort v15, v[15:16], off
	s_waitcnt vmcnt(1)
	v_cvt_f32_f16_e32 v16, v17
	ds_bpermute_b32 v17, v2, v6 offset:40
	s_waitcnt lgkmcnt(0)
	v_sub_f32_e32 v16, v16, v17
	s_waitcnt vmcnt(0)
	v_cvt_f32_f16_e32 v17, v15
	v_mul_f32_e32 v15, v16, v17
	ds_bpermute_b32 v16, v2, v5 offset:40
	v_add_f32_e32 v3, v3, v17
	s_waitcnt lgkmcnt(0)
	v_fmac_f32_e32 v204, v15, v16
	v_add_co_u32 v15, vcc_lo, v77, v159
	v_add_co_ci_u32_e64 v16, null, v78, v160, vcc_lo
	global_load_ushort v18, v[15:16], off
	v_add_co_u32 v15, vcc_lo, v75, v159
	v_add_co_ci_u32_e64 v16, null, v76, v160, vcc_lo
	global_load_ushort v15, v[15:16], off
	s_waitcnt vmcnt(1)
	v_cvt_f32_f16_e32 v16, v18
	ds_bpermute_b32 v18, v2, v6 offset:44
	s_waitcnt lgkmcnt(0)
	v_sub_f32_e32 v16, v16, v18
	s_waitcnt vmcnt(0)
	v_cvt_f32_f16_e32 v18, v15
	v_mul_f32_e32 v15, v16, v18
	ds_bpermute_b32 v16, v2, v5 offset:44
	v_add_f32_e32 v3, v3, v18
	;; [unrolled: 18-line block ×20, first 2 shown]
	s_waitcnt lgkmcnt(0)
	v_fmac_f32_e32 v204, v15, v16
	v_add_co_u32 v15, vcc_lo, v153, v159
	v_add_co_ci_u32_e64 v16, null, v154, v160, vcc_lo
	global_load_ushort v201, v[15:16], off
	v_add_co_u32 v15, vcc_lo, v151, v159
	v_add_co_ci_u32_e64 v16, null, v152, v160, vcc_lo
	global_load_ushort v15, v[15:16], off
	s_waitcnt vmcnt(1)
	v_cvt_f32_f16_e32 v16, v201
	ds_bpermute_b32 v201, v2, v6 offset:120
	ds_bpermute_b32 v6, v2, v6 offset:124
	s_waitcnt lgkmcnt(1)
	v_sub_f32_e32 v16, v16, v201
	s_waitcnt vmcnt(0)
	v_cvt_f32_f16_e32 v201, v15
	v_mul_f32_e32 v15, v16, v201
	ds_bpermute_b32 v16, v2, v5 offset:120
	ds_bpermute_b32 v5, v2, v5 offset:124
	v_add_f32_e32 v3, v3, v201
	s_waitcnt lgkmcnt(1)
	v_fmac_f32_e32 v204, v15, v16
	v_add_co_u32 v15, vcc_lo, v157, v159
	v_add_co_ci_u32_e64 v16, null, v158, v160, vcc_lo
	global_load_ushort v203, v[15:16], off
	v_add_co_u32 v15, vcc_lo, v155, v159
	v_add_co_ci_u32_e64 v16, null, v156, v160, vcc_lo
	global_load_ushort v15, v[15:16], off
	s_waitcnt vmcnt(1)
	v_cvt_f32_f16_e32 v16, v203
	v_sub_f32_e32 v6, v16, v6
	s_waitcnt vmcnt(0)
	v_cvt_f32_f16_e32 v15, v15
	v_mul_f32_e32 v6, v6, v15
	v_add_f32_e32 v201, v3, v15
	s_waitcnt lgkmcnt(0)
	v_fmac_f32_e32 v204, v6, v5
	v_mov_b32_e32 v203, v204
.LBB84_217:                             ;   in Loop: Header=BB84_145 Depth=1
	buffer_load_dword v3, off, s[36:39], 0  ; 4-byte Folded Reload
	v_add_co_u32 v164, vcc_lo, v164, s12
	v_add_co_ci_u32_e64 v165, null, s13, v165, vcc_lo
	v_add_co_u32 v166, vcc_lo, v166, s12
	v_add_co_ci_u32_e64 v167, null, s13, v167, vcc_lo
	;; [unrolled: 2-line block ×65, first 2 shown]
	s_add_u32 s22, s22, s1
	s_addc_u32 s23, s23, 0
	s_add_u32 s14, s14, s1
	v_cmp_ge_i64_e64 s7, s[22:23], s[8:9]
	s_addc_u32 s15, 0, s15
	s_waitcnt vmcnt(0)
	v_add_co_u32 v3, vcc_lo, v3, s12
	buffer_store_dword v3, off, s[36:39], 0 ; 4-byte Folded Spill
	buffer_load_dword v3, off, s[36:39], 0 offset:4 ; 4-byte Folded Reload
	s_waitcnt vmcnt(0)
	v_add_co_ci_u32_e64 v3, null, s13, v3, vcc_lo
	buffer_store_dword v3, off, s[36:39], 0 offset:4 ; 4-byte Folded Spill
	buffer_load_dword v3, off, s[36:39], 0 offset:8 ; 4-byte Folded Reload
	s_waitcnt vmcnt(0)
	v_add_co_u32 v3, vcc_lo, v3, s12
	buffer_store_dword v3, off, s[36:39], 0 offset:8 ; 4-byte Folded Spill
	buffer_load_dword v3, off, s[36:39], 0 offset:12 ; 4-byte Folded Reload
	s_waitcnt vmcnt(0)
	v_add_co_ci_u32_e64 v3, null, s13, v3, vcc_lo
	buffer_store_dword v3, off, s[36:39], 0 offset:12 ; 4-byte Folded Spill
	buffer_load_dword v3, off, s[36:39], 0 offset:16 ; 4-byte Folded Reload
	s_waitcnt vmcnt(0)
	v_add_co_u32 v3, vcc_lo, v3, s12
	buffer_store_dword v3, off, s[36:39], 0 offset:16 ; 4-byte Folded Spill
	;; [unrolled: 8-line block ×28, first 2 shown]
	buffer_load_dword v3, off, s[36:39], 0 offset:228 ; 4-byte Folded Reload
	s_waitcnt vmcnt(0)
	v_add_co_ci_u32_e64 v3, null, s13, v3, vcc_lo
	v_add_co_u32 v226, vcc_lo, v226, s12
	v_add_co_ci_u32_e64 v227, null, s13, v227, vcc_lo
	v_add_co_u32 v228, vcc_lo, v228, s12
	;; [unrolled: 2-line block ×33, first 2 shown]
	v_add_co_ci_u32_e64 v200, null, s13, v200, vcc_lo
	s_and_b32 vcc_lo, exec_lo, s7
	buffer_store_dword v3, off, s[36:39], 0 offset:228 ; 4-byte Folded Spill
	s_cbranch_vccnz .LBB84_219
; %bb.218:                              ;   in Loop: Header=BB84_145 Depth=1
	v_mov_b32_e32 v223, v201
	v_mov_b32_e32 v204, v203
	s_branch .LBB84_145
.LBB84_219:
	s_clause 0x2
	buffer_load_dword v1, off, s[36:39], 0 offset:292
	buffer_load_dword v2, off, s[36:39], 0 offset:296
	;; [unrolled: 1-line block ×3, first 2 shown]
.LBB84_220:
	s_mov_b32 s7, 0
	s_mov_b32 s1, exec_lo
	s_lshl_b64 s[2:3], s[6:7], 5
	s_waitcnt vmcnt(0)
	v_or_b32_e32 v4, s2, v227
	v_mov_b32_e32 v5, s3
	v_cmpx_gt_i64_e64 s[10:11], v[4:5]
	s_cbranch_execz .LBB84_225
; %bb.221:
	s_clause 0x1
	s_load_dword s1, s[4:5], 0x4c
	s_load_dwordx4 s[4:7], s[4:5], 0x30
	v_mov_b32_e32 v2, 0
	s_waitcnt lgkmcnt(0)
	s_lshr_b32 s1, s1, 16
	s_cmp_eq_u64 s[4:5], 0
	v_mad_u64_u32 v[2:3], null, s1, s0, v[1:2]
	v_lshlrev_b64 v[0:1], 1, v[4:5]
	v_mul_lo_u32 v3, v3, s10
	v_mul_lo_u32 v6, v2, s11
	s_cbranch_scc1 .LBB84_223
; %bb.222:
	v_mad_u64_u32 v[4:5], null, v2, s10, 0
	v_cvt_f16_f32_e32 v7, v203
	v_add3_u32 v5, v5, v6, v3
	v_lshlrev_b64 v[4:5], 1, v[4:5]
	v_add_co_u32 v4, vcc_lo, s4, v4
	v_add_co_ci_u32_e64 v5, null, s5, v5, vcc_lo
	v_add_co_u32 v4, vcc_lo, v4, v0
	v_add_co_ci_u32_e64 v5, null, v5, v1, vcc_lo
	global_store_short v[4:5], v7, off
.LBB84_223:
	s_cmp_eq_u64 s[6:7], 0
	s_cbranch_scc1 .LBB84_225
; %bb.224:
	v_mad_u64_u32 v[4:5], null, v2, s10, 0
	v_add3_u32 v5, v5, v6, v3
	v_lshlrev_b64 v[2:3], 1, v[4:5]
	v_cvt_f16_f32_e32 v4, v201
	v_add_co_u32 v2, vcc_lo, s6, v2
	v_add_co_ci_u32_e64 v3, null, s7, v3, vcc_lo
	v_add_co_u32 v0, vcc_lo, v2, v0
	v_add_co_ci_u32_e64 v1, null, v3, v1, vcc_lo
	global_store_short v[0:1], v4, off
.LBB84_225:
	s_endpgm
	.section	.rodata,"a",@progbits
	.p2align	6, 0x0
	.amdhsa_kernel _ZN2at6native12_GLOBAL__N_135GammaBetaBackwardCUDAKernelTemplateIN3c104HalfEfLj32ELj1ELj32ELb1ELb0ELb0EEEvllPKT_S7_PKT0_SA_PS5_SB_
		.amdhsa_group_segment_fixed_size 0
		.amdhsa_private_segment_fixed_size 312
		.amdhsa_kernarg_size 320
		.amdhsa_user_sgpr_count 6
		.amdhsa_user_sgpr_private_segment_buffer 1
		.amdhsa_user_sgpr_dispatch_ptr 0
		.amdhsa_user_sgpr_queue_ptr 0
		.amdhsa_user_sgpr_kernarg_segment_ptr 1
		.amdhsa_user_sgpr_dispatch_id 0
		.amdhsa_user_sgpr_flat_scratch_init 0
		.amdhsa_user_sgpr_private_segment_size 0
		.amdhsa_wavefront_size32 1
		.amdhsa_uses_dynamic_stack 0
		.amdhsa_system_sgpr_private_segment_wavefront_offset 1
		.amdhsa_system_sgpr_workgroup_id_x 1
		.amdhsa_system_sgpr_workgroup_id_y 1
		.amdhsa_system_sgpr_workgroup_id_z 0
		.amdhsa_system_sgpr_workgroup_info 0
		.amdhsa_system_vgpr_workitem_id 1
		.amdhsa_next_free_vgpr 256
		.amdhsa_next_free_sgpr 40
		.amdhsa_reserve_vcc 1
		.amdhsa_reserve_flat_scratch 0
		.amdhsa_float_round_mode_32 0
		.amdhsa_float_round_mode_16_64 0
		.amdhsa_float_denorm_mode_32 3
		.amdhsa_float_denorm_mode_16_64 3
		.amdhsa_dx10_clamp 1
		.amdhsa_ieee_mode 1
		.amdhsa_fp16_overflow 0
		.amdhsa_workgroup_processor_mode 1
		.amdhsa_memory_ordered 1
		.amdhsa_forward_progress 1
		.amdhsa_shared_vgpr_count 0
		.amdhsa_exception_fp_ieee_invalid_op 0
		.amdhsa_exception_fp_denorm_src 0
		.amdhsa_exception_fp_ieee_div_zero 0
		.amdhsa_exception_fp_ieee_overflow 0
		.amdhsa_exception_fp_ieee_underflow 0
		.amdhsa_exception_fp_ieee_inexact 0
		.amdhsa_exception_int_div_zero 0
	.end_amdhsa_kernel
	.section	.text._ZN2at6native12_GLOBAL__N_135GammaBetaBackwardCUDAKernelTemplateIN3c104HalfEfLj32ELj1ELj32ELb1ELb0ELb0EEEvllPKT_S7_PKT0_SA_PS5_SB_,"axG",@progbits,_ZN2at6native12_GLOBAL__N_135GammaBetaBackwardCUDAKernelTemplateIN3c104HalfEfLj32ELj1ELj32ELb1ELb0ELb0EEEvllPKT_S7_PKT0_SA_PS5_SB_,comdat
.Lfunc_end84:
	.size	_ZN2at6native12_GLOBAL__N_135GammaBetaBackwardCUDAKernelTemplateIN3c104HalfEfLj32ELj1ELj32ELb1ELb0ELb0EEEvllPKT_S7_PKT0_SA_PS5_SB_, .Lfunc_end84-_ZN2at6native12_GLOBAL__N_135GammaBetaBackwardCUDAKernelTemplateIN3c104HalfEfLj32ELj1ELj32ELb1ELb0ELb0EEEvllPKT_S7_PKT0_SA_PS5_SB_
                                        ; -- End function
	.set _ZN2at6native12_GLOBAL__N_135GammaBetaBackwardCUDAKernelTemplateIN3c104HalfEfLj32ELj1ELj32ELb1ELb0ELb0EEEvllPKT_S7_PKT0_SA_PS5_SB_.num_vgpr, 256
	.set _ZN2at6native12_GLOBAL__N_135GammaBetaBackwardCUDAKernelTemplateIN3c104HalfEfLj32ELj1ELj32ELb1ELb0ELb0EEEvllPKT_S7_PKT0_SA_PS5_SB_.num_agpr, 0
	.set _ZN2at6native12_GLOBAL__N_135GammaBetaBackwardCUDAKernelTemplateIN3c104HalfEfLj32ELj1ELj32ELb1ELb0ELb0EEEvllPKT_S7_PKT0_SA_PS5_SB_.numbered_sgpr, 40
	.set _ZN2at6native12_GLOBAL__N_135GammaBetaBackwardCUDAKernelTemplateIN3c104HalfEfLj32ELj1ELj32ELb1ELb0ELb0EEEvllPKT_S7_PKT0_SA_PS5_SB_.num_named_barrier, 0
	.set _ZN2at6native12_GLOBAL__N_135GammaBetaBackwardCUDAKernelTemplateIN3c104HalfEfLj32ELj1ELj32ELb1ELb0ELb0EEEvllPKT_S7_PKT0_SA_PS5_SB_.private_seg_size, 312
	.set _ZN2at6native12_GLOBAL__N_135GammaBetaBackwardCUDAKernelTemplateIN3c104HalfEfLj32ELj1ELj32ELb1ELb0ELb0EEEvllPKT_S7_PKT0_SA_PS5_SB_.uses_vcc, 1
	.set _ZN2at6native12_GLOBAL__N_135GammaBetaBackwardCUDAKernelTemplateIN3c104HalfEfLj32ELj1ELj32ELb1ELb0ELb0EEEvllPKT_S7_PKT0_SA_PS5_SB_.uses_flat_scratch, 0
	.set _ZN2at6native12_GLOBAL__N_135GammaBetaBackwardCUDAKernelTemplateIN3c104HalfEfLj32ELj1ELj32ELb1ELb0ELb0EEEvllPKT_S7_PKT0_SA_PS5_SB_.has_dyn_sized_stack, 0
	.set _ZN2at6native12_GLOBAL__N_135GammaBetaBackwardCUDAKernelTemplateIN3c104HalfEfLj32ELj1ELj32ELb1ELb0ELb0EEEvllPKT_S7_PKT0_SA_PS5_SB_.has_recursion, 0
	.set _ZN2at6native12_GLOBAL__N_135GammaBetaBackwardCUDAKernelTemplateIN3c104HalfEfLj32ELj1ELj32ELb1ELb0ELb0EEEvllPKT_S7_PKT0_SA_PS5_SB_.has_indirect_call, 0
	.section	.AMDGPU.csdata,"",@progbits
; Kernel info:
; codeLenInByte = 32152
; TotalNumSgprs: 42
; NumVgprs: 256
; ScratchSize: 312
; MemoryBound: 0
; FloatMode: 240
; IeeeMode: 1
; LDSByteSize: 0 bytes/workgroup (compile time only)
; SGPRBlocks: 0
; VGPRBlocks: 31
; NumSGPRsForWavesPerEU: 42
; NumVGPRsForWavesPerEU: 256
; Occupancy: 4
; WaveLimiterHint : 0
; COMPUTE_PGM_RSRC2:SCRATCH_EN: 1
; COMPUTE_PGM_RSRC2:USER_SGPR: 6
; COMPUTE_PGM_RSRC2:TRAP_HANDLER: 0
; COMPUTE_PGM_RSRC2:TGID_X_EN: 1
; COMPUTE_PGM_RSRC2:TGID_Y_EN: 1
; COMPUTE_PGM_RSRC2:TGID_Z_EN: 0
; COMPUTE_PGM_RSRC2:TIDIG_COMP_CNT: 1
	.section	.text._ZN2at6native12_GLOBAL__N_135GammaBetaBackwardCUDAKernelTemplateIN3c104HalfEfLj32ELj1ELj8ELb1ELb1ELb0EEEvllPKT_S7_PKT0_SA_PS5_SB_,"axG",@progbits,_ZN2at6native12_GLOBAL__N_135GammaBetaBackwardCUDAKernelTemplateIN3c104HalfEfLj32ELj1ELj8ELb1ELb1ELb0EEEvllPKT_S7_PKT0_SA_PS5_SB_,comdat
	.globl	_ZN2at6native12_GLOBAL__N_135GammaBetaBackwardCUDAKernelTemplateIN3c104HalfEfLj32ELj1ELj8ELb1ELb1ELb0EEEvllPKT_S7_PKT0_SA_PS5_SB_ ; -- Begin function _ZN2at6native12_GLOBAL__N_135GammaBetaBackwardCUDAKernelTemplateIN3c104HalfEfLj32ELj1ELj8ELb1ELb1ELb0EEEvllPKT_S7_PKT0_SA_PS5_SB_
	.p2align	8
	.type	_ZN2at6native12_GLOBAL__N_135GammaBetaBackwardCUDAKernelTemplateIN3c104HalfEfLj32ELj1ELj8ELb1ELb1ELb0EEEvllPKT_S7_PKT0_SA_PS5_SB_,@function
_ZN2at6native12_GLOBAL__N_135GammaBetaBackwardCUDAKernelTemplateIN3c104HalfEfLj32ELj1ELj8ELb1ELb1ELb0EEEvllPKT_S7_PKT0_SA_PS5_SB_: ; @_ZN2at6native12_GLOBAL__N_135GammaBetaBackwardCUDAKernelTemplateIN3c104HalfEfLj32ELj1ELj8ELb1ELb1ELb0EEEvllPKT_S7_PKT0_SA_PS5_SB_
; %bb.0:
	s_load_dwordx4 s[16:19], s[4:5], 0x0
	s_lshl_b32 s2, s7, 3
	s_mov_b32 s3, 0
	s_waitcnt lgkmcnt(0)
	v_cmp_gt_i64_e64 s0, s[16:17], s[2:3]
	s_and_b32 vcc_lo, exec_lo, s0
	s_cbranch_vccnz .LBB85_2
; %bb.1:
	s_add_u32 s24, s4, 64
	s_addc_u32 s25, s5, 0
	s_mov_b32 s0, s3
	s_branch .LBB85_3
.LBB85_2:
	s_mov_b32 s0, -1
                                        ; implicit-def: $sgpr24_sgpr25
.LBB85_3:
	s_load_dwordx4 s[20:23], s[4:5], 0x30
	v_mov_b32_e32 v5, 0
	v_mov_b32_e32 v4, 0
	s_andn2_b32 vcc_lo, exec_lo, s0
	s_cbranch_vccnz .LBB85_11
; %bb.4:
	s_clause 0x2
	s_load_dword s0, s[4:5], 0x4c
	s_load_dword s1, s[4:5], 0x44
	s_load_dwordx8 s[8:15], s[4:5], 0x10
	v_lshlrev_b32_e32 v2, 3, v1
	s_add_u32 s24, s4, 64
	s_addc_u32 s25, s5, 0
	v_mov_b32_e32 v3, 0
	v_mov_b32_e32 v8, 8
	v_add_co_u32 v4, s4, v2, s2
	v_add_co_ci_u32_e64 v5, null, 0, 0, s4
	v_lshl_or_b32 v2, s6, 5, v0
	v_mul_lo_u32 v17, s19, v4
	v_mad_u64_u32 v[6:7], null, s18, v4, 0
	v_mul_lo_u32 v18, s18, v5
	v_lshlrev_b64 v[15:16], 1, v[2:3]
	v_mov_b32_e32 v9, 4
	v_mov_b32_e32 v10, 12
	s_waitcnt lgkmcnt(0)
	s_and_b32 s0, s0, 0xffff
	s_lshl_b32 s26, s1, 3
	v_mad_u32_u24 v14, v1, s0, v0
	s_mul_i32 s1, s19, s26
	v_add3_u32 v7, v7, v18, v17
	s_mul_hi_u32 s4, s18, s26
	v_mov_b32_e32 v11, 16
	v_and_b32_e32 v19, 31, v14
	v_mov_b32_e32 v12, 20
	v_lshlrev_b64 v[17:18], 1, v[6:7]
	v_mov_b32_e32 v13, 24
	v_mov_b32_e32 v14, 28
	v_add_co_u32 v4, vcc_lo, v4, v19
	v_add_co_ci_u32_e64 v5, null, 0, v5, vcc_lo
	v_add_co_u32 v2, vcc_lo, v17, v15
	v_cmp_gt_u32_e64 s0, 8, v19
	v_lshlrev_b64 v[6:7], 2, v[4:5]
	v_add_co_ci_u32_e64 v15, null, v18, v16, vcc_lo
	v_mov_b32_e32 v17, 0
	v_mov_b32_e32 v16, 0
	s_mov_b32 s27, 0
	s_add_i32 s29, s4, s1
	s_mul_i32 s28, s18, s26
	s_lshl_b64 s[4:5], s[26:27], 2
	s_lshl_b64 s[28:29], s[28:29], 1
	;; [unrolled: 1-line block ×3, first 2 shown]
	s_branch .LBB85_7
.LBB85_5:                               ;   in Loop: Header=BB85_7 Depth=1
	s_or_b32 exec_lo, exec_lo, s27
.LBB85_6:                               ;   in Loop: Header=BB85_7 Depth=1
	s_or_b32 exec_lo, exec_lo, s1
	v_add_co_u32 v20, vcc_lo, s8, v2
	v_add_co_ci_u32_e64 v21, null, s9, v15, vcc_lo
	v_add_co_u32 v22, vcc_lo, s10, v2
	v_add_co_ci_u32_e64 v23, null, s11, v15, vcc_lo
	;; [unrolled: 2-line block ×5, first 2 shown]
	global_load_ushort v30, v[20:21], off
	global_load_ushort v31, v[22:23], off
	;; [unrolled: 1-line block ×5, first 2 shown]
	v_add_co_u32 v20, vcc_lo, v26, s30
	v_add_co_ci_u32_e64 v21, null, s31, v27, vcc_lo
	v_add_co_u32 v22, vcc_lo, v28, s30
	v_add_co_ci_u32_e64 v23, null, s31, v29, vcc_lo
	;; [unrolled: 2-line block ×5, first 2 shown]
	global_load_ushort v35, v[20:21], off
	global_load_ushort v36, v[22:23], off
	;; [unrolled: 1-line block ×5, first 2 shown]
	v_add_co_u32 v20, vcc_lo, v26, s30
	v_add_co_ci_u32_e64 v21, null, s31, v27, vcc_lo
	v_add_co_u32 v22, vcc_lo, v28, s30
	v_add_co_ci_u32_e64 v23, null, s31, v29, vcc_lo
	;; [unrolled: 2-line block ×4, first 2 shown]
	global_load_ushort v28, v[20:21], off
	global_load_ushort v29, v[22:23], off
	;; [unrolled: 1-line block ×4, first 2 shown]
	v_add_co_u32 v20, vcc_lo, v26, s30
	v_add_co_ci_u32_e64 v21, null, s31, v27, vcc_lo
	v_add_co_u32 v22, vcc_lo, v24, s30
	v_add_co_ci_u32_e64 v23, null, s31, v25, vcc_lo
	global_load_ushort v20, v[20:21], off
	global_load_ushort v21, v[22:23], off
	s_waitcnt vmcnt(17)
	ds_bpermute_b32 v22, v3, v18
	ds_bpermute_b32 v25, v9, v18
	s_waitcnt vmcnt(16)
	ds_bpermute_b32 v23, v3, v19
	ds_bpermute_b32 v27, v8, v18
	;; [unrolled: 1-line block ×14, first 2 shown]
	s_add_u32 s2, s2, s26
	v_add_co_u32 v6, vcc_lo, v6, s4
	s_addc_u32 s3, s3, 0
	v_add_co_ci_u32_e64 v7, null, s5, v7, vcc_lo
	v_add_co_u32 v4, vcc_lo, v4, s26
	v_cmp_lt_i64_e64 s1, s[2:3], s[16:17]
	v_add_co_ci_u32_e64 v5, null, 0, v5, vcc_lo
	v_add_co_u32 v2, vcc_lo, v2, s28
	v_add_co_ci_u32_e64 v15, null, s29, v15, vcc_lo
	s_and_b32 vcc_lo, exec_lo, s1
	s_waitcnt vmcnt(15)
	v_cvt_f32_f16_e32 v30, v30
	s_waitcnt vmcnt(14)
	v_cvt_f32_f16_e32 v31, v31
	s_waitcnt vmcnt(12)
	v_cvt_f32_f16_e32 v33, v33
	v_add_f32_e32 v17, v17, v30
	s_waitcnt lgkmcnt(15)
	v_sub_f32_e32 v22, v31, v22
	v_cvt_f32_f16_e32 v31, v32
	s_waitcnt lgkmcnt(14)
	v_sub_f32_e32 v25, v33, v25
	v_mul_f32_e32 v22, v22, v30
	s_waitcnt vmcnt(11)
	v_cvt_f32_f16_e32 v30, v34
	v_add_f32_e32 v17, v17, v31
	s_waitcnt lgkmcnt(13)
	v_fmac_f32_e32 v16, v22, v23
	v_mul_f32_e32 v22, v25, v31
	v_add_f32_e32 v17, v17, v30
	s_waitcnt vmcnt(10)
	v_cvt_f32_f16_e32 v32, v35
	s_waitcnt lgkmcnt(11)
	v_fmac_f32_e32 v16, v22, v24
	s_waitcnt vmcnt(8)
	v_cvt_f32_f16_e32 v25, v37
	s_waitcnt vmcnt(6)
	v_cvt_f32_f16_e32 v24, v39
	v_sub_f32_e32 v23, v32, v27
	v_cvt_f32_f16_e32 v27, v36
	v_mul_f32_e32 v22, v23, v30
	s_waitcnt lgkmcnt(10)
	v_sub_f32_e32 v23, v25, v43
	v_cvt_f32_f16_e32 v25, v38
	v_add_f32_e32 v17, v17, v27
	s_waitcnt lgkmcnt(9)
	v_fmac_f32_e32 v16, v22, v26
	v_mul_f32_e32 v22, v23, v27
	s_waitcnt lgkmcnt(8)
	v_sub_f32_e32 v23, v24, v45
	s_waitcnt vmcnt(5)
	v_cvt_f32_f16_e32 v26, v28
	s_waitcnt vmcnt(4)
	v_cvt_f32_f16_e32 v24, v29
	v_add_f32_e32 v17, v17, v25
	s_waitcnt lgkmcnt(7)
	v_fmac_f32_e32 v16, v22, v42
	v_mul_f32_e32 v22, v23, v25
	s_waitcnt vmcnt(3)
	v_cvt_f32_f16_e32 v25, v40
	s_waitcnt lgkmcnt(6)
	v_sub_f32_e32 v23, v24, v47
	s_waitcnt vmcnt(2)
	v_cvt_f32_f16_e32 v24, v41
	v_add_f32_e32 v17, v17, v26
	s_waitcnt lgkmcnt(5)
	v_fmac_f32_e32 v16, v22, v44
	v_mul_f32_e32 v22, v23, v26
	s_waitcnt lgkmcnt(4)
	v_sub_f32_e32 v23, v24, v49
	s_waitcnt vmcnt(1)
	v_cvt_f32_f16_e32 v20, v20
	s_waitcnt vmcnt(0)
	v_cvt_f32_f16_e32 v21, v21
	v_add_f32_e32 v17, v17, v25
	s_waitcnt lgkmcnt(3)
	v_fmac_f32_e32 v16, v22, v46
	v_mul_f32_e32 v22, v23, v25
	s_waitcnt lgkmcnt(2)
	v_sub_f32_e32 v18, v20, v18
	v_add_f32_e32 v17, v17, v21
	s_waitcnt lgkmcnt(1)
	v_fmac_f32_e32 v16, v22, v48
	v_mul_f32_e32 v18, v18, v21
	s_waitcnt lgkmcnt(0)
	v_fmac_f32_e32 v16, v18, v19
	s_cbranch_vccz .LBB85_10
.LBB85_7:                               ; =>This Inner Loop Header: Depth=1
	v_mov_b32_e32 v19, 0
	v_mov_b32_e32 v18, 0
	s_and_saveexec_b32 s1, s0
	s_cbranch_execz .LBB85_6
; %bb.8:                                ;   in Loop: Header=BB85_7 Depth=1
	v_mov_b32_e32 v18, 0
	v_mov_b32_e32 v19, 0
	s_mov_b32 s27, exec_lo
	v_cmpx_gt_i64_e64 s[16:17], v[4:5]
	s_cbranch_execz .LBB85_5
; %bb.9:                                ;   in Loop: Header=BB85_7 Depth=1
	v_add_co_u32 v18, vcc_lo, s12, v6
	v_add_co_ci_u32_e64 v19, null, s13, v7, vcc_lo
	v_add_co_u32 v20, vcc_lo, s14, v6
	v_add_co_ci_u32_e64 v21, null, s15, v7, vcc_lo
	global_load_dword v18, v[18:19], off
	global_load_dword v19, v[20:21], off
	s_branch .LBB85_5
.LBB85_10:
	v_cvt_f16_f32_e32 v5, v16
	v_cvt_f16_f32_e32 v4, v17
.LBB85_11:
	s_load_dword s0, s[24:25], 0xc
	v_mov_b32_e32 v2, 0
	s_waitcnt lgkmcnt(0)
	s_lshr_b32 s0, s0, 16
	v_mad_u64_u32 v[1:2], null, s0, s7, v[1:2]
	s_mov_b32 s7, 0
	s_lshl_b64 s[0:1], s[6:7], 5
	s_cmp_eq_u64 s[20:21], 0
	v_or_b32_e32 v7, s0, v0
	v_mov_b32_e32 v8, s1
	v_mul_lo_u32 v0, v2, s18
	v_mul_lo_u32 v6, v1, s19
	v_lshlrev_b64 v[2:3], 1, v[7:8]
	s_cbranch_scc1 .LBB85_13
; %bb.12:
	v_mad_u64_u32 v[7:8], null, v1, s18, 0
	v_add3_u32 v8, v8, v6, v0
	v_lshlrev_b64 v[7:8], 1, v[7:8]
	v_add_co_u32 v7, vcc_lo, s20, v7
	v_add_co_ci_u32_e64 v8, null, s21, v8, vcc_lo
	v_add_co_u32 v7, vcc_lo, v7, v2
	v_add_co_ci_u32_e64 v8, null, v8, v3, vcc_lo
	global_store_short v[7:8], v5, off
.LBB85_13:
	s_cmp_eq_u64 s[22:23], 0
	s_cbranch_scc1 .LBB85_15
; %bb.14:
	v_mad_u64_u32 v[7:8], null, v1, s18, 0
	v_add3_u32 v8, v8, v6, v0
	v_lshlrev_b64 v[0:1], 1, v[7:8]
	v_add_co_u32 v0, vcc_lo, s22, v0
	v_add_co_ci_u32_e64 v1, null, s23, v1, vcc_lo
	v_add_co_u32 v0, vcc_lo, v0, v2
	v_add_co_ci_u32_e64 v1, null, v1, v3, vcc_lo
	global_store_short v[0:1], v4, off
.LBB85_15:
	s_endpgm
	.section	.rodata,"a",@progbits
	.p2align	6, 0x0
	.amdhsa_kernel _ZN2at6native12_GLOBAL__N_135GammaBetaBackwardCUDAKernelTemplateIN3c104HalfEfLj32ELj1ELj8ELb1ELb1ELb0EEEvllPKT_S7_PKT0_SA_PS5_SB_
		.amdhsa_group_segment_fixed_size 0
		.amdhsa_private_segment_fixed_size 0
		.amdhsa_kernarg_size 320
		.amdhsa_user_sgpr_count 6
		.amdhsa_user_sgpr_private_segment_buffer 1
		.amdhsa_user_sgpr_dispatch_ptr 0
		.amdhsa_user_sgpr_queue_ptr 0
		.amdhsa_user_sgpr_kernarg_segment_ptr 1
		.amdhsa_user_sgpr_dispatch_id 0
		.amdhsa_user_sgpr_flat_scratch_init 0
		.amdhsa_user_sgpr_private_segment_size 0
		.amdhsa_wavefront_size32 1
		.amdhsa_uses_dynamic_stack 0
		.amdhsa_system_sgpr_private_segment_wavefront_offset 0
		.amdhsa_system_sgpr_workgroup_id_x 1
		.amdhsa_system_sgpr_workgroup_id_y 1
		.amdhsa_system_sgpr_workgroup_id_z 0
		.amdhsa_system_sgpr_workgroup_info 0
		.amdhsa_system_vgpr_workitem_id 1
		.amdhsa_next_free_vgpr 50
		.amdhsa_next_free_sgpr 32
		.amdhsa_reserve_vcc 1
		.amdhsa_reserve_flat_scratch 0
		.amdhsa_float_round_mode_32 0
		.amdhsa_float_round_mode_16_64 0
		.amdhsa_float_denorm_mode_32 3
		.amdhsa_float_denorm_mode_16_64 3
		.amdhsa_dx10_clamp 1
		.amdhsa_ieee_mode 1
		.amdhsa_fp16_overflow 0
		.amdhsa_workgroup_processor_mode 1
		.amdhsa_memory_ordered 1
		.amdhsa_forward_progress 1
		.amdhsa_shared_vgpr_count 0
		.amdhsa_exception_fp_ieee_invalid_op 0
		.amdhsa_exception_fp_denorm_src 0
		.amdhsa_exception_fp_ieee_div_zero 0
		.amdhsa_exception_fp_ieee_overflow 0
		.amdhsa_exception_fp_ieee_underflow 0
		.amdhsa_exception_fp_ieee_inexact 0
		.amdhsa_exception_int_div_zero 0
	.end_amdhsa_kernel
	.section	.text._ZN2at6native12_GLOBAL__N_135GammaBetaBackwardCUDAKernelTemplateIN3c104HalfEfLj32ELj1ELj8ELb1ELb1ELb0EEEvllPKT_S7_PKT0_SA_PS5_SB_,"axG",@progbits,_ZN2at6native12_GLOBAL__N_135GammaBetaBackwardCUDAKernelTemplateIN3c104HalfEfLj32ELj1ELj8ELb1ELb1ELb0EEEvllPKT_S7_PKT0_SA_PS5_SB_,comdat
.Lfunc_end85:
	.size	_ZN2at6native12_GLOBAL__N_135GammaBetaBackwardCUDAKernelTemplateIN3c104HalfEfLj32ELj1ELj8ELb1ELb1ELb0EEEvllPKT_S7_PKT0_SA_PS5_SB_, .Lfunc_end85-_ZN2at6native12_GLOBAL__N_135GammaBetaBackwardCUDAKernelTemplateIN3c104HalfEfLj32ELj1ELj8ELb1ELb1ELb0EEEvllPKT_S7_PKT0_SA_PS5_SB_
                                        ; -- End function
	.set _ZN2at6native12_GLOBAL__N_135GammaBetaBackwardCUDAKernelTemplateIN3c104HalfEfLj32ELj1ELj8ELb1ELb1ELb0EEEvllPKT_S7_PKT0_SA_PS5_SB_.num_vgpr, 50
	.set _ZN2at6native12_GLOBAL__N_135GammaBetaBackwardCUDAKernelTemplateIN3c104HalfEfLj32ELj1ELj8ELb1ELb1ELb0EEEvllPKT_S7_PKT0_SA_PS5_SB_.num_agpr, 0
	.set _ZN2at6native12_GLOBAL__N_135GammaBetaBackwardCUDAKernelTemplateIN3c104HalfEfLj32ELj1ELj8ELb1ELb1ELb0EEEvllPKT_S7_PKT0_SA_PS5_SB_.numbered_sgpr, 32
	.set _ZN2at6native12_GLOBAL__N_135GammaBetaBackwardCUDAKernelTemplateIN3c104HalfEfLj32ELj1ELj8ELb1ELb1ELb0EEEvllPKT_S7_PKT0_SA_PS5_SB_.num_named_barrier, 0
	.set _ZN2at6native12_GLOBAL__N_135GammaBetaBackwardCUDAKernelTemplateIN3c104HalfEfLj32ELj1ELj8ELb1ELb1ELb0EEEvllPKT_S7_PKT0_SA_PS5_SB_.private_seg_size, 0
	.set _ZN2at6native12_GLOBAL__N_135GammaBetaBackwardCUDAKernelTemplateIN3c104HalfEfLj32ELj1ELj8ELb1ELb1ELb0EEEvllPKT_S7_PKT0_SA_PS5_SB_.uses_vcc, 1
	.set _ZN2at6native12_GLOBAL__N_135GammaBetaBackwardCUDAKernelTemplateIN3c104HalfEfLj32ELj1ELj8ELb1ELb1ELb0EEEvllPKT_S7_PKT0_SA_PS5_SB_.uses_flat_scratch, 0
	.set _ZN2at6native12_GLOBAL__N_135GammaBetaBackwardCUDAKernelTemplateIN3c104HalfEfLj32ELj1ELj8ELb1ELb1ELb0EEEvllPKT_S7_PKT0_SA_PS5_SB_.has_dyn_sized_stack, 0
	.set _ZN2at6native12_GLOBAL__N_135GammaBetaBackwardCUDAKernelTemplateIN3c104HalfEfLj32ELj1ELj8ELb1ELb1ELb0EEEvllPKT_S7_PKT0_SA_PS5_SB_.has_recursion, 0
	.set _ZN2at6native12_GLOBAL__N_135GammaBetaBackwardCUDAKernelTemplateIN3c104HalfEfLj32ELj1ELj8ELb1ELb1ELb0EEEvllPKT_S7_PKT0_SA_PS5_SB_.has_indirect_call, 0
	.section	.AMDGPU.csdata,"",@progbits
; Kernel info:
; codeLenInByte = 1564
; TotalNumSgprs: 34
; NumVgprs: 50
; ScratchSize: 0
; MemoryBound: 0
; FloatMode: 240
; IeeeMode: 1
; LDSByteSize: 0 bytes/workgroup (compile time only)
; SGPRBlocks: 0
; VGPRBlocks: 6
; NumSGPRsForWavesPerEU: 34
; NumVGPRsForWavesPerEU: 50
; Occupancy: 16
; WaveLimiterHint : 0
; COMPUTE_PGM_RSRC2:SCRATCH_EN: 0
; COMPUTE_PGM_RSRC2:USER_SGPR: 6
; COMPUTE_PGM_RSRC2:TRAP_HANDLER: 0
; COMPUTE_PGM_RSRC2:TGID_X_EN: 1
; COMPUTE_PGM_RSRC2:TGID_Y_EN: 1
; COMPUTE_PGM_RSRC2:TGID_Z_EN: 0
; COMPUTE_PGM_RSRC2:TIDIG_COMP_CNT: 1
	.section	.text._ZN2at6native12_GLOBAL__N_135GammaBetaBackwardCUDAKernelTemplateIN3c104HalfEfLj32ELj1ELj8ELb1ELb0ELb0EEEvllPKT_S7_PKT0_SA_PS5_SB_,"axG",@progbits,_ZN2at6native12_GLOBAL__N_135GammaBetaBackwardCUDAKernelTemplateIN3c104HalfEfLj32ELj1ELj8ELb1ELb0ELb0EEEvllPKT_S7_PKT0_SA_PS5_SB_,comdat
	.globl	_ZN2at6native12_GLOBAL__N_135GammaBetaBackwardCUDAKernelTemplateIN3c104HalfEfLj32ELj1ELj8ELb1ELb0ELb0EEEvllPKT_S7_PKT0_SA_PS5_SB_ ; -- Begin function _ZN2at6native12_GLOBAL__N_135GammaBetaBackwardCUDAKernelTemplateIN3c104HalfEfLj32ELj1ELj8ELb1ELb0ELb0EEEvllPKT_S7_PKT0_SA_PS5_SB_
	.p2align	8
	.type	_ZN2at6native12_GLOBAL__N_135GammaBetaBackwardCUDAKernelTemplateIN3c104HalfEfLj32ELj1ELj8ELb1ELb0ELb0EEEvllPKT_S7_PKT0_SA_PS5_SB_,@function
_ZN2at6native12_GLOBAL__N_135GammaBetaBackwardCUDAKernelTemplateIN3c104HalfEfLj32ELj1ELj8ELb1ELb0ELb0EEEvllPKT_S7_PKT0_SA_PS5_SB_: ; @_ZN2at6native12_GLOBAL__N_135GammaBetaBackwardCUDAKernelTemplateIN3c104HalfEfLj32ELj1ELj8ELb1ELb0ELb0EEEvllPKT_S7_PKT0_SA_PS5_SB_
; %bb.0:
	s_clause 0x1
	s_load_dwordx8 s[8:15], s[4:5], 0x0
	s_load_dwordx4 s[16:19], s[4:5], 0x20
	s_mov_b32 s0, s7
	s_lshl_b32 s7, s6, 5
	s_mov_b32 s21, 0
	s_or_b32 s20, s7, 31
	s_waitcnt lgkmcnt(0)
	v_cmp_le_i64_e64 s1, s[10:11], s[20:21]
	s_lshl_b32 s20, s0, 3
	v_cmp_gt_i64_e64 s28, s[8:9], s[20:21]
	s_and_b32 vcc_lo, exec_lo, s1
	v_cndmask_b32_e64 v2, 0, 1, s28
	v_cmp_ne_u32_e64 s1, 1, v2
	s_cbranch_vccz .LBB86_49
; %bb.1:
	v_mov_b32_e32 v11, 0
	v_mov_b32_e32 v58, 0
	s_and_b32 vcc_lo, exec_lo, s1
	s_cbranch_vccnz .LBB86_50
; %bb.2:
	v_lshlrev_b32_e32 v23, 3, v1
	v_mov_b32_e32 v2, 0
	v_add_nc_u32_e32 v3, s7, v0
	s_load_dword s2, s[4:5], 0x44
	s_add_u32 s22, s4, 64
	v_add_co_u32 v11, s1, v23, s20
	v_add_co_ci_u32_e64 v12, null, 0, 0, s1
	v_mov_b32_e32 v4, v2
	v_mul_lo_u32 v7, s11, v11
	v_mad_u64_u32 v[5:6], null, s10, v11, 0
	v_mul_lo_u32 v8, s10, v12
	v_cmp_gt_i64_e64 s1, s[10:11], v[3:4]
	v_lshlrev_b64 v[19:20], 1, v[3:4]
	s_addc_u32 s23, s5, 0
	v_mov_b32_e32 v24, v2
	v_mov_b32_e32 v58, 0
	;; [unrolled: 1-line block ×3, first 2 shown]
	s_mov_b64 s[26:27], s[20:21]
	v_add3_u32 v6, v6, v8, v7
	v_add_co_u32 v7, vcc_lo, v11, 7
	v_add_co_ci_u32_e64 v8, null, 0, v12, vcc_lo
	v_add_co_u32 v9, vcc_lo, v11, 6
	v_add_co_ci_u32_e64 v10, null, 0, v12, vcc_lo
	v_lshlrev_b64 v[3:4], 1, v[5:6]
	v_mul_lo_u32 v13, s11, v7
	v_mul_lo_u32 v14, s10, v8
	v_mad_u64_u32 v[7:8], null, s10, v7, 0
	v_mul_lo_u32 v15, s11, v9
	v_mul_lo_u32 v16, s10, v10
	v_mad_u64_u32 v[9:10], null, s10, v9, 0
	v_add_co_u32 v25, vcc_lo, s12, v3
	v_add_co_ci_u32_e64 v26, null, s13, v4, vcc_lo
	v_add_co_u32 v27, vcc_lo, s14, v3
	v_add3_u32 v8, v8, v14, v13
	v_add_co_ci_u32_e64 v28, null, s15, v4, vcc_lo
	v_add_co_u32 v13, vcc_lo, v11, 5
	v_add3_u32 v10, v10, v16, v15
	v_add_co_ci_u32_e64 v14, null, 0, v12, vcc_lo
	v_lshlrev_b64 v[3:4], 1, v[7:8]
	v_mul_lo_u32 v15, s11, v13
	v_lshlrev_b64 v[7:8], 1, v[9:10]
	v_mul_lo_u32 v14, s10, v14
	v_mad_u64_u32 v[9:10], null, s10, v13, 0
	v_add_co_u32 v29, vcc_lo, s12, v3
	v_add_co_ci_u32_e64 v30, null, s13, v4, vcc_lo
	v_add_co_u32 v31, vcc_lo, s14, v3
	s_waitcnt lgkmcnt(0)
	s_lshl_b32 s29, s2, 3
	v_add_co_ci_u32_e64 v32, null, s15, v4, vcc_lo
	v_add_co_u32 v33, vcc_lo, s12, v7
	v_add3_u32 v10, v10, v14, v15
	s_mul_i32 s2, s11, s29
	s_mul_hi_u32 s3, s10, s29
	v_add_co_ci_u32_e64 v34, null, s13, v8, vcc_lo
	v_add_co_u32 v13, vcc_lo, v11, 4
	s_add_i32 s25, s3, s2
	v_add_co_u32 v35, s2, s14, v7
	v_add_co_ci_u32_e64 v7, null, 0, v12, vcc_lo
	v_lshlrev_b64 v[3:4], 1, v[9:10]
	v_add_co_u32 v9, vcc_lo, v11, 3
	v_add_co_ci_u32_e64 v10, null, 0, v12, vcc_lo
	v_add_co_ci_u32_e64 v36, null, s15, v8, s2
	v_mul_lo_u32 v14, s11, v13
	v_mul_lo_u32 v15, s10, v7
	v_mad_u64_u32 v[7:8], null, s10, v13, 0
	v_mul_lo_u32 v13, s11, v9
	v_mul_lo_u32 v16, s10, v10
	v_mad_u64_u32 v[9:10], null, s10, v9, 0
	v_add_co_u32 v37, vcc_lo, s12, v3
	v_add_co_ci_u32_e64 v38, null, s13, v4, vcc_lo
	v_add3_u32 v8, v8, v15, v14
	v_add_co_u32 v39, vcc_lo, s14, v3
	v_add_co_ci_u32_e64 v40, null, s15, v4, vcc_lo
	v_add_co_u32 v11, vcc_lo, v11, 2
	v_add3_u32 v10, v10, v16, v13
	v_add_co_ci_u32_e64 v12, null, 0, v12, vcc_lo
	v_lshlrev_b64 v[3:4], 1, v[7:8]
	v_mul_lo_u32 v13, s11, v11
	v_lshlrev_b64 v[7:8], 1, v[9:10]
	v_mul_lo_u32 v12, s10, v12
	v_mad_u64_u32 v[9:10], null, s10, v11, 0
	v_add_co_u32 v41, vcc_lo, s12, v3
	v_add_co_ci_u32_e64 v42, null, s13, v4, vcc_lo
	v_add_co_u32 v43, vcc_lo, s14, v3
	v_add_co_ci_u32_e64 v44, null, s15, v4, vcc_lo
	;; [unrolled: 2-line block ×3, first 2 shown]
	v_add3_u32 v10, v10, v12, v13
	v_add_co_u32 v47, vcc_lo, s14, v7
	v_add_co_ci_u32_e64 v48, null, s15, v8, vcc_lo
	v_add_co_u32 v5, vcc_lo, v5, s10
	v_add_co_ci_u32_e64 v6, null, s11, v6, vcc_lo
	v_lshlrev_b64 v[3:4], 1, v[9:10]
	s_mul_i32 s24, s10, s29
	v_lshlrev_b64 v[5:6], 1, v[5:6]
	s_lshl_b64 s[2:3], s[24:25], 1
	s_mov_b64 s[24:25], 7
	v_add_co_u32 v49, vcc_lo, s12, v3
	v_add_co_ci_u32_e64 v50, null, s13, v4, vcc_lo
	v_add_co_u32 v51, vcc_lo, s14, v3
	v_add_co_ci_u32_e64 v52, null, s15, v4, vcc_lo
	;; [unrolled: 2-line block ×4, first 2 shown]
.LBB86_3:                               ; =>This Inner Loop Header: Depth=1
	s_add_u32 s30, s20, s24
	s_addc_u32 s31, 0, s25
	v_add_co_u32 v21, vcc_lo, s20, v23
	v_cmp_ge_i64_e64 s30, s[30:31], s[8:9]
	v_add_co_ci_u32_e64 v22, null, 0, v24, vcc_lo
                                        ; implicit-def: $vgpr11_vgpr12_vgpr13_vgpr14_vgpr15_vgpr16_vgpr17_vgpr18
                                        ; implicit-def: $vgpr3_vgpr4_vgpr5_vgpr6_vgpr7_vgpr8_vgpr9_vgpr10
                                        ; implicit-def: $vgpr60
                                        ; implicit-def: $vgpr3
                                        ; implicit-def: $vgpr11
                                        ; implicit-def: $vgpr4
	s_and_b32 vcc_lo, exec_lo, s30
	s_mov_b32 s30, -1
	s_cbranch_vccz .LBB86_25
; %bb.4:                                ;   in Loop: Header=BB86_3 Depth=1
	s_load_dword s30, s[22:23], 0xc
	v_mov_b32_e32 v60, 0
	v_mov_b32_e32 v59, 0
	s_waitcnt lgkmcnt(0)
	s_and_b32 s30, s30, 0xffff
	v_mad_u32_u24 v3, v1, s30, v0
	s_mov_b32 s30, exec_lo
	v_and_b32_e32 v3, 31, v3
	v_cmpx_gt_u32_e32 8, v3
	s_cbranch_execz .LBB86_8
; %bb.5:                                ;   in Loop: Header=BB86_3 Depth=1
	v_add_co_u32 v3, vcc_lo, v21, v3
	v_add_co_ci_u32_e64 v4, null, 0, v22, vcc_lo
	v_mov_b32_e32 v59, 0
	v_mov_b32_e32 v60, 0
	s_mov_b32 s31, exec_lo
	v_cmpx_gt_i64_e64 s[8:9], v[3:4]
	s_cbranch_execz .LBB86_7
; %bb.6:                                ;   in Loop: Header=BB86_3 Depth=1
	v_lshlrev_b64 v[3:4], 2, v[3:4]
	v_add_co_u32 v5, vcc_lo, s16, v3
	v_add_co_ci_u32_e64 v6, null, s17, v4, vcc_lo
	v_add_co_u32 v3, vcc_lo, s18, v3
	v_add_co_ci_u32_e64 v4, null, s19, v4, vcc_lo
	global_load_dword v59, v[5:6], off
	global_load_dword v60, v[3:4], off
.LBB86_7:                               ;   in Loop: Header=BB86_3 Depth=1
	s_or_b32 exec_lo, exec_lo, s31
.LBB86_8:                               ;   in Loop: Header=BB86_3 Depth=1
	s_or_b32 exec_lo, exec_lo, s30
	v_mov_b32_e32 v9, v2
	v_mov_b32_e32 v3, v2
	;; [unrolled: 1-line block ×7, first 2 shown]
	v_cmp_gt_i64_e32 vcc_lo, s[8:9], v[21:22]
	v_mov_b32_e32 v18, v9
	v_mov_b32_e32 v15, v6
	;; [unrolled: 1-line block ×16, first 2 shown]
	s_and_b32 s31, s1, vcc_lo
	s_and_saveexec_b32 s30, s31
	s_cbranch_execz .LBB86_10
; %bb.9:                                ;   in Loop: Header=BB86_3 Depth=1
	v_add_co_u32 v3, vcc_lo, v25, v19
	v_add_co_ci_u32_e64 v4, null, v26, v20, vcc_lo
	v_add_co_u32 v5, vcc_lo, v27, v19
	v_add_co_ci_u32_e64 v6, null, v28, v20, vcc_lo
	global_load_ushort v3, v[3:4], off
	global_load_ushort v11, v[5:6], off
	v_mov_b32_e32 v4, v2
	v_mov_b32_e32 v5, v2
	;; [unrolled: 1-line block ×14, first 2 shown]
	s_waitcnt vmcnt(1)
	v_cvt_f32_f16_e32 v3, v3
	s_waitcnt vmcnt(0)
	v_cvt_f32_f16_e32 v11, v11
.LBB86_10:                              ;   in Loop: Header=BB86_3 Depth=1
	s_or_b32 exec_lo, exec_lo, s30
	v_add_co_u32 v61, vcc_lo, v21, 1
	v_add_co_ci_u32_e64 v62, null, 0, v22, vcc_lo
	v_cmp_gt_i64_e32 vcc_lo, s[8:9], v[61:62]
	s_and_b32 s31, s1, vcc_lo
	s_and_saveexec_b32 s30, s31
	s_cbranch_execz .LBB86_12
; %bb.11:                               ;   in Loop: Header=BB86_3 Depth=1
	v_add_co_u32 v61, vcc_lo, v53, v19
	v_add_co_ci_u32_e64 v62, null, v54, v20, vcc_lo
	v_add_co_u32 v63, vcc_lo, v55, v19
	v_add_co_ci_u32_e64 v64, null, v56, v20, vcc_lo
	global_load_ushort v4, v[61:62], off
	global_load_ushort v12, v[63:64], off
	s_waitcnt vmcnt(1)
	v_cvt_f32_f16_e32 v4, v4
	s_waitcnt vmcnt(0)
	v_cvt_f32_f16_e32 v12, v12
.LBB86_12:                              ;   in Loop: Header=BB86_3 Depth=1
	s_or_b32 exec_lo, exec_lo, s30
	v_add_co_u32 v61, vcc_lo, v21, 2
	v_add_co_ci_u32_e64 v62, null, 0, v22, vcc_lo
	v_cmp_gt_i64_e32 vcc_lo, s[8:9], v[61:62]
	s_and_b32 s31, s1, vcc_lo
	s_and_saveexec_b32 s30, s31
	s_cbranch_execz .LBB86_14
; %bb.13:                               ;   in Loop: Header=BB86_3 Depth=1
	v_add_co_u32 v61, vcc_lo, v49, v19
	v_add_co_ci_u32_e64 v62, null, v50, v20, vcc_lo
	v_add_co_u32 v63, vcc_lo, v51, v19
	v_add_co_ci_u32_e64 v64, null, v52, v20, vcc_lo
	global_load_ushort v5, v[61:62], off
	global_load_ushort v13, v[63:64], off
	s_waitcnt vmcnt(1)
	v_cvt_f32_f16_e32 v5, v5
	s_waitcnt vmcnt(0)
	v_cvt_f32_f16_e32 v13, v13
.LBB86_14:                              ;   in Loop: Header=BB86_3 Depth=1
	;; [unrolled: 19-line block ×7, first 2 shown]
	s_or_b32 exec_lo, exec_lo, s30
	s_waitcnt vmcnt(1)
	ds_bpermute_b32 v61, v2, v59
	ds_bpermute_b32 v62, v2, v59 offset:4
	ds_bpermute_b32 v63, v2, v59 offset:8
	s_waitcnt vmcnt(0)
	ds_bpermute_b32 v64, v2, v60
	ds_bpermute_b32 v65, v2, v59 offset:12
	ds_bpermute_b32 v66, v2, v60 offset:4
	;; [unrolled: 1-line block ×7, first 2 shown]
	s_mov_b32 s30, 0
	s_waitcnt lgkmcnt(10)
	v_sub_f32_e32 v11, v11, v61
	v_add_f32_e32 v61, v58, v3
	s_waitcnt lgkmcnt(9)
	v_sub_f32_e32 v12, v12, v62
	ds_bpermute_b32 v62, v2, v60 offset:16
	s_waitcnt lgkmcnt(9)
	v_sub_f32_e32 v13, v13, v63
	v_mul_f32_e32 v3, v3, v11
	ds_bpermute_b32 v63, v2, v60 offset:20
	v_mul_f32_e32 v12, v4, v12
	v_add_f32_e32 v4, v4, v61
	v_mul_f32_e32 v13, v5, v13
	s_waitcnt lgkmcnt(9)
	v_fma_f32 v11, v3, v64, v57
	s_waitcnt lgkmcnt(8)
	v_sub_f32_e32 v3, v14, v65
	ds_bpermute_b32 v64, v2, v60 offset:24
	v_add_f32_e32 v4, v5, v4
	ds_bpermute_b32 v60, v2, v60 offset:28
	s_waitcnt lgkmcnt(9)
	v_fmac_f32_e32 v11, v12, v66
	s_waitcnt lgkmcnt(8)
	v_sub_f32_e32 v12, v15, v67
	v_mul_f32_e32 v14, v6, v3
	ds_bpermute_b32 v3, v2, v59 offset:28
	s_waitcnt lgkmcnt(6)
	v_sub_f32_e32 v5, v16, v70
	v_fmac_f32_e32 v11, v13, v68
	v_mul_f32_e32 v12, v7, v12
	v_add_f32_e32 v4, v6, v4
	s_waitcnt lgkmcnt(5)
	v_sub_f32_e32 v6, v17, v71
	v_mul_f32_e32 v5, v8, v5
	v_fmac_f32_e32 v11, v14, v69
	v_add_f32_e32 v4, v7, v4
	v_mul_f32_e32 v6, v9, v6
	s_waitcnt lgkmcnt(4)
	v_fmac_f32_e32 v11, v12, v62
	v_add_f32_e32 v4, v8, v4
	s_waitcnt lgkmcnt(3)
	v_fmac_f32_e32 v11, v5, v63
	v_add_f32_e32 v4, v9, v4
	s_waitcnt lgkmcnt(2)
	v_fmac_f32_e32 v11, v6, v64
.LBB86_25:                              ;   in Loop: Header=BB86_3 Depth=1
	s_and_b32 vcc_lo, exec_lo, s30
	s_cbranch_vccz .LBB86_40
; %bb.26:                               ;   in Loop: Header=BB86_3 Depth=1
	s_load_dword s30, s[22:23], 0x0
	s_waitcnt lgkmcnt(0)
	v_mov_b32_e32 v60, 0
	v_mov_b32_e32 v59, 0
	s_cmp_lt_u32 s6, s30
	s_cselect_b32 s30, 12, 18
	s_add_u32 s30, s22, s30
	s_addc_u32 s31, s23, 0
	global_load_ushort v3, v2, s[30:31]
	s_mov_b32 s30, exec_lo
	s_waitcnt vmcnt(0)
	v_mad_u32_u24 v3, v1, v3, v0
	v_and_b32_e32 v3, 31, v3
	v_cmpx_gt_u32_e32 8, v3
	s_cbranch_execz .LBB86_30
; %bb.27:                               ;   in Loop: Header=BB86_3 Depth=1
	v_add_co_u32 v3, vcc_lo, v21, v3
	v_add_co_ci_u32_e64 v4, null, 0, v22, vcc_lo
	v_mov_b32_e32 v59, 0
	v_mov_b32_e32 v60, 0
	s_mov_b32 s31, exec_lo
	v_cmpx_gt_i64_e64 s[8:9], v[3:4]
	s_cbranch_execz .LBB86_29
; %bb.28:                               ;   in Loop: Header=BB86_3 Depth=1
	v_lshlrev_b64 v[3:4], 2, v[3:4]
	v_add_co_u32 v5, vcc_lo, s16, v3
	v_add_co_ci_u32_e64 v6, null, s17, v4, vcc_lo
	v_add_co_u32 v3, vcc_lo, s18, v3
	v_add_co_ci_u32_e64 v4, null, s19, v4, vcc_lo
	global_load_dword v59, v[5:6], off
	global_load_dword v60, v[3:4], off
.LBB86_29:                              ;   in Loop: Header=BB86_3 Depth=1
	s_or_b32 exec_lo, exec_lo, s31
.LBB86_30:                              ;   in Loop: Header=BB86_3 Depth=1
	s_or_b32 exec_lo, exec_lo, s30
	v_mov_b32_e32 v9, v2
	v_mov_b32_e32 v3, v2
	v_mov_b32_e32 v4, v2
	v_mov_b32_e32 v5, v2
	v_mov_b32_e32 v6, v2
	v_mov_b32_e32 v7, v2
	v_mov_b32_e32 v8, v2
	v_mov_b32_e32 v18, v9
	v_mov_b32_e32 v14, v5
	v_mov_b32_e32 v15, v6
	v_mov_b32_e32 v16, v7
	v_mov_b32_e32 v17, v8
	v_mov_b32_e32 v13, v4
	v_mov_b32_e32 v12, v3
	v_mov_b32_e32 v11, v2
	v_mov_b32_e32 v10, v9
	v_mov_b32_e32 v9, v8
	v_mov_b32_e32 v8, v7
	v_mov_b32_e32 v7, v6
	v_mov_b32_e32 v6, v5
	v_mov_b32_e32 v5, v4
	v_mov_b32_e32 v4, v3
	v_mov_b32_e32 v3, v2
	s_and_saveexec_b32 s30, s1
	s_cbranch_execnz .LBB86_42
; %bb.31:                               ;   in Loop: Header=BB86_3 Depth=1
	s_or_b32 exec_lo, exec_lo, s30
	s_and_saveexec_b32 s30, s1
	s_cbranch_execnz .LBB86_43
.LBB86_32:                              ;   in Loop: Header=BB86_3 Depth=1
	s_or_b32 exec_lo, exec_lo, s30
	s_and_saveexec_b32 s30, s1
	s_cbranch_execnz .LBB86_44
.LBB86_33:                              ;   in Loop: Header=BB86_3 Depth=1
	s_or_b32 exec_lo, exec_lo, s30
	s_and_saveexec_b32 s30, s1
	s_cbranch_execnz .LBB86_45
.LBB86_34:                              ;   in Loop: Header=BB86_3 Depth=1
	s_or_b32 exec_lo, exec_lo, s30
	s_and_saveexec_b32 s30, s1
	s_cbranch_execnz .LBB86_46
.LBB86_35:                              ;   in Loop: Header=BB86_3 Depth=1
	s_or_b32 exec_lo, exec_lo, s30
	s_and_saveexec_b32 s30, s1
	s_cbranch_execnz .LBB86_47
.LBB86_36:                              ;   in Loop: Header=BB86_3 Depth=1
	s_or_b32 exec_lo, exec_lo, s30
	s_and_saveexec_b32 s30, s1
	s_cbranch_execnz .LBB86_48
.LBB86_37:                              ;   in Loop: Header=BB86_3 Depth=1
	s_or_b32 exec_lo, exec_lo, s30
	s_and_saveexec_b32 s30, s1
	s_cbranch_execz .LBB86_39
.LBB86_38:                              ;   in Loop: Header=BB86_3 Depth=1
	v_add_co_u32 v21, vcc_lo, v29, v19
	v_add_co_ci_u32_e64 v22, null, v30, v20, vcc_lo
	v_add_co_u32 v61, vcc_lo, v31, v19
	v_add_co_ci_u32_e64 v62, null, v32, v20, vcc_lo
	global_load_ushort v10, v[21:22], off
	global_load_ushort v18, v[61:62], off
	s_waitcnt vmcnt(1)
	v_cvt_f32_f16_e32 v10, v10
	s_waitcnt vmcnt(0)
	v_cvt_f32_f16_e32 v18, v18
.LBB86_39:                              ;   in Loop: Header=BB86_3 Depth=1
	s_or_b32 exec_lo, exec_lo, s30
	s_waitcnt vmcnt(1)
	ds_bpermute_b32 v21, v2, v59
	ds_bpermute_b32 v22, v2, v59 offset:4
	ds_bpermute_b32 v61, v2, v59 offset:8
	s_waitcnt vmcnt(0)
	ds_bpermute_b32 v62, v2, v60
	ds_bpermute_b32 v63, v2, v59 offset:12
	ds_bpermute_b32 v64, v2, v60 offset:4
	;; [unrolled: 1-line block ×5, first 2 shown]
	s_waitcnt lgkmcnt(8)
	v_sub_f32_e32 v11, v11, v21
	ds_bpermute_b32 v21, v2, v60 offset:12
	s_waitcnt lgkmcnt(8)
	v_sub_f32_e32 v12, v12, v22
	ds_bpermute_b32 v22, v2, v60 offset:16
	s_waitcnt lgkmcnt(8)
	v_sub_f32_e32 v13, v13, v61
	v_mul_f32_e32 v11, v3, v11
	v_add_f32_e32 v3, v58, v3
	v_mul_f32_e32 v12, v4, v12
	ds_bpermute_b32 v58, v2, v60 offset:20
	s_waitcnt lgkmcnt(7)
	v_sub_f32_e32 v14, v14, v63
	v_fmac_f32_e32 v57, v11, v62
	ds_bpermute_b32 v11, v2, v59 offset:24
	v_mul_f32_e32 v13, v5, v13
	v_add_f32_e32 v3, v4, v3
	s_waitcnt lgkmcnt(6)
	v_sub_f32_e32 v4, v15, v65
	v_fmac_f32_e32 v57, v12, v64
	v_mul_f32_e32 v12, v6, v14
	s_waitcnt lgkmcnt(4)
	v_sub_f32_e32 v14, v16, v67
	v_add_f32_e32 v5, v5, v3
	v_mul_f32_e32 v4, v7, v4
	v_fmac_f32_e32 v57, v13, v66
	ds_bpermute_b32 v13, v2, v60 offset:24
	ds_bpermute_b32 v60, v2, v60 offset:28
	;; [unrolled: 1-line block ×3, first 2 shown]
	v_add_f32_e32 v5, v6, v5
	s_waitcnt lgkmcnt(6)
	v_fmac_f32_e32 v57, v12, v21
	v_mul_f32_e32 v6, v8, v14
	v_add_f32_e32 v5, v7, v5
	s_waitcnt lgkmcnt(5)
	v_fmac_f32_e32 v57, v4, v22
	s_waitcnt lgkmcnt(3)
	v_sub_f32_e32 v4, v17, v11
	v_add_f32_e32 v5, v8, v5
	v_fmac_f32_e32 v57, v6, v58
	v_mul_f32_e32 v4, v9, v4
	s_waitcnt lgkmcnt(2)
	v_fmac_f32_e32 v57, v4, v13
	v_add_f32_e32 v4, v9, v5
	v_mov_b32_e32 v11, v57
.LBB86_40:                              ;   in Loop: Header=BB86_3 Depth=1
	v_add_co_u32 v25, vcc_lo, v25, s2
	v_add_co_ci_u32_e64 v26, null, s3, v26, vcc_lo
	v_add_co_u32 v27, vcc_lo, v27, s2
	v_add_co_ci_u32_e64 v28, null, s3, v28, vcc_lo
	;; [unrolled: 2-line block ×11, first 2 shown]
	v_add_co_u32 v47, vcc_lo, v47, s2
	s_waitcnt lgkmcnt(0)
	v_sub_f32_e32 v3, v18, v3
	v_add_co_ci_u32_e64 v48, null, s3, v48, vcc_lo
	v_add_co_u32 v49, vcc_lo, v49, s2
	v_add_co_ci_u32_e64 v50, null, s3, v50, vcc_lo
	v_add_co_u32 v51, vcc_lo, v51, s2
	s_add_u32 s26, s26, s29
	v_add_co_ci_u32_e64 v52, null, s3, v52, vcc_lo
	v_add_co_u32 v53, vcc_lo, v53, s2
	v_mul_f32_e32 v3, v10, v3
	s_addc_u32 s27, s27, 0
	v_add_co_ci_u32_e64 v54, null, s3, v54, vcc_lo
	v_add_co_u32 v55, vcc_lo, v55, s2
	v_cmp_lt_i64_e64 s30, s[26:27], s[8:9]
	v_add_co_ci_u32_e64 v56, null, s3, v56, vcc_lo
	v_add_co_u32 v23, vcc_lo, v23, s29
	v_add_f32_e32 v58, v4, v10
	v_fmac_f32_e32 v11, v3, v60
	v_add_co_ci_u32_e64 v24, null, 0, v24, vcc_lo
	s_add_u32 s24, s24, s29
	s_addc_u32 s25, 0, s25
	s_and_b32 vcc_lo, exec_lo, s30
	s_cbranch_vccz .LBB86_50
; %bb.41:                               ;   in Loop: Header=BB86_3 Depth=1
	v_mov_b32_e32 v57, v11
	s_branch .LBB86_3
.LBB86_42:                              ;   in Loop: Header=BB86_3 Depth=1
	v_add_co_u32 v3, vcc_lo, v25, v19
	v_add_co_ci_u32_e64 v4, null, v26, v20, vcc_lo
	v_add_co_u32 v5, vcc_lo, v27, v19
	v_add_co_ci_u32_e64 v6, null, v28, v20, vcc_lo
	global_load_ushort v3, v[3:4], off
	global_load_ushort v11, v[5:6], off
	v_mov_b32_e32 v4, v2
	v_mov_b32_e32 v5, v2
	;; [unrolled: 1-line block ×14, first 2 shown]
	s_waitcnt vmcnt(1)
	v_cvt_f32_f16_e32 v3, v3
	s_waitcnt vmcnt(0)
	v_cvt_f32_f16_e32 v11, v11
	s_or_b32 exec_lo, exec_lo, s30
	s_and_saveexec_b32 s30, s1
	s_cbranch_execz .LBB86_32
.LBB86_43:                              ;   in Loop: Header=BB86_3 Depth=1
	v_add_co_u32 v21, vcc_lo, v53, v19
	v_add_co_ci_u32_e64 v22, null, v54, v20, vcc_lo
	v_add_co_u32 v61, vcc_lo, v55, v19
	v_add_co_ci_u32_e64 v62, null, v56, v20, vcc_lo
	global_load_ushort v4, v[21:22], off
	global_load_ushort v12, v[61:62], off
	s_waitcnt vmcnt(1)
	v_cvt_f32_f16_e32 v4, v4
	s_waitcnt vmcnt(0)
	v_cvt_f32_f16_e32 v12, v12
	s_or_b32 exec_lo, exec_lo, s30
	s_and_saveexec_b32 s30, s1
	s_cbranch_execz .LBB86_33
.LBB86_44:                              ;   in Loop: Header=BB86_3 Depth=1
	v_add_co_u32 v21, vcc_lo, v49, v19
	v_add_co_ci_u32_e64 v22, null, v50, v20, vcc_lo
	v_add_co_u32 v61, vcc_lo, v51, v19
	v_add_co_ci_u32_e64 v62, null, v52, v20, vcc_lo
	global_load_ushort v5, v[21:22], off
	global_load_ushort v13, v[61:62], off
	s_waitcnt vmcnt(1)
	v_cvt_f32_f16_e32 v5, v5
	s_waitcnt vmcnt(0)
	v_cvt_f32_f16_e32 v13, v13
	s_or_b32 exec_lo, exec_lo, s30
	s_and_saveexec_b32 s30, s1
	s_cbranch_execz .LBB86_34
.LBB86_45:                              ;   in Loop: Header=BB86_3 Depth=1
	v_add_co_u32 v21, vcc_lo, v45, v19
	v_add_co_ci_u32_e64 v22, null, v46, v20, vcc_lo
	v_add_co_u32 v61, vcc_lo, v47, v19
	v_add_co_ci_u32_e64 v62, null, v48, v20, vcc_lo
	global_load_ushort v6, v[21:22], off
	global_load_ushort v14, v[61:62], off
	s_waitcnt vmcnt(1)
	v_cvt_f32_f16_e32 v6, v6
	s_waitcnt vmcnt(0)
	v_cvt_f32_f16_e32 v14, v14
	s_or_b32 exec_lo, exec_lo, s30
	s_and_saveexec_b32 s30, s1
	s_cbranch_execz .LBB86_35
.LBB86_46:                              ;   in Loop: Header=BB86_3 Depth=1
	v_add_co_u32 v21, vcc_lo, v41, v19
	v_add_co_ci_u32_e64 v22, null, v42, v20, vcc_lo
	v_add_co_u32 v61, vcc_lo, v43, v19
	v_add_co_ci_u32_e64 v62, null, v44, v20, vcc_lo
	global_load_ushort v7, v[21:22], off
	global_load_ushort v15, v[61:62], off
	s_waitcnt vmcnt(1)
	v_cvt_f32_f16_e32 v7, v7
	s_waitcnt vmcnt(0)
	v_cvt_f32_f16_e32 v15, v15
	s_or_b32 exec_lo, exec_lo, s30
	s_and_saveexec_b32 s30, s1
	s_cbranch_execz .LBB86_36
.LBB86_47:                              ;   in Loop: Header=BB86_3 Depth=1
	v_add_co_u32 v21, vcc_lo, v37, v19
	v_add_co_ci_u32_e64 v22, null, v38, v20, vcc_lo
	v_add_co_u32 v61, vcc_lo, v39, v19
	v_add_co_ci_u32_e64 v62, null, v40, v20, vcc_lo
	global_load_ushort v8, v[21:22], off
	global_load_ushort v16, v[61:62], off
	s_waitcnt vmcnt(1)
	v_cvt_f32_f16_e32 v8, v8
	s_waitcnt vmcnt(0)
	v_cvt_f32_f16_e32 v16, v16
	s_or_b32 exec_lo, exec_lo, s30
	s_and_saveexec_b32 s30, s1
	s_cbranch_execz .LBB86_37
.LBB86_48:                              ;   in Loop: Header=BB86_3 Depth=1
	v_add_co_u32 v21, vcc_lo, v33, v19
	v_add_co_ci_u32_e64 v22, null, v34, v20, vcc_lo
	v_add_co_u32 v61, vcc_lo, v35, v19
	v_add_co_ci_u32_e64 v62, null, v36, v20, vcc_lo
	global_load_ushort v9, v[21:22], off
	global_load_ushort v17, v[61:62], off
	s_waitcnt vmcnt(1)
	v_cvt_f32_f16_e32 v9, v9
	s_waitcnt vmcnt(0)
	v_cvt_f32_f16_e32 v17, v17
	s_or_b32 exec_lo, exec_lo, s30
	s_and_saveexec_b32 s30, s1
	s_cbranch_execnz .LBB86_38
	s_branch .LBB86_39
.LBB86_49:
                                        ; implicit-def: $vgpr11
                                        ; implicit-def: $vgpr58
	s_branch .LBB86_51
.LBB86_50:
	s_cbranch_execnz .LBB86_83
.LBB86_51:
	v_mov_b32_e32 v11, 0
	v_mov_b32_e32 v58, 0
	s_andn2_b32 vcc_lo, exec_lo, s28
	s_cbranch_vccnz .LBB86_83
; %bb.52:
	v_lshlrev_b32_e32 v51, 3, v1
	v_lshlrev_b32_e32 v4, 4, v1
	s_add_u32 s2, s4, 64
	s_addc_u32 s3, s5, 0
	s_lshl_b64 s[22:23], s[20:21], 1
	v_add_co_u32 v10, s1, v51, s20
	v_add_co_ci_u32_e64 v11, null, 0, 0, s1
	v_add_co_u32 v7, s1, v4, s22
	v_mul_lo_u32 v5, s11, v10
	v_mul_lo_u32 v6, s10, v11
	v_mad_u64_u32 v[2:3], null, s10, v10, 0
	v_add_co_ci_u32_e64 v8, null, 0, s23, s1
	v_mov_b32_e32 v87, 0
	v_mov_b32_e32 v86, 0
	s_mov_b64 s[22:23], s[20:21]
	v_add3_u32 v3, v3, v6, v5
	v_add_co_u32 v6, vcc_lo, v7, 2
	v_add_co_ci_u32_e64 v9, null, 0, v8, vcc_lo
	v_lshlrev_b64 v[4:5], 1, v[2:3]
	v_mad_u64_u32 v[19:20], null, s10, v6, s[12:13]
	v_mul_lo_u32 v9, s10, v9
	v_mul_lo_u32 v12, s11, v6
	v_mad_u64_u32 v[33:34], null, s10, v6, s[14:15]
	v_add_co_u32 v52, vcc_lo, s12, v4
	v_add_co_ci_u32_e64 v53, null, s13, v5, vcc_lo
	v_add_co_u32 v54, vcc_lo, s14, v4
	v_add_co_ci_u32_e64 v55, null, s15, v5, vcc_lo
	v_add_co_u32 v4, vcc_lo, v7, 4
	v_add_co_ci_u32_e64 v5, null, 0, v8, vcc_lo
	v_add_co_u32 v13, vcc_lo, v7, 6
	v_add_co_ci_u32_e64 v14, null, 0, v8, vcc_lo
	v_add_co_u32 v16, vcc_lo, v7, 8
	v_mad_u64_u32 v[21:22], null, s10, v4, s[12:13]
	v_mul_lo_u32 v5, s10, v5
	v_mul_lo_u32 v15, s11, v4
	v_add_co_ci_u32_e64 v18, null, 0, v8, vcc_lo
	v_add_co_u32 v41, vcc_lo, v7, 10
	v_mad_u64_u32 v[35:36], null, s10, v4, s[14:15]
	v_add_co_ci_u32_e64 v29, null, 0, v8, vcc_lo
	v_add_co_u32 v44, vcc_lo, v7, 12
	v_add_co_ci_u32_e64 v31, null, 0, v8, vcc_lo
	v_add_co_u32 v7, vcc_lo, v7, 14
	;; [unrolled: 2-line block ×3, first 2 shown]
	v_add3_u32 v22, v15, v22, v5
	v_add3_u32 v36, v15, v36, v5
	v_add_co_ci_u32_e64 v5, null, 0, v11, vcc_lo
	v_add3_u32 v20, v12, v20, v9
	v_add3_u32 v34, v12, v34, v9
	v_mul_lo_u32 v6, s11, v4
	v_mul_lo_u32 v9, s10, v5
	v_mad_u64_u32 v[4:5], null, s10, v4, 0
	v_mul_lo_u32 v49, s10, v31
	v_mad_u64_u32 v[31:32], null, s10, v7, s[12:13]
	v_mul_lo_u32 v8, s10, v8
	v_mul_lo_u32 v56, s11, v7
	v_mad_u64_u32 v[45:46], null, s10, v7, s[14:15]
	v_add3_u32 v5, v5, v9, v6
	v_add_co_u32 v6, vcc_lo, v10, 6
	v_add_co_ci_u32_e64 v7, null, 0, v11, vcc_lo
	v_mad_u64_u32 v[23:24], null, s10, v13, s[12:13]
	v_mul_lo_u32 v14, s10, v14
	v_mul_lo_u32 v17, s11, v13
	v_add3_u32 v32, v56, v32, v8
	v_mad_u64_u32 v[37:38], null, s10, v13, s[14:15]
	v_add3_u32 v46, v56, v46, v8
	v_mul_lo_u32 v8, s11, v6
	v_mul_lo_u32 v9, s10, v7
	v_mad_u64_u32 v[6:7], null, s10, v6, 0
	v_lshlrev_b64 v[4:5], 1, v[4:5]
	v_add_co_u32 v12, vcc_lo, v10, 5
	v_add_co_ci_u32_e64 v13, null, 0, v11, vcc_lo
	v_add3_u32 v24, v17, v24, v14
	v_add_co_u32 v56, vcc_lo, s12, v4
	v_add3_u32 v38, v17, v38, v14
	v_add3_u32 v7, v7, v9, v8
	v_mul_lo_u32 v14, s11, v12
	v_mul_lo_u32 v13, s10, v13
	v_mad_u64_u32 v[8:9], null, s10, v12, 0
	v_add_co_ci_u32_e64 v57, null, s13, v5, vcc_lo
	v_add_co_u32 v12, vcc_lo, v10, 4
	v_add_co_ci_u32_e64 v15, null, 0, v11, vcc_lo
	v_add_co_u32 v59, vcc_lo, s14, v4
	v_add_co_ci_u32_e64 v60, null, s15, v5, vcc_lo
	v_lshlrev_b64 v[4:5], 1, v[6:7]
	v_add3_u32 v9, v9, v13, v14
	v_mul_lo_u32 v13, s11, v12
	v_mul_lo_u32 v14, s10, v15
	v_mad_u64_u32 v[6:7], null, s10, v12, 0
	v_lshlrev_b64 v[8:9], 1, v[8:9]
	v_add_co_u32 v61, vcc_lo, s12, v4
	v_add_co_ci_u32_e64 v62, null, s13, v5, vcc_lo
	v_add_co_u32 v63, vcc_lo, s14, v4
	v_add3_u32 v7, v7, v14, v13
	v_add_co_ci_u32_e64 v64, null, s15, v5, vcc_lo
	v_add_co_u32 v65, vcc_lo, s12, v8
	v_add_co_ci_u32_e64 v66, null, s13, v9, vcc_lo
	v_lshlrev_b64 v[4:5], 1, v[6:7]
	v_add_co_u32 v6, vcc_lo, v10, 3
	v_add_co_ci_u32_e64 v7, null, 0, v11, vcc_lo
	v_add_co_u32 v67, s1, s14, v8
	v_add_co_u32 v8, vcc_lo, v10, 2
	v_add_co_ci_u32_e64 v68, null, s15, v9, s1
	v_mul_lo_u32 v12, s11, v6
	v_add_co_ci_u32_e64 v9, null, 0, v11, vcc_lo
	v_mul_lo_u32 v10, s10, v7
	v_mad_u64_u32 v[6:7], null, s10, v6, 0
	v_mul_lo_u32 v11, s11, v8
	v_mul_lo_u32 v13, s10, v9
	v_mad_u64_u32 v[8:9], null, s10, v8, 0
	v_add_co_u32 v69, vcc_lo, s12, v4
	v_add3_u32 v7, v7, v10, v12
	s_load_dword s1, s[4:5], 0x44
	v_add_co_ci_u32_e64 v70, null, s13, v5, vcc_lo
	v_add_co_u32 v71, vcc_lo, s14, v4
	v_add_co_ci_u32_e64 v72, null, s15, v5, vcc_lo
	v_lshlrev_b64 v[4:5], 1, v[6:7]
	v_add3_u32 v9, v9, v13, v11
	v_add_co_u32 v2, vcc_lo, v2, s10
	v_mad_u64_u32 v[25:26], null, s10, v16, s[12:13]
	v_mul_lo_u32 v18, s10, v18
	v_mul_lo_u32 v43, s11, v16
	v_mad_u64_u32 v[39:40], null, s10, v16, s[14:15]
	v_add_co_ci_u32_e64 v3, null, s11, v3, vcc_lo
	v_lshlrev_b64 v[6:7], 1, v[8:9]
	v_add_co_u32 v73, vcc_lo, s12, v4
	v_add_co_ci_u32_e64 v74, null, s13, v5, vcc_lo
	v_add_co_u32 v75, vcc_lo, s14, v4
	v_lshlrev_b64 v[3:4], 1, v[2:3]
	v_mov_b32_e32 v2, 0
	v_mad_u64_u32 v[27:28], null, s10, v41, s[12:13]
	v_mul_lo_u32 v47, s10, v29
	v_mul_lo_u32 v48, s11, v41
	v_mad_u64_u32 v[41:42], null, s10, v41, s[14:15]
	v_mad_u64_u32 v[29:30], null, s10, v44, s[12:13]
	v_mul_lo_u32 v50, s11, v44
	v_add3_u32 v26, v43, v26, v18
	v_add3_u32 v40, v43, v40, v18
	v_mad_u64_u32 v[43:44], null, s10, v44, s[14:15]
	v_add_co_ci_u32_e64 v76, null, s15, v5, vcc_lo
	v_add_co_u32 v77, vcc_lo, s12, v6
	v_add_co_ci_u32_e64 v78, null, s13, v7, vcc_lo
	v_add_co_u32 v79, vcc_lo, s14, v6
	v_add_nc_u32_e32 v5, s7, v0
	v_mov_b32_e32 v6, v2
	v_add_co_ci_u32_e64 v80, null, s15, v7, vcc_lo
	v_add_co_u32 v81, vcc_lo, s12, v3
	s_waitcnt lgkmcnt(0)
	s_lshl_b32 s24, s1, 3
	v_add_co_ci_u32_e64 v82, null, s13, v4, vcc_lo
	v_add_co_u32 v83, vcc_lo, s14, v3
	v_add3_u32 v28, v48, v28, v47
	v_add3_u32 v42, v48, v42, v47
	s_mul_i32 s1, s11, s24
	s_mul_hi_u32 s7, s10, s24
	v_lshlrev_b64 v[47:48], 1, v[5:6]
	v_add3_u32 v30, v50, v30, v49
	v_add3_u32 v44, v50, v44, v49
	v_add_co_ci_u32_e64 v84, null, s15, v4, vcc_lo
	v_mov_b32_e32 v85, v2
	s_add_i32 s13, s7, s1
	s_mul_i32 s12, s10, s24
	s_mov_b64 s[14:15], 7
	s_lshl_b64 s[12:13], s[12:13], 1
.LBB86_53:                              ; =>This Inner Loop Header: Depth=1
	s_add_u32 s26, s20, s14
	s_addc_u32 s27, 0, s15
	v_add_co_u32 v49, vcc_lo, s20, v51
	v_cmp_ge_i64_e64 s1, s[26:27], s[8:9]
	v_add_co_ci_u32_e64 v50, null, 0, v85, vcc_lo
                                        ; implicit-def: $vgpr58
                                        ; implicit-def: $vgpr11
	s_and_b32 vcc_lo, exec_lo, s1
	s_mov_b32 s1, -1
	s_cbranch_vccz .LBB86_75
; %bb.54:                               ;   in Loop: Header=BB86_53 Depth=1
	s_load_dword s1, s[2:3], 0xc
	v_mov_b32_e32 v88, 0
	v_mov_b32_e32 v58, 0
	s_waitcnt lgkmcnt(0)
	s_and_b32 s1, s1, 0xffff
	v_mad_u32_u24 v3, v1, s1, v0
	s_mov_b32 s1, exec_lo
	v_and_b32_e32 v3, 31, v3
	v_cmpx_gt_u32_e32 8, v3
	s_cbranch_execz .LBB86_58
; %bb.55:                               ;   in Loop: Header=BB86_53 Depth=1
	v_add_co_u32 v3, vcc_lo, v49, v3
	v_add_co_ci_u32_e64 v4, null, 0, v50, vcc_lo
	v_mov_b32_e32 v58, 0
	v_mov_b32_e32 v88, 0
	s_mov_b32 s7, exec_lo
	v_cmpx_gt_i64_e64 s[8:9], v[3:4]
	s_cbranch_execz .LBB86_57
; %bb.56:                               ;   in Loop: Header=BB86_53 Depth=1
	v_lshlrev_b64 v[3:4], 2, v[3:4]
	v_add_co_u32 v5, vcc_lo, s16, v3
	v_add_co_ci_u32_e64 v6, null, s17, v4, vcc_lo
	v_add_co_u32 v3, vcc_lo, s18, v3
	v_add_co_ci_u32_e64 v4, null, s19, v4, vcc_lo
	global_load_dword v58, v[5:6], off
	global_load_dword v88, v[3:4], off
.LBB86_57:                              ;   in Loop: Header=BB86_53 Depth=1
	s_or_b32 exec_lo, exec_lo, s7
.LBB86_58:                              ;   in Loop: Header=BB86_53 Depth=1
	s_or_b32 exec_lo, exec_lo, s1
	v_mov_b32_e32 v9, v2
	v_mov_b32_e32 v3, v2
	v_mov_b32_e32 v4, v2
	v_mov_b32_e32 v5, v2
	v_mov_b32_e32 v6, v2
	v_mov_b32_e32 v7, v2
	v_mov_b32_e32 v8, v2
	v_mov_b32_e32 v18, v9
	v_mov_b32_e32 v14, v5
	v_mov_b32_e32 v15, v6
	v_mov_b32_e32 v16, v7
	v_mov_b32_e32 v17, v8
	v_mov_b32_e32 v13, v4
	v_mov_b32_e32 v12, v3
	v_mov_b32_e32 v11, v2
	v_mov_b32_e32 v10, v9
	v_mov_b32_e32 v9, v8
	v_mov_b32_e32 v8, v7
	v_mov_b32_e32 v7, v6
	v_mov_b32_e32 v6, v5
	v_mov_b32_e32 v5, v4
	v_mov_b32_e32 v4, v3
	v_mov_b32_e32 v3, v2
	s_mov_b32 s1, exec_lo
	v_cmpx_gt_i64_e64 s[8:9], v[49:50]
	s_cbranch_execz .LBB86_60
; %bb.59:                               ;   in Loop: Header=BB86_53 Depth=1
	v_add_co_u32 v3, vcc_lo, v52, v47
	v_add_co_ci_u32_e64 v4, null, v53, v48, vcc_lo
	v_add_co_u32 v5, vcc_lo, v54, v47
	v_add_co_ci_u32_e64 v6, null, v55, v48, vcc_lo
	global_load_ushort v3, v[3:4], off
	global_load_ushort v11, v[5:6], off
	v_mov_b32_e32 v4, v2
	v_mov_b32_e32 v5, v2
	v_mov_b32_e32 v6, v2
	v_mov_b32_e32 v7, v2
	v_mov_b32_e32 v8, v2
	v_mov_b32_e32 v9, v2
	v_mov_b32_e32 v10, v2
	v_mov_b32_e32 v12, v2
	v_mov_b32_e32 v13, v2
	v_mov_b32_e32 v14, v2
	v_mov_b32_e32 v15, v2
	v_mov_b32_e32 v16, v2
	v_mov_b32_e32 v17, v2
	v_mov_b32_e32 v18, v2
	s_waitcnt vmcnt(1)
	v_cvt_f32_f16_e32 v3, v3
	s_waitcnt vmcnt(0)
	v_cvt_f32_f16_e32 v11, v11
.LBB86_60:                              ;   in Loop: Header=BB86_53 Depth=1
	s_or_b32 exec_lo, exec_lo, s1
	v_add_co_u32 v89, vcc_lo, v49, 1
	v_add_co_ci_u32_e64 v90, null, 0, v50, vcc_lo
	s_mov_b32 s1, exec_lo
	v_cmpx_gt_i64_e64 s[8:9], v[89:90]
	s_cbranch_execz .LBB86_62
; %bb.61:                               ;   in Loop: Header=BB86_53 Depth=1
	v_add_co_u32 v89, vcc_lo, v81, v47
	v_add_co_ci_u32_e64 v90, null, v82, v48, vcc_lo
	v_add_co_u32 v91, vcc_lo, v83, v47
	v_add_co_ci_u32_e64 v92, null, v84, v48, vcc_lo
	global_load_ushort v4, v[89:90], off
	global_load_ushort v12, v[91:92], off
	s_waitcnt vmcnt(1)
	v_cvt_f32_f16_e32 v4, v4
	s_waitcnt vmcnt(0)
	v_cvt_f32_f16_e32 v12, v12
.LBB86_62:                              ;   in Loop: Header=BB86_53 Depth=1
	s_or_b32 exec_lo, exec_lo, s1
	v_add_co_u32 v89, vcc_lo, v49, 2
	v_add_co_ci_u32_e64 v90, null, 0, v50, vcc_lo
	s_mov_b32 s1, exec_lo
	v_cmpx_gt_i64_e64 s[8:9], v[89:90]
	s_cbranch_execz .LBB86_64
; %bb.63:                               ;   in Loop: Header=BB86_53 Depth=1
	v_add_co_u32 v89, vcc_lo, v77, v47
	v_add_co_ci_u32_e64 v90, null, v78, v48, vcc_lo
	v_add_co_u32 v91, vcc_lo, v79, v47
	v_add_co_ci_u32_e64 v92, null, v80, v48, vcc_lo
	global_load_ushort v5, v[89:90], off
	global_load_ushort v13, v[91:92], off
	s_waitcnt vmcnt(1)
	v_cvt_f32_f16_e32 v5, v5
	s_waitcnt vmcnt(0)
	v_cvt_f32_f16_e32 v13, v13
.LBB86_64:                              ;   in Loop: Header=BB86_53 Depth=1
	;; [unrolled: 18-line block ×7, first 2 shown]
	s_or_b32 exec_lo, exec_lo, s1
	s_waitcnt vmcnt(1)
	ds_bpermute_b32 v90, v2, v58
	s_waitcnt vmcnt(0)
	ds_bpermute_b32 v89, v2, v88
	s_mov_b32 s1, 0
	s_waitcnt lgkmcnt(1)
	v_sub_f32_e32 v11, v11, v90
	ds_bpermute_b32 v90, v2, v58 offset:4
	v_mul_f32_e32 v11, v3, v11
	v_add_f32_e32 v3, v87, v3
	s_waitcnt lgkmcnt(1)
	v_fma_f32 v11, v11, v89, v86
	ds_bpermute_b32 v89, v2, v88 offset:4
	v_add_f32_e32 v3, v4, v3
	v_add_f32_e32 v3, v5, v3
	s_waitcnt lgkmcnt(1)
	v_sub_f32_e32 v12, v12, v90
	v_add_f32_e32 v3, v6, v3
	v_mul_f32_e32 v12, v4, v12
	ds_bpermute_b32 v4, v2, v88 offset:8
	v_add_f32_e32 v3, v7, v3
	s_waitcnt lgkmcnt(1)
	v_fmac_f32_e32 v11, v12, v89
	ds_bpermute_b32 v12, v2, v58 offset:8
	v_add_f32_e32 v3, v8, v3
	v_add_f32_e32 v3, v9, v3
	s_waitcnt lgkmcnt(0)
	v_sub_f32_e32 v12, v13, v12
	v_mul_f32_e32 v12, v5, v12
	ds_bpermute_b32 v5, v2, v58 offset:12
	v_fmac_f32_e32 v11, v12, v4
	ds_bpermute_b32 v4, v2, v88 offset:12
	s_waitcnt lgkmcnt(1)
	v_sub_f32_e32 v5, v14, v5
	v_mul_f32_e32 v5, v6, v5
	s_waitcnt lgkmcnt(0)
	v_fmac_f32_e32 v11, v5, v4
	ds_bpermute_b32 v5, v2, v58 offset:16
	ds_bpermute_b32 v4, v2, v88 offset:16
	s_waitcnt lgkmcnt(1)
	v_sub_f32_e32 v5, v15, v5
	v_mul_f32_e32 v5, v7, v5
	s_waitcnt lgkmcnt(0)
	v_fmac_f32_e32 v11, v5, v4
	ds_bpermute_b32 v5, v2, v58 offset:20
	;; [unrolled: 7-line block ×4, first 2 shown]
	ds_bpermute_b32 v4, v2, v88 offset:28
	v_add_f32_e32 v58, v10, v3
	s_waitcnt lgkmcnt(1)
	v_sub_f32_e32 v5, v18, v5
	v_mul_f32_e32 v5, v10, v5
	s_waitcnt lgkmcnt(0)
	v_fmac_f32_e32 v11, v5, v4
.LBB86_75:                              ;   in Loop: Header=BB86_53 Depth=1
	s_and_b32 vcc_lo, exec_lo, s1
	s_cbranch_vccz .LBB86_81
; %bb.76:                               ;   in Loop: Header=BB86_53 Depth=1
	s_load_dword s1, s[2:3], 0x0
	v_mov_b32_e32 v6, 0
	v_mov_b32_e32 v5, 0
	s_waitcnt lgkmcnt(0)
	s_cmp_lt_u32 s6, s1
	s_cselect_b32 s1, 12, 18
	s_add_u32 s26, s2, s1
	s_addc_u32 s27, s3, 0
	s_mov_b32 s1, exec_lo
	global_load_ushort v3, v2, s[26:27]
	s_waitcnt vmcnt(0)
	v_mad_u32_u24 v3, v1, v3, v0
	v_and_b32_e32 v3, 31, v3
	v_cmpx_gt_u32_e32 8, v3
	s_cbranch_execz .LBB86_80
; %bb.77:                               ;   in Loop: Header=BB86_53 Depth=1
	v_add_co_u32 v3, vcc_lo, v49, v3
	v_add_co_ci_u32_e64 v4, null, 0, v50, vcc_lo
	v_mov_b32_e32 v5, 0
	v_mov_b32_e32 v6, 0
	s_mov_b32 s7, exec_lo
	v_cmpx_gt_i64_e64 s[8:9], v[3:4]
	s_cbranch_execz .LBB86_79
; %bb.78:                               ;   in Loop: Header=BB86_53 Depth=1
	v_lshlrev_b64 v[3:4], 2, v[3:4]
	v_add_co_u32 v5, vcc_lo, s16, v3
	v_add_co_ci_u32_e64 v6, null, s17, v4, vcc_lo
	v_add_co_u32 v3, vcc_lo, s18, v3
	v_add_co_ci_u32_e64 v4, null, s19, v4, vcc_lo
	global_load_dword v5, v[5:6], off
	global_load_dword v6, v[3:4], off
.LBB86_79:                              ;   in Loop: Header=BB86_53 Depth=1
	s_or_b32 exec_lo, exec_lo, s7
.LBB86_80:                              ;   in Loop: Header=BB86_53 Depth=1
	s_or_b32 exec_lo, exec_lo, s1
	v_add_co_u32 v3, vcc_lo, v52, v47
	v_add_co_ci_u32_e64 v4, null, v53, v48, vcc_lo
	v_add_co_u32 v7, vcc_lo, v54, v47
	v_add_co_ci_u32_e64 v8, null, v55, v48, vcc_lo
	global_load_ushort v15, v[3:4], off
	v_add_co_u32 v3, vcc_lo, v19, v47
	v_add_co_ci_u32_e64 v4, null, v20, v48, vcc_lo
	v_add_co_u32 v9, vcc_lo, v33, v47
	v_add_co_ci_u32_e64 v10, null, v34, v48, vcc_lo
	;; [unrolled: 2-line block ×4, first 2 shown]
	global_load_ushort v16, v[7:8], off
	global_load_ushort v17, v[3:4], off
	;; [unrolled: 1-line block ×5, first 2 shown]
	v_add_co_u32 v3, vcc_lo, v23, v47
	v_add_co_ci_u32_e64 v4, null, v24, v48, vcc_lo
	v_add_co_u32 v7, vcc_lo, v37, v47
	v_add_co_ci_u32_e64 v8, null, v38, v48, vcc_lo
	;; [unrolled: 2-line block ×5, first 2 shown]
	global_load_ushort v58, v[7:8], off
	global_load_ushort v88, v[3:4], off
	;; [unrolled: 1-line block ×5, first 2 shown]
	v_add_co_u32 v3, vcc_lo, v41, v47
	v_add_co_ci_u32_e64 v4, null, v42, v48, vcc_lo
	v_add_co_u32 v7, vcc_lo, v29, v47
	v_add_co_ci_u32_e64 v8, null, v30, v48, vcc_lo
	;; [unrolled: 2-line block ×3, first 2 shown]
	global_load_ushort v13, v[3:4], off
	global_load_ushort v14, v[7:8], off
	;; [unrolled: 1-line block ×3, first 2 shown]
	v_add_co_u32 v7, s1, v45, v47
	v_add_co_u32 v3, vcc_lo, v31, v47
	v_add_co_ci_u32_e64 v8, null, v46, v48, s1
	v_add_co_ci_u32_e64 v4, null, v32, v48, vcc_lo
	global_load_ushort v7, v[7:8], off
	global_load_ushort v3, v[3:4], off
	s_waitcnt vmcnt(17)
	ds_bpermute_b32 v4, v2, v5
	s_waitcnt vmcnt(16)
	ds_bpermute_b32 v8, v2, v6
	ds_bpermute_b32 v90, v2, v5 offset:8
	ds_bpermute_b32 v91, v2, v6 offset:4
	;; [unrolled: 1-line block ×4, first 2 shown]
	s_waitcnt vmcnt(15)
	v_cvt_f32_f16_e32 v15, v15
	s_waitcnt vmcnt(14)
	v_cvt_f32_f16_e32 v10, v16
	ds_bpermute_b32 v16, v2, v5 offset:4
	s_waitcnt vmcnt(12)
	v_cvt_f32_f16_e32 v18, v18
	v_cvt_f32_f16_e32 v17, v17
	s_waitcnt vmcnt(10)
	v_cvt_f32_f16_e32 v50, v50
	s_waitcnt lgkmcnt(6)
	v_sub_f32_e32 v4, v10, v4
	ds_bpermute_b32 v10, v2, v5 offset:12
	v_cvt_f32_f16_e32 v49, v49
	s_waitcnt lgkmcnt(5)
	v_sub_f32_e32 v50, v50, v90
	v_mul_f32_e32 v4, v4, v15
	v_add_f32_e32 v15, v87, v15
	ds_bpermute_b32 v87, v2, v6 offset:20
	ds_bpermute_b32 v90, v2, v6 offset:24
	v_mul_f32_e32 v50, v50, v49
	v_fmac_f32_e32 v86, v4, v8
	ds_bpermute_b32 v8, v2, v5 offset:16
	ds_bpermute_b32 v4, v2, v6 offset:16
	;; [unrolled: 1-line block ×3, first 2 shown]
	s_waitcnt vmcnt(9)
	v_cvt_f32_f16_e32 v58, v58
	s_waitcnt lgkmcnt(6)
	v_sub_f32_e32 v16, v18, v16
	ds_bpermute_b32 v18, v2, v5 offset:20
	s_waitcnt vmcnt(8)
	v_cvt_f32_f16_e32 v88, v88
	s_waitcnt vmcnt(6)
	v_cvt_f32_f16_e32 v11, v11
	s_waitcnt lgkmcnt(6)
	v_sub_f32_e32 v10, v58, v10
	ds_bpermute_b32 v58, v2, v5 offset:24
	v_mul_f32_e32 v16, v16, v17
	ds_bpermute_b32 v5, v2, v5 offset:28
	v_cvt_f32_f16_e32 v89, v89
	v_mul_f32_e32 v10, v10, v88
	s_waitcnt vmcnt(5)
	v_cvt_f32_f16_e32 v12, v12
	v_fmac_f32_e32 v86, v16, v91
	s_waitcnt lgkmcnt(5)
	v_sub_f32_e32 v8, v11, v8
	s_waitcnt vmcnt(4)
	v_cvt_f32_f16_e32 v13, v13
	v_add_f32_e32 v11, v15, v17
	v_fmac_f32_e32 v86, v50, v92
	s_waitcnt vmcnt(2)
	v_cvt_f32_f16_e32 v9, v9
	v_mul_f32_e32 v8, v8, v89
	s_waitcnt lgkmcnt(2)
	v_sub_f32_e32 v13, v13, v18
	v_add_f32_e32 v11, v11, v49
	v_fmac_f32_e32 v86, v10, v93
	v_cvt_f32_f16_e32 v10, v14
	s_waitcnt lgkmcnt(1)
	v_sub_f32_e32 v9, v9, v58
	v_mul_f32_e32 v13, v13, v12
	v_add_f32_e32 v11, v11, v88
	v_fmac_f32_e32 v86, v8, v4
	s_waitcnt vmcnt(1)
	v_cvt_f32_f16_e32 v4, v7
	s_waitcnt vmcnt(0)
	v_cvt_f32_f16_e32 v3, v3
	v_mul_f32_e32 v7, v9, v10
	v_add_f32_e32 v8, v11, v89
	v_fmac_f32_e32 v86, v13, v87
	s_waitcnt lgkmcnt(0)
	v_sub_f32_e32 v4, v4, v5
	v_add_f32_e32 v5, v8, v12
	v_fmac_f32_e32 v86, v7, v90
	v_mul_f32_e32 v4, v4, v3
	v_add_f32_e32 v5, v5, v10
	v_fmac_f32_e32 v86, v4, v6
	v_add_f32_e32 v58, v5, v3
	v_mov_b32_e32 v11, v86
.LBB86_81:                              ;   in Loop: Header=BB86_53 Depth=1
	v_add_co_u32 v52, vcc_lo, v52, s12
	v_add_co_ci_u32_e64 v53, null, s13, v53, vcc_lo
	v_add_co_u32 v54, vcc_lo, v54, s12
	v_add_co_ci_u32_e64 v55, null, s13, v55, vcc_lo
	;; [unrolled: 2-line block ×27, first 2 shown]
	v_add_co_u32 v77, vcc_lo, v77, s12
	s_add_u32 s22, s22, s24
	v_add_co_ci_u32_e64 v78, null, s13, v78, vcc_lo
	v_add_co_u32 v79, vcc_lo, v79, s12
	s_addc_u32 s23, s23, 0
	v_add_co_ci_u32_e64 v80, null, s13, v80, vcc_lo
	v_add_co_u32 v81, vcc_lo, v81, s12
	v_cmp_ge_i64_e64 s1, s[22:23], s[8:9]
	v_add_co_ci_u32_e64 v82, null, s13, v82, vcc_lo
	v_add_co_u32 v83, vcc_lo, v83, s12
	v_add_co_ci_u32_e64 v84, null, s13, v84, vcc_lo
	s_add_u32 s14, s14, s24
	s_addc_u32 s15, 0, s15
	s_and_b32 vcc_lo, exec_lo, s1
	s_cbranch_vccnz .LBB86_83
; %bb.82:                               ;   in Loop: Header=BB86_53 Depth=1
	v_mov_b32_e32 v87, v58
	v_mov_b32_e32 v86, v11
	s_branch .LBB86_53
.LBB86_83:
	s_mov_b32 s7, 0
	s_mov_b32 s1, exec_lo
	s_lshl_b64 s[2:3], s[6:7], 5
	v_or_b32_e32 v4, s2, v0
	v_mov_b32_e32 v5, s3
	v_cmpx_gt_i64_e64 s[10:11], v[4:5]
	s_cbranch_execz .LBB86_88
; %bb.84:
	s_clause 0x1
	s_load_dword s1, s[4:5], 0x4c
	s_load_dwordx4 s[4:7], s[4:5], 0x30
	v_mov_b32_e32 v2, 0
	s_waitcnt lgkmcnt(0)
	s_lshr_b32 s1, s1, 16
	s_cmp_eq_u64 s[4:5], 0
	v_mad_u64_u32 v[2:3], null, s1, s0, v[1:2]
	v_lshlrev_b64 v[0:1], 1, v[4:5]
	v_mul_lo_u32 v3, v3, s10
	v_mul_lo_u32 v6, v2, s11
	s_cbranch_scc1 .LBB86_86
; %bb.85:
	v_mad_u64_u32 v[4:5], null, v2, s10, 0
	v_cvt_f16_f32_e32 v7, v11
	v_add3_u32 v5, v5, v6, v3
	v_lshlrev_b64 v[4:5], 1, v[4:5]
	v_add_co_u32 v4, vcc_lo, s4, v4
	v_add_co_ci_u32_e64 v5, null, s5, v5, vcc_lo
	v_add_co_u32 v4, vcc_lo, v4, v0
	v_add_co_ci_u32_e64 v5, null, v5, v1, vcc_lo
	global_store_short v[4:5], v7, off
.LBB86_86:
	s_cmp_eq_u64 s[6:7], 0
	s_cbranch_scc1 .LBB86_88
; %bb.87:
	v_mad_u64_u32 v[4:5], null, v2, s10, 0
	v_add3_u32 v5, v5, v6, v3
	v_lshlrev_b64 v[2:3], 1, v[4:5]
	v_cvt_f16_f32_e32 v4, v58
	v_add_co_u32 v2, vcc_lo, s6, v2
	v_add_co_ci_u32_e64 v3, null, s7, v3, vcc_lo
	v_add_co_u32 v0, vcc_lo, v2, v0
	v_add_co_ci_u32_e64 v1, null, v3, v1, vcc_lo
	global_store_short v[0:1], v4, off
.LBB86_88:
	s_endpgm
	.section	.rodata,"a",@progbits
	.p2align	6, 0x0
	.amdhsa_kernel _ZN2at6native12_GLOBAL__N_135GammaBetaBackwardCUDAKernelTemplateIN3c104HalfEfLj32ELj1ELj8ELb1ELb0ELb0EEEvllPKT_S7_PKT0_SA_PS5_SB_
		.amdhsa_group_segment_fixed_size 0
		.amdhsa_private_segment_fixed_size 0
		.amdhsa_kernarg_size 320
		.amdhsa_user_sgpr_count 6
		.amdhsa_user_sgpr_private_segment_buffer 1
		.amdhsa_user_sgpr_dispatch_ptr 0
		.amdhsa_user_sgpr_queue_ptr 0
		.amdhsa_user_sgpr_kernarg_segment_ptr 1
		.amdhsa_user_sgpr_dispatch_id 0
		.amdhsa_user_sgpr_flat_scratch_init 0
		.amdhsa_user_sgpr_private_segment_size 0
		.amdhsa_wavefront_size32 1
		.amdhsa_uses_dynamic_stack 0
		.amdhsa_system_sgpr_private_segment_wavefront_offset 0
		.amdhsa_system_sgpr_workgroup_id_x 1
		.amdhsa_system_sgpr_workgroup_id_y 1
		.amdhsa_system_sgpr_workgroup_id_z 0
		.amdhsa_system_sgpr_workgroup_info 0
		.amdhsa_system_vgpr_workitem_id 1
		.amdhsa_next_free_vgpr 94
		.amdhsa_next_free_sgpr 32
		.amdhsa_reserve_vcc 1
		.amdhsa_reserve_flat_scratch 0
		.amdhsa_float_round_mode_32 0
		.amdhsa_float_round_mode_16_64 0
		.amdhsa_float_denorm_mode_32 3
		.amdhsa_float_denorm_mode_16_64 3
		.amdhsa_dx10_clamp 1
		.amdhsa_ieee_mode 1
		.amdhsa_fp16_overflow 0
		.amdhsa_workgroup_processor_mode 1
		.amdhsa_memory_ordered 1
		.amdhsa_forward_progress 1
		.amdhsa_shared_vgpr_count 0
		.amdhsa_exception_fp_ieee_invalid_op 0
		.amdhsa_exception_fp_denorm_src 0
		.amdhsa_exception_fp_ieee_div_zero 0
		.amdhsa_exception_fp_ieee_overflow 0
		.amdhsa_exception_fp_ieee_underflow 0
		.amdhsa_exception_fp_ieee_inexact 0
		.amdhsa_exception_int_div_zero 0
	.end_amdhsa_kernel
	.section	.text._ZN2at6native12_GLOBAL__N_135GammaBetaBackwardCUDAKernelTemplateIN3c104HalfEfLj32ELj1ELj8ELb1ELb0ELb0EEEvllPKT_S7_PKT0_SA_PS5_SB_,"axG",@progbits,_ZN2at6native12_GLOBAL__N_135GammaBetaBackwardCUDAKernelTemplateIN3c104HalfEfLj32ELj1ELj8ELb1ELb0ELb0EEEvllPKT_S7_PKT0_SA_PS5_SB_,comdat
.Lfunc_end86:
	.size	_ZN2at6native12_GLOBAL__N_135GammaBetaBackwardCUDAKernelTemplateIN3c104HalfEfLj32ELj1ELj8ELb1ELb0ELb0EEEvllPKT_S7_PKT0_SA_PS5_SB_, .Lfunc_end86-_ZN2at6native12_GLOBAL__N_135GammaBetaBackwardCUDAKernelTemplateIN3c104HalfEfLj32ELj1ELj8ELb1ELb0ELb0EEEvllPKT_S7_PKT0_SA_PS5_SB_
                                        ; -- End function
	.set _ZN2at6native12_GLOBAL__N_135GammaBetaBackwardCUDAKernelTemplateIN3c104HalfEfLj32ELj1ELj8ELb1ELb0ELb0EEEvllPKT_S7_PKT0_SA_PS5_SB_.num_vgpr, 94
	.set _ZN2at6native12_GLOBAL__N_135GammaBetaBackwardCUDAKernelTemplateIN3c104HalfEfLj32ELj1ELj8ELb1ELb0ELb0EEEvllPKT_S7_PKT0_SA_PS5_SB_.num_agpr, 0
	.set _ZN2at6native12_GLOBAL__N_135GammaBetaBackwardCUDAKernelTemplateIN3c104HalfEfLj32ELj1ELj8ELb1ELb0ELb0EEEvllPKT_S7_PKT0_SA_PS5_SB_.numbered_sgpr, 32
	.set _ZN2at6native12_GLOBAL__N_135GammaBetaBackwardCUDAKernelTemplateIN3c104HalfEfLj32ELj1ELj8ELb1ELb0ELb0EEEvllPKT_S7_PKT0_SA_PS5_SB_.num_named_barrier, 0
	.set _ZN2at6native12_GLOBAL__N_135GammaBetaBackwardCUDAKernelTemplateIN3c104HalfEfLj32ELj1ELj8ELb1ELb0ELb0EEEvllPKT_S7_PKT0_SA_PS5_SB_.private_seg_size, 0
	.set _ZN2at6native12_GLOBAL__N_135GammaBetaBackwardCUDAKernelTemplateIN3c104HalfEfLj32ELj1ELj8ELb1ELb0ELb0EEEvllPKT_S7_PKT0_SA_PS5_SB_.uses_vcc, 1
	.set _ZN2at6native12_GLOBAL__N_135GammaBetaBackwardCUDAKernelTemplateIN3c104HalfEfLj32ELj1ELj8ELb1ELb0ELb0EEEvllPKT_S7_PKT0_SA_PS5_SB_.uses_flat_scratch, 0
	.set _ZN2at6native12_GLOBAL__N_135GammaBetaBackwardCUDAKernelTemplateIN3c104HalfEfLj32ELj1ELj8ELb1ELb0ELb0EEEvllPKT_S7_PKT0_SA_PS5_SB_.has_dyn_sized_stack, 0
	.set _ZN2at6native12_GLOBAL__N_135GammaBetaBackwardCUDAKernelTemplateIN3c104HalfEfLj32ELj1ELj8ELb1ELb0ELb0EEEvllPKT_S7_PKT0_SA_PS5_SB_.has_recursion, 0
	.set _ZN2at6native12_GLOBAL__N_135GammaBetaBackwardCUDAKernelTemplateIN3c104HalfEfLj32ELj1ELj8ELb1ELb0ELb0EEEvllPKT_S7_PKT0_SA_PS5_SB_.has_indirect_call, 0
	.section	.AMDGPU.csdata,"",@progbits
; Kernel info:
; codeLenInByte = 8448
; TotalNumSgprs: 34
; NumVgprs: 94
; ScratchSize: 0
; MemoryBound: 0
; FloatMode: 240
; IeeeMode: 1
; LDSByteSize: 0 bytes/workgroup (compile time only)
; SGPRBlocks: 0
; VGPRBlocks: 11
; NumSGPRsForWavesPerEU: 34
; NumVGPRsForWavesPerEU: 94
; Occupancy: 10
; WaveLimiterHint : 0
; COMPUTE_PGM_RSRC2:SCRATCH_EN: 0
; COMPUTE_PGM_RSRC2:USER_SGPR: 6
; COMPUTE_PGM_RSRC2:TRAP_HANDLER: 0
; COMPUTE_PGM_RSRC2:TGID_X_EN: 1
; COMPUTE_PGM_RSRC2:TGID_Y_EN: 1
; COMPUTE_PGM_RSRC2:TGID_Z_EN: 0
; COMPUTE_PGM_RSRC2:TIDIG_COMP_CNT: 1
	.section	.text._ZN2at6native12_GLOBAL__N_135GammaBetaBackwardCUDAKernelTemplateIN3c104HalfEfLj32ELj8ELj64ELb0ELb1ELb0EEEvllPKT_S7_PKT0_SA_PS5_SB_,"axG",@progbits,_ZN2at6native12_GLOBAL__N_135GammaBetaBackwardCUDAKernelTemplateIN3c104HalfEfLj32ELj8ELj64ELb0ELb1ELb0EEEvllPKT_S7_PKT0_SA_PS5_SB_,comdat
	.globl	_ZN2at6native12_GLOBAL__N_135GammaBetaBackwardCUDAKernelTemplateIN3c104HalfEfLj32ELj8ELj64ELb0ELb1ELb0EEEvllPKT_S7_PKT0_SA_PS5_SB_ ; -- Begin function _ZN2at6native12_GLOBAL__N_135GammaBetaBackwardCUDAKernelTemplateIN3c104HalfEfLj32ELj8ELj64ELb0ELb1ELb0EEEvllPKT_S7_PKT0_SA_PS5_SB_
	.p2align	8
	.type	_ZN2at6native12_GLOBAL__N_135GammaBetaBackwardCUDAKernelTemplateIN3c104HalfEfLj32ELj8ELj64ELb0ELb1ELb0EEEvllPKT_S7_PKT0_SA_PS5_SB_,@function
_ZN2at6native12_GLOBAL__N_135GammaBetaBackwardCUDAKernelTemplateIN3c104HalfEfLj32ELj8ELj64ELb0ELb1ELb0EEEvllPKT_S7_PKT0_SA_PS5_SB_: ; @_ZN2at6native12_GLOBAL__N_135GammaBetaBackwardCUDAKernelTemplateIN3c104HalfEfLj32ELj8ELj64ELb0ELb1ELb0EEEvllPKT_S7_PKT0_SA_PS5_SB_
; %bb.0:
	s_load_dwordx4 s[20:23], s[4:5], 0x0
	s_lshl_b32 s2, s7, 6
	s_mov_b32 s3, 0
	s_waitcnt lgkmcnt(0)
	v_cmp_gt_i64_e64 s0, s[20:21], s[2:3]
	s_and_b32 vcc_lo, exec_lo, s0
	s_cbranch_vccnz .LBB87_2
; %bb.1:
	s_mov_b32 s0, s3
	s_branch .LBB87_3
.LBB87_2:
	s_mov_b32 s0, -1
.LBB87_3:
	s_load_dwordx4 s[16:19], s[4:5], 0x30
	v_mov_b32_e32 v15, 0
	v_mov_b32_e32 v17, 0
	s_andn2_b32 vcc_lo, exec_lo, s0
	s_cbranch_vccnz .LBB87_10
; %bb.4:
	s_clause 0x2
	s_load_dword s0, s[4:5], 0x4c
	s_load_dword s1, s[4:5], 0x44
	s_load_dwordx8 s[8:15], s[4:5], 0x10
	v_lshlrev_b32_e32 v2, 3, v1
	v_mov_b32_e32 v3, 0
	v_mov_b32_e32 v8, 8
	v_mov_b32_e32 v9, 4
	v_mov_b32_e32 v10, 12
	v_add_co_u32 v4, s4, v2, s2
	v_add_co_ci_u32_e64 v5, null, 0, 0, s4
	v_lshl_add_u32 v2, s6, 5, v0
	v_mul_lo_u32 v17, s23, v4
	v_mad_u64_u32 v[6:7], null, s22, v4, 0
	v_mul_lo_u32 v18, s22, v5
	v_mov_b32_e32 v11, 16
	v_mov_b32_e32 v12, 20
	;; [unrolled: 1-line block ×3, first 2 shown]
	s_waitcnt lgkmcnt(0)
	s_and_b32 s0, s0, 0xffff
	s_lshl_b32 s4, s1, 6
	v_mad_u32_u24 v15, v1, s0, v0
	s_mul_i32 s1, s23, s4
	v_add3_u32 v7, v7, v18, v17
	s_mul_hi_u32 s7, s22, s4
	v_mov_b32_e32 v14, 28
	v_and_b32_e32 v19, 31, v15
	v_lshlrev_b64 v[15:16], 1, v[2:3]
	v_lshlrev_b64 v[17:18], 1, v[6:7]
	s_mov_b32 s5, 0
	s_add_i32 s27, s7, s1
	v_add_co_u32 v4, vcc_lo, v4, v19
	v_add_co_ci_u32_e64 v5, null, 0, v5, vcc_lo
	v_add_co_u32 v2, vcc_lo, v17, v15
	v_cmp_gt_u32_e64 s0, 8, v19
	v_lshlrev_b64 v[6:7], 2, v[4:5]
	v_add_co_ci_u32_e64 v16, null, v18, v16, vcc_lo
	v_mov_b32_e32 v17, 0
	v_mov_b32_e32 v15, 0
	s_mul_i32 s26, s22, s4
	s_lshl_b64 s[24:25], s[4:5], 2
	s_lshl_b64 s[26:27], s[26:27], 1
	;; [unrolled: 1-line block ×3, first 2 shown]
	s_branch .LBB87_7
.LBB87_5:                               ;   in Loop: Header=BB87_7 Depth=1
	s_or_b32 exec_lo, exec_lo, s5
.LBB87_6:                               ;   in Loop: Header=BB87_7 Depth=1
	s_or_b32 exec_lo, exec_lo, s1
	v_add_co_u32 v20, vcc_lo, s8, v2
	v_add_co_ci_u32_e64 v21, null, s9, v16, vcc_lo
	v_add_co_u32 v22, vcc_lo, s10, v2
	v_add_co_ci_u32_e64 v23, null, s11, v16, vcc_lo
	;; [unrolled: 2-line block ×5, first 2 shown]
	global_load_ushort v30, v[20:21], off
	global_load_ushort v31, v[22:23], off
	;; [unrolled: 1-line block ×5, first 2 shown]
	v_add_co_u32 v20, vcc_lo, v26, s22
	v_add_co_ci_u32_e64 v21, null, s23, v27, vcc_lo
	v_add_co_u32 v22, vcc_lo, v28, s22
	v_add_co_ci_u32_e64 v23, null, s23, v29, vcc_lo
	;; [unrolled: 2-line block ×5, first 2 shown]
	global_load_ushort v35, v[20:21], off
	global_load_ushort v36, v[22:23], off
	;; [unrolled: 1-line block ×5, first 2 shown]
	v_add_co_u32 v20, vcc_lo, v26, s22
	v_add_co_ci_u32_e64 v21, null, s23, v27, vcc_lo
	v_add_co_u32 v22, vcc_lo, v28, s22
	v_add_co_ci_u32_e64 v23, null, s23, v29, vcc_lo
	;; [unrolled: 2-line block ×4, first 2 shown]
	global_load_ushort v28, v[20:21], off
	global_load_ushort v29, v[22:23], off
	;; [unrolled: 1-line block ×4, first 2 shown]
	v_add_co_u32 v20, vcc_lo, v26, s22
	v_add_co_ci_u32_e64 v21, null, s23, v27, vcc_lo
	v_add_co_u32 v22, vcc_lo, v24, s22
	v_add_co_ci_u32_e64 v23, null, s23, v25, vcc_lo
	global_load_ushort v20, v[20:21], off
	global_load_ushort v21, v[22:23], off
	s_waitcnt vmcnt(17)
	ds_bpermute_b32 v22, v3, v18
	ds_bpermute_b32 v25, v9, v18
	s_waitcnt vmcnt(16)
	ds_bpermute_b32 v23, v3, v19
	ds_bpermute_b32 v27, v8, v18
	;; [unrolled: 1-line block ×14, first 2 shown]
	s_add_u32 s2, s2, s4
	v_add_co_u32 v6, vcc_lo, v6, s24
	s_addc_u32 s3, s3, 0
	v_add_co_ci_u32_e64 v7, null, s25, v7, vcc_lo
	v_add_co_u32 v4, vcc_lo, v4, s4
	v_cmp_lt_i64_e64 s1, s[2:3], s[20:21]
	v_add_co_ci_u32_e64 v5, null, 0, v5, vcc_lo
	v_add_co_u32 v2, vcc_lo, v2, s26
	v_add_co_ci_u32_e64 v16, null, s27, v16, vcc_lo
	s_and_b32 vcc_lo, exec_lo, s1
	s_waitcnt vmcnt(15)
	v_cvt_f32_f16_e32 v30, v30
	s_waitcnt vmcnt(14)
	v_cvt_f32_f16_e32 v31, v31
	;; [unrolled: 2-line block ×3, first 2 shown]
	v_add_f32_e32 v17, v17, v30
	s_waitcnt lgkmcnt(15)
	v_sub_f32_e32 v22, v31, v22
	v_cvt_f32_f16_e32 v31, v32
	s_waitcnt lgkmcnt(14)
	v_sub_f32_e32 v25, v33, v25
	v_mul_f32_e32 v22, v22, v30
	s_waitcnt vmcnt(11)
	v_cvt_f32_f16_e32 v30, v34
	v_add_f32_e32 v17, v17, v31
	s_waitcnt lgkmcnt(13)
	v_fmac_f32_e32 v15, v22, v23
	v_mul_f32_e32 v22, v25, v31
	v_add_f32_e32 v17, v17, v30
	s_waitcnt vmcnt(10)
	v_cvt_f32_f16_e32 v32, v35
	s_waitcnt lgkmcnt(11)
	v_fmac_f32_e32 v15, v22, v24
	s_waitcnt vmcnt(8)
	v_cvt_f32_f16_e32 v25, v37
	s_waitcnt vmcnt(6)
	v_cvt_f32_f16_e32 v24, v39
	v_sub_f32_e32 v23, v32, v27
	v_cvt_f32_f16_e32 v27, v36
	v_mul_f32_e32 v22, v23, v30
	s_waitcnt lgkmcnt(10)
	v_sub_f32_e32 v23, v25, v43
	v_cvt_f32_f16_e32 v25, v38
	v_add_f32_e32 v17, v17, v27
	s_waitcnt lgkmcnt(9)
	v_fmac_f32_e32 v15, v22, v26
	v_mul_f32_e32 v22, v23, v27
	s_waitcnt lgkmcnt(8)
	v_sub_f32_e32 v23, v24, v45
	s_waitcnt vmcnt(5)
	v_cvt_f32_f16_e32 v26, v28
	s_waitcnt vmcnt(4)
	v_cvt_f32_f16_e32 v24, v29
	v_add_f32_e32 v17, v17, v25
	s_waitcnt lgkmcnt(7)
	v_fmac_f32_e32 v15, v22, v42
	v_mul_f32_e32 v22, v23, v25
	s_waitcnt vmcnt(3)
	v_cvt_f32_f16_e32 v25, v40
	s_waitcnt lgkmcnt(6)
	v_sub_f32_e32 v23, v24, v47
	s_waitcnt vmcnt(2)
	v_cvt_f32_f16_e32 v24, v41
	v_add_f32_e32 v17, v17, v26
	s_waitcnt lgkmcnt(5)
	v_fmac_f32_e32 v15, v22, v44
	v_mul_f32_e32 v22, v23, v26
	s_waitcnt lgkmcnt(4)
	v_sub_f32_e32 v23, v24, v49
	s_waitcnt vmcnt(1)
	v_cvt_f32_f16_e32 v20, v20
	s_waitcnt vmcnt(0)
	v_cvt_f32_f16_e32 v21, v21
	v_add_f32_e32 v17, v17, v25
	s_waitcnt lgkmcnt(3)
	v_fmac_f32_e32 v15, v22, v46
	v_mul_f32_e32 v22, v23, v25
	s_waitcnt lgkmcnt(2)
	v_sub_f32_e32 v18, v20, v18
	v_add_f32_e32 v17, v17, v21
	s_waitcnt lgkmcnt(1)
	v_fmac_f32_e32 v15, v22, v48
	v_mul_f32_e32 v18, v18, v21
	s_waitcnt lgkmcnt(0)
	v_fmac_f32_e32 v15, v18, v19
	s_cbranch_vccz .LBB87_10
.LBB87_7:                               ; =>This Inner Loop Header: Depth=1
	v_mov_b32_e32 v19, 0
	v_mov_b32_e32 v18, 0
	s_and_saveexec_b32 s1, s0
	s_cbranch_execz .LBB87_6
; %bb.8:                                ;   in Loop: Header=BB87_7 Depth=1
	v_mov_b32_e32 v18, 0
	v_mov_b32_e32 v19, 0
	s_mov_b32 s5, exec_lo
	v_cmpx_gt_i64_e64 s[20:21], v[4:5]
	s_cbranch_execz .LBB87_5
; %bb.9:                                ;   in Loop: Header=BB87_7 Depth=1
	v_add_co_u32 v18, vcc_lo, s12, v6
	v_add_co_ci_u32_e64 v19, null, s13, v7, vcc_lo
	v_add_co_u32 v20, vcc_lo, s14, v6
	v_add_co_ci_u32_e64 v21, null, s15, v7, vcc_lo
	global_load_dword v18, v[18:19], off
	global_load_dword v19, v[20:21], off
	s_branch .LBB87_5
.LBB87_10:
	v_mad_u32_u24 v2, v1, 33, v0
	v_lshrrev_b32_e32 v3, 5, v0
	s_mov_b32 s0, exec_lo
	v_lshl_add_u32 v4, v2, 2, 0
	v_add_nc_u32_e32 v2, v3, v1
	ds_write_b32 v4, v15
	ds_write_b32 v4, v17 offset:1056
	s_waitcnt lgkmcnt(0)
	s_barrier
	buffer_gl0_inv
	v_cmpx_gt_u32_e32 32, v2
	s_cbranch_execz .LBB87_42
; %bb.11:
	v_and_b32_e32 v1, 31, v0
                                        ; implicit-def: $vgpr6
	v_cmp_gt_u32_e64 s0, 8, v1
	v_mul_u32_u24_e32 v3, 33, v1
                                        ; implicit-def: $vgpr1
	s_and_saveexec_b32 s1, s0
	s_cbranch_execz .LBB87_13
; %bb.12:
	v_add_nc_u32_e32 v1, v2, v3
	v_lshl_add_u32 v1, v1, 2, 0
	ds_read_b32 v6, v1
	ds_read_b32 v1, v1 offset:1056
.LBB87_13:
	s_or_b32 exec_lo, exec_lo, s1
	v_mbcnt_lo_u32_b32 v7, -1, 0
	s_mov_b32 s7, 0
	v_cmp_eq_u32_e64 s1, 0, v0
	s_lshl_b64 s[2:3], s[6:7], 5
	s_cmp_lg_u64 s[16:17], 0
	v_xor_b32_e32 v4, 4, v7
	v_xor_b32_e32 v5, 2, v7
	s_cselect_b32 s5, -1, 0
	s_cmp_lg_u64 s[18:19], 0
	s_cselect_b32 s4, -1, 0
	v_cmp_gt_i32_e32 vcc_lo, 32, v4
	v_cndmask_b32_e32 v4, v7, v4, vcc_lo
	v_cmp_gt_i32_e32 vcc_lo, 32, v5
	v_lshlrev_b32_e32 v4, 2, v4
	v_cndmask_b32_e32 v5, v7, v5, vcc_lo
	s_waitcnt lgkmcnt(1)
	ds_bpermute_b32 v8, v4, v6
	s_waitcnt lgkmcnt(1)
	ds_bpermute_b32 v9, v4, v1
	v_lshlrev_b32_e32 v5, 2, v5
	s_waitcnt lgkmcnt(1)
	v_add_f32_e32 v8, v6, v8
	s_waitcnt lgkmcnt(0)
	v_add_f32_e32 v1, v1, v9
	v_xor_b32_e32 v6, 1, v7
	ds_bpermute_b32 v9, v5, v8
	ds_bpermute_b32 v10, v5, v1
	v_cmp_gt_i32_e32 vcc_lo, 32, v6
	v_cndmask_b32_e32 v6, v7, v6, vcc_lo
	v_lshlrev_b32_e32 v6, 2, v6
	s_waitcnt lgkmcnt(1)
	v_add_f32_e32 v7, v8, v9
	s_waitcnt lgkmcnt(0)
	v_add_f32_e32 v1, v1, v10
	ds_bpermute_b32 v8, v6, v7
	ds_bpermute_b32 v9, v6, v1
	s_waitcnt lgkmcnt(1)
	v_add_f32_e32 v7, v7, v8
	s_waitcnt lgkmcnt(0)
	v_add_f32_e32 v8, v1, v9
	s_and_saveexec_b32 s6, s1
	s_cbranch_execz .LBB87_18
; %bb.14:
	v_mov_b32_e32 v1, s3
	v_or_b32_e32 v0, s2, v2
	s_andn2_b32 vcc_lo, exec_lo, s5
	v_lshlrev_b64 v[0:1], 1, v[0:1]
	s_cbranch_vccnz .LBB87_16
; %bb.15:
	v_add_co_u32 v9, vcc_lo, s16, v0
	v_add_co_ci_u32_e64 v10, null, s17, v1, vcc_lo
	v_cvt_f16_f32_e32 v11, v7
	global_store_short v[9:10], v11, off
.LBB87_16:
	s_andn2_b32 vcc_lo, exec_lo, s4
	s_cbranch_vccnz .LBB87_18
; %bb.17:
	v_add_co_u32 v0, vcc_lo, s18, v0
	v_add_co_ci_u32_e64 v1, null, s19, v1, vcc_lo
	v_cvt_f16_f32_e32 v9, v8
	global_store_short v[0:1], v9, off
.LBB87_18:
	s_or_b32 exec_lo, exec_lo, s6
	v_cmp_gt_u32_e32 vcc_lo, 24, v2
	s_and_b32 exec_lo, exec_lo, vcc_lo
	s_cbranch_execz .LBB87_42
; %bb.19:
	s_and_saveexec_b32 s6, s0
	s_cbranch_execz .LBB87_21
; %bb.20:
	v_add_nc_u32_e32 v0, v2, v3
	v_lshl_add_u32 v0, v0, 2, 0
	ds_read_b32 v7, v0 offset:32
	ds_read_b32 v8, v0 offset:1088
.LBB87_21:
	s_or_b32 exec_lo, exec_lo, s6
	s_waitcnt lgkmcnt(1)
	ds_bpermute_b32 v0, v4, v7
	s_waitcnt lgkmcnt(1)
	ds_bpermute_b32 v1, v4, v8
	s_waitcnt lgkmcnt(1)
	v_add_f32_e32 v0, v7, v0
	s_waitcnt lgkmcnt(0)
	v_add_f32_e32 v1, v8, v1
	ds_bpermute_b32 v7, v5, v0
	ds_bpermute_b32 v8, v5, v1
	s_waitcnt lgkmcnt(1)
	v_add_f32_e32 v0, v0, v7
	s_waitcnt lgkmcnt(0)
	v_add_f32_e32 v1, v1, v8
	ds_bpermute_b32 v7, v6, v0
	ds_bpermute_b32 v8, v6, v1
	s_waitcnt lgkmcnt(1)
	v_add_f32_e32 v0, v0, v7
	s_waitcnt lgkmcnt(0)
	v_add_f32_e32 v1, v1, v8
	s_and_saveexec_b32 s6, s1
	s_cbranch_execz .LBB87_26
; %bb.22:
	s_andn2_b32 vcc_lo, exec_lo, s5
	s_cbranch_vccnz .LBB87_24
; %bb.23:
	v_add_co_u32 v7, s7, s2, v2
	v_add_co_ci_u32_e64 v8, null, s3, 0, s7
	v_cvt_f16_f32_e32 v9, v0
	v_lshlrev_b64 v[7:8], 1, v[7:8]
	v_add_co_u32 v7, vcc_lo, s16, v7
	v_add_co_ci_u32_e64 v8, null, s17, v8, vcc_lo
	global_store_short v[7:8], v9, off offset:16
.LBB87_24:
	s_andn2_b32 vcc_lo, exec_lo, s4
	s_cbranch_vccnz .LBB87_26
; %bb.25:
	v_add_co_u32 v7, s7, s2, v2
	v_add_co_ci_u32_e64 v8, null, s3, 0, s7
	v_cvt_f16_f32_e32 v9, v1
	v_lshlrev_b64 v[7:8], 1, v[7:8]
	v_add_co_u32 v7, vcc_lo, s18, v7
	v_add_co_ci_u32_e64 v8, null, s19, v8, vcc_lo
	global_store_short v[7:8], v9, off offset:16
.LBB87_26:
	s_or_b32 exec_lo, exec_lo, s6
	v_cmp_gt_u32_e32 vcc_lo, 16, v2
	s_and_b32 exec_lo, exec_lo, vcc_lo
	s_cbranch_execz .LBB87_42
; %bb.27:
	s_and_saveexec_b32 s6, s0
	s_cbranch_execz .LBB87_29
; %bb.28:
	v_add_nc_u32_e32 v0, v2, v3
	v_lshl_add_u32 v1, v0, 2, 0
	ds_read_b32 v0, v1 offset:64
	ds_read_b32 v1, v1 offset:1120
.LBB87_29:
	s_or_b32 exec_lo, exec_lo, s6
	s_waitcnt lgkmcnt(1)
	ds_bpermute_b32 v7, v4, v0
	s_waitcnt lgkmcnt(1)
	ds_bpermute_b32 v8, v4, v1
	s_waitcnt lgkmcnt(1)
	v_add_f32_e32 v0, v0, v7
	s_waitcnt lgkmcnt(0)
	v_add_f32_e32 v1, v1, v8
	ds_bpermute_b32 v7, v5, v0
	ds_bpermute_b32 v8, v5, v1
	s_waitcnt lgkmcnt(1)
	v_add_f32_e32 v0, v0, v7
	s_waitcnt lgkmcnt(0)
	v_add_f32_e32 v1, v1, v8
	ds_bpermute_b32 v7, v6, v0
	ds_bpermute_b32 v8, v6, v1
	s_waitcnt lgkmcnt(1)
	v_add_f32_e32 v0, v0, v7
	s_waitcnt lgkmcnt(0)
	v_add_f32_e32 v1, v1, v8
	s_and_saveexec_b32 s6, s1
	s_cbranch_execz .LBB87_34
; %bb.30:
	s_andn2_b32 vcc_lo, exec_lo, s5
	s_cbranch_vccnz .LBB87_32
; %bb.31:
	v_add_co_u32 v7, s7, s2, v2
	v_add_co_ci_u32_e64 v8, null, s3, 0, s7
	v_cvt_f16_f32_e32 v9, v0
	v_lshlrev_b64 v[7:8], 1, v[7:8]
	v_add_co_u32 v7, vcc_lo, s16, v7
	v_add_co_ci_u32_e64 v8, null, s17, v8, vcc_lo
	global_store_short v[7:8], v9, off offset:32
.LBB87_32:
	s_andn2_b32 vcc_lo, exec_lo, s4
	s_cbranch_vccnz .LBB87_34
; %bb.33:
	v_add_co_u32 v7, s7, s2, v2
	v_add_co_ci_u32_e64 v8, null, s3, 0, s7
	v_cvt_f16_f32_e32 v9, v1
	v_lshlrev_b64 v[7:8], 1, v[7:8]
	v_add_co_u32 v7, vcc_lo, s18, v7
	v_add_co_ci_u32_e64 v8, null, s19, v8, vcc_lo
	global_store_short v[7:8], v9, off offset:32
.LBB87_34:
	s_or_b32 exec_lo, exec_lo, s6
	v_cmp_gt_u32_e32 vcc_lo, 8, v2
	s_and_b32 exec_lo, exec_lo, vcc_lo
	s_cbranch_execz .LBB87_42
; %bb.35:
	s_and_saveexec_b32 s6, s0
	s_cbranch_execz .LBB87_37
; %bb.36:
	v_add_nc_u32_e32 v0, v2, v3
	v_lshl_add_u32 v1, v0, 2, 0
	ds_read_b32 v0, v1 offset:96
	ds_read_b32 v1, v1 offset:1152
.LBB87_37:
	s_or_b32 exec_lo, exec_lo, s6
	s_waitcnt lgkmcnt(1)
	ds_bpermute_b32 v3, v4, v0
	s_waitcnt lgkmcnt(1)
	ds_bpermute_b32 v4, v4, v1
	s_waitcnt lgkmcnt(1)
	v_add_f32_e32 v0, v0, v3
	s_waitcnt lgkmcnt(0)
	v_add_f32_e32 v1, v1, v4
	ds_bpermute_b32 v3, v5, v0
	ds_bpermute_b32 v4, v5, v1
	s_waitcnt lgkmcnt(1)
	v_add_f32_e32 v3, v0, v3
	s_waitcnt lgkmcnt(0)
	v_add_f32_e32 v0, v1, v4
	ds_bpermute_b32 v4, v6, v3
	ds_bpermute_b32 v1, v6, v0
	s_and_b32 exec_lo, exec_lo, s1
	s_cbranch_execz .LBB87_42
; %bb.38:
	s_andn2_b32 vcc_lo, exec_lo, s5
	s_cbranch_vccnz .LBB87_40
; %bb.39:
	v_add_co_u32 v5, s0, s2, v2
	v_add_co_ci_u32_e64 v6, null, s3, 0, s0
	s_waitcnt lgkmcnt(1)
	v_add_f32_e32 v7, v3, v4
	v_lshlrev_b64 v[5:6], 1, v[5:6]
	v_add_co_u32 v3, vcc_lo, s16, v5
	v_add_co_ci_u32_e64 v4, null, s17, v6, vcc_lo
	v_cvt_f16_f32_e32 v5, v7
	global_store_short v[3:4], v5, off offset:48
.LBB87_40:
	s_andn2_b32 vcc_lo, exec_lo, s4
	s_cbranch_vccnz .LBB87_42
; %bb.41:
	v_add_co_u32 v2, s0, s2, v2
	v_add_co_ci_u32_e64 v3, null, s3, 0, s0
	s_waitcnt lgkmcnt(0)
	v_add_f32_e32 v4, v0, v1
	v_lshlrev_b64 v[2:3], 1, v[2:3]
	v_add_co_u32 v0, vcc_lo, s18, v2
	v_add_co_ci_u32_e64 v1, null, s19, v3, vcc_lo
	v_cvt_f16_f32_e32 v2, v4
	global_store_short v[0:1], v2, off offset:48
.LBB87_42:
	s_endpgm
	.section	.rodata,"a",@progbits
	.p2align	6, 0x0
	.amdhsa_kernel _ZN2at6native12_GLOBAL__N_135GammaBetaBackwardCUDAKernelTemplateIN3c104HalfEfLj32ELj8ELj64ELb0ELb1ELb0EEEvllPKT_S7_PKT0_SA_PS5_SB_
		.amdhsa_group_segment_fixed_size 0
		.amdhsa_private_segment_fixed_size 0
		.amdhsa_kernarg_size 320
		.amdhsa_user_sgpr_count 6
		.amdhsa_user_sgpr_private_segment_buffer 1
		.amdhsa_user_sgpr_dispatch_ptr 0
		.amdhsa_user_sgpr_queue_ptr 0
		.amdhsa_user_sgpr_kernarg_segment_ptr 1
		.amdhsa_user_sgpr_dispatch_id 0
		.amdhsa_user_sgpr_flat_scratch_init 0
		.amdhsa_user_sgpr_private_segment_size 0
		.amdhsa_wavefront_size32 1
		.amdhsa_uses_dynamic_stack 0
		.amdhsa_system_sgpr_private_segment_wavefront_offset 0
		.amdhsa_system_sgpr_workgroup_id_x 1
		.amdhsa_system_sgpr_workgroup_id_y 1
		.amdhsa_system_sgpr_workgroup_id_z 0
		.amdhsa_system_sgpr_workgroup_info 0
		.amdhsa_system_vgpr_workitem_id 1
		.amdhsa_next_free_vgpr 50
		.amdhsa_next_free_sgpr 28
		.amdhsa_reserve_vcc 1
		.amdhsa_reserve_flat_scratch 0
		.amdhsa_float_round_mode_32 0
		.amdhsa_float_round_mode_16_64 0
		.amdhsa_float_denorm_mode_32 3
		.amdhsa_float_denorm_mode_16_64 3
		.amdhsa_dx10_clamp 1
		.amdhsa_ieee_mode 1
		.amdhsa_fp16_overflow 0
		.amdhsa_workgroup_processor_mode 1
		.amdhsa_memory_ordered 1
		.amdhsa_forward_progress 1
		.amdhsa_shared_vgpr_count 0
		.amdhsa_exception_fp_ieee_invalid_op 0
		.amdhsa_exception_fp_denorm_src 0
		.amdhsa_exception_fp_ieee_div_zero 0
		.amdhsa_exception_fp_ieee_overflow 0
		.amdhsa_exception_fp_ieee_underflow 0
		.amdhsa_exception_fp_ieee_inexact 0
		.amdhsa_exception_int_div_zero 0
	.end_amdhsa_kernel
	.section	.text._ZN2at6native12_GLOBAL__N_135GammaBetaBackwardCUDAKernelTemplateIN3c104HalfEfLj32ELj8ELj64ELb0ELb1ELb0EEEvllPKT_S7_PKT0_SA_PS5_SB_,"axG",@progbits,_ZN2at6native12_GLOBAL__N_135GammaBetaBackwardCUDAKernelTemplateIN3c104HalfEfLj32ELj8ELj64ELb0ELb1ELb0EEEvllPKT_S7_PKT0_SA_PS5_SB_,comdat
.Lfunc_end87:
	.size	_ZN2at6native12_GLOBAL__N_135GammaBetaBackwardCUDAKernelTemplateIN3c104HalfEfLj32ELj8ELj64ELb0ELb1ELb0EEEvllPKT_S7_PKT0_SA_PS5_SB_, .Lfunc_end87-_ZN2at6native12_GLOBAL__N_135GammaBetaBackwardCUDAKernelTemplateIN3c104HalfEfLj32ELj8ELj64ELb0ELb1ELb0EEEvllPKT_S7_PKT0_SA_PS5_SB_
                                        ; -- End function
	.set _ZN2at6native12_GLOBAL__N_135GammaBetaBackwardCUDAKernelTemplateIN3c104HalfEfLj32ELj8ELj64ELb0ELb1ELb0EEEvllPKT_S7_PKT0_SA_PS5_SB_.num_vgpr, 50
	.set _ZN2at6native12_GLOBAL__N_135GammaBetaBackwardCUDAKernelTemplateIN3c104HalfEfLj32ELj8ELj64ELb0ELb1ELb0EEEvllPKT_S7_PKT0_SA_PS5_SB_.num_agpr, 0
	.set _ZN2at6native12_GLOBAL__N_135GammaBetaBackwardCUDAKernelTemplateIN3c104HalfEfLj32ELj8ELj64ELb0ELb1ELb0EEEvllPKT_S7_PKT0_SA_PS5_SB_.numbered_sgpr, 28
	.set _ZN2at6native12_GLOBAL__N_135GammaBetaBackwardCUDAKernelTemplateIN3c104HalfEfLj32ELj8ELj64ELb0ELb1ELb0EEEvllPKT_S7_PKT0_SA_PS5_SB_.num_named_barrier, 0
	.set _ZN2at6native12_GLOBAL__N_135GammaBetaBackwardCUDAKernelTemplateIN3c104HalfEfLj32ELj8ELj64ELb0ELb1ELb0EEEvllPKT_S7_PKT0_SA_PS5_SB_.private_seg_size, 0
	.set _ZN2at6native12_GLOBAL__N_135GammaBetaBackwardCUDAKernelTemplateIN3c104HalfEfLj32ELj8ELj64ELb0ELb1ELb0EEEvllPKT_S7_PKT0_SA_PS5_SB_.uses_vcc, 1
	.set _ZN2at6native12_GLOBAL__N_135GammaBetaBackwardCUDAKernelTemplateIN3c104HalfEfLj32ELj8ELj64ELb0ELb1ELb0EEEvllPKT_S7_PKT0_SA_PS5_SB_.uses_flat_scratch, 0
	.set _ZN2at6native12_GLOBAL__N_135GammaBetaBackwardCUDAKernelTemplateIN3c104HalfEfLj32ELj8ELj64ELb0ELb1ELb0EEEvllPKT_S7_PKT0_SA_PS5_SB_.has_dyn_sized_stack, 0
	.set _ZN2at6native12_GLOBAL__N_135GammaBetaBackwardCUDAKernelTemplateIN3c104HalfEfLj32ELj8ELj64ELb0ELb1ELb0EEEvllPKT_S7_PKT0_SA_PS5_SB_.has_recursion, 0
	.set _ZN2at6native12_GLOBAL__N_135GammaBetaBackwardCUDAKernelTemplateIN3c104HalfEfLj32ELj8ELj64ELb0ELb1ELb0EEEvllPKT_S7_PKT0_SA_PS5_SB_.has_indirect_call, 0
	.section	.AMDGPU.csdata,"",@progbits
; Kernel info:
; codeLenInByte = 2604
; TotalNumSgprs: 30
; NumVgprs: 50
; ScratchSize: 0
; MemoryBound: 0
; FloatMode: 240
; IeeeMode: 1
; LDSByteSize: 0 bytes/workgroup (compile time only)
; SGPRBlocks: 0
; VGPRBlocks: 6
; NumSGPRsForWavesPerEU: 30
; NumVGPRsForWavesPerEU: 50
; Occupancy: 16
; WaveLimiterHint : 0
; COMPUTE_PGM_RSRC2:SCRATCH_EN: 0
; COMPUTE_PGM_RSRC2:USER_SGPR: 6
; COMPUTE_PGM_RSRC2:TRAP_HANDLER: 0
; COMPUTE_PGM_RSRC2:TGID_X_EN: 1
; COMPUTE_PGM_RSRC2:TGID_Y_EN: 1
; COMPUTE_PGM_RSRC2:TGID_Z_EN: 0
; COMPUTE_PGM_RSRC2:TIDIG_COMP_CNT: 1
	.section	.text._ZN2at6native12_GLOBAL__N_135GammaBetaBackwardCUDAKernelTemplateIN3c104HalfEfLj32ELj8ELj64ELb0ELb0ELb0EEEvllPKT_S7_PKT0_SA_PS5_SB_,"axG",@progbits,_ZN2at6native12_GLOBAL__N_135GammaBetaBackwardCUDAKernelTemplateIN3c104HalfEfLj32ELj8ELj64ELb0ELb0ELb0EEEvllPKT_S7_PKT0_SA_PS5_SB_,comdat
	.globl	_ZN2at6native12_GLOBAL__N_135GammaBetaBackwardCUDAKernelTemplateIN3c104HalfEfLj32ELj8ELj64ELb0ELb0ELb0EEEvllPKT_S7_PKT0_SA_PS5_SB_ ; -- Begin function _ZN2at6native12_GLOBAL__N_135GammaBetaBackwardCUDAKernelTemplateIN3c104HalfEfLj32ELj8ELj64ELb0ELb0ELb0EEEvllPKT_S7_PKT0_SA_PS5_SB_
	.p2align	8
	.type	_ZN2at6native12_GLOBAL__N_135GammaBetaBackwardCUDAKernelTemplateIN3c104HalfEfLj32ELj8ELj64ELb0ELb0ELb0EEEvllPKT_S7_PKT0_SA_PS5_SB_,@function
_ZN2at6native12_GLOBAL__N_135GammaBetaBackwardCUDAKernelTemplateIN3c104HalfEfLj32ELj8ELj64ELb0ELb0ELb0EEEvllPKT_S7_PKT0_SA_PS5_SB_: ; @_ZN2at6native12_GLOBAL__N_135GammaBetaBackwardCUDAKernelTemplateIN3c104HalfEfLj32ELj8ELj64ELb0ELb0ELb0EEEvllPKT_S7_PKT0_SA_PS5_SB_
; %bb.0:
	s_clause 0x1
	s_load_dwordx8 s[8:15], s[4:5], 0x0
	s_load_dwordx4 s[16:19], s[4:5], 0x20
	s_lshl_b32 s28, s6, 5
	s_mov_b32 s3, 0
	s_or_b32 s2, s28, 31
	s_waitcnt lgkmcnt(0)
	v_cmp_le_i64_e64 s0, s[10:11], s[2:3]
	s_lshl_b32 s2, s7, 6
	v_cmp_gt_i64_e64 s7, s[8:9], s[2:3]
	s_and_b32 vcc_lo, exec_lo, s0
	v_cndmask_b32_e64 v2, 0, 1, s7
	v_cmp_ne_u32_e64 s0, 1, v2
	s_cbranch_vccz .LBB88_49
; %bb.1:
	v_mov_b32_e32 v11, 0
	v_mov_b32_e32 v62, 0
	s_and_b32 vcc_lo, exec_lo, s0
	s_cbranch_vccnz .LBB88_50
; %bb.2:
	v_lshlrev_b32_e32 v21, 3, v1
	v_mov_b32_e32 v2, 0
	v_add_nc_u32_e32 v5, s28, v0
	s_load_dword s1, s[4:5], 0x44
	s_add_u32 s20, s4, 64
	v_add_co_u32 v11, s0, v21, s2
	v_add_co_ci_u32_e64 v12, null, 0, 0, s0
	v_mov_b32_e32 v6, v2
	v_mul_lo_u32 v7, s11, v11
	v_mad_u64_u32 v[3:4], null, s10, v11, 0
	v_mul_lo_u32 v8, s10, v12
	v_cmp_gt_i64_e64 s0, s[10:11], v[5:6]
	v_lshlrev_b64 v[19:20], 1, v[5:6]
	s_addc_u32 s21, s5, 0
	v_mov_b32_e32 v62, 0
	v_mov_b32_e32 v54, 0
	s_mov_b64 s[26:27], s[2:3]
	v_add3_u32 v4, v4, v8, v7
	v_add_co_u32 v7, vcc_lo, v11, 7
	v_add_co_ci_u32_e64 v8, null, 0, v12, vcc_lo
	v_lshlrev_b64 v[5:6], 1, v[3:4]
	v_mul_lo_u32 v13, s11, v7
	s_waitcnt lgkmcnt(0)
	s_lshl_b32 s29, s1, 6
	v_mul_lo_u32 v14, s10, v8
	v_mad_u64_u32 v[7:8], null, s10, v7, 0
	v_add_co_u32 v22, vcc_lo, s12, v5
	v_add_co_ci_u32_e64 v23, null, s13, v6, vcc_lo
	v_add_co_u32 v9, vcc_lo, v11, 6
	v_add_co_ci_u32_e64 v10, null, 0, v12, vcc_lo
	v_add_co_u32 v24, vcc_lo, s14, v5
	v_mul_lo_u32 v15, s11, v9
	v_mul_lo_u32 v16, s10, v10
	v_mad_u64_u32 v[9:10], null, s10, v9, 0
	v_add3_u32 v8, v8, v14, v13
	v_add_co_ci_u32_e64 v25, null, s15, v6, vcc_lo
	v_add_co_u32 v13, vcc_lo, v11, 5
	v_add_co_ci_u32_e64 v14, null, 0, v12, vcc_lo
	v_add3_u32 v10, v10, v16, v15
	v_lshlrev_b64 v[5:6], 1, v[7:8]
	v_mul_lo_u32 v15, s11, v13
	v_mul_lo_u32 v14, s10, v14
	s_mul_i32 s1, s11, s29
	v_lshlrev_b64 v[7:8], 1, v[9:10]
	v_mad_u64_u32 v[9:10], null, s10, v13, 0
	v_add_co_u32 v26, vcc_lo, s12, v5
	v_add_co_ci_u32_e64 v27, null, s13, v6, vcc_lo
	v_add_co_u32 v28, vcc_lo, s14, v5
	v_add_co_ci_u32_e64 v29, null, s15, v6, vcc_lo
	v_add_co_u32 v30, vcc_lo, s12, v7
	v_add3_u32 v10, v10, v14, v15
	s_mul_hi_u32 s22, s10, s29
	v_add_co_ci_u32_e64 v31, null, s13, v8, vcc_lo
	v_add_co_u32 v13, vcc_lo, v11, 4
	s_add_i32 s23, s22, s1
	v_add_co_u32 v32, s1, s14, v7
	v_add_co_ci_u32_e64 v7, null, 0, v12, vcc_lo
	v_lshlrev_b64 v[5:6], 1, v[9:10]
	v_add_co_u32 v9, vcc_lo, v11, 3
	v_add_co_ci_u32_e64 v10, null, 0, v12, vcc_lo
	v_add_co_ci_u32_e64 v33, null, s15, v8, s1
	v_mul_lo_u32 v14, s11, v13
	v_mul_lo_u32 v15, s10, v7
	v_mad_u64_u32 v[7:8], null, s10, v13, 0
	v_mul_lo_u32 v13, s11, v9
	v_mul_lo_u32 v16, s10, v10
	v_mad_u64_u32 v[9:10], null, s10, v9, 0
	v_add_co_u32 v34, vcc_lo, s12, v5
	v_add_co_ci_u32_e64 v35, null, s13, v6, vcc_lo
	v_add3_u32 v8, v8, v15, v14
	v_add_co_u32 v36, vcc_lo, s14, v5
	v_add_co_ci_u32_e64 v37, null, s15, v6, vcc_lo
	v_add_co_u32 v11, vcc_lo, v11, 2
	v_add3_u32 v10, v10, v16, v13
	v_add_co_ci_u32_e64 v12, null, 0, v12, vcc_lo
	v_lshlrev_b64 v[5:6], 1, v[7:8]
	v_mul_lo_u32 v13, s11, v11
	v_lshlrev_b64 v[7:8], 1, v[9:10]
	v_mul_lo_u32 v12, s10, v12
	v_mad_u64_u32 v[9:10], null, s10, v11, 0
	v_add_co_u32 v38, vcc_lo, s12, v5
	v_add_co_ci_u32_e64 v39, null, s13, v6, vcc_lo
	v_add_co_u32 v40, vcc_lo, s14, v5
	v_add_co_ci_u32_e64 v41, null, s15, v6, vcc_lo
	;; [unrolled: 2-line block ×3, first 2 shown]
	v_add3_u32 v10, v10, v12, v13
	v_add_co_u32 v44, vcc_lo, s14, v7
	v_add_co_ci_u32_e64 v45, null, s15, v8, vcc_lo
	v_add_co_u32 v3, vcc_lo, v3, s10
	v_add_co_ci_u32_e64 v4, null, s11, v4, vcc_lo
	v_lshlrev_b64 v[5:6], 1, v[9:10]
	s_mul_i32 s22, s10, s29
	v_lshlrev_b64 v[3:4], 1, v[3:4]
	s_lshl_b64 s[22:23], s[22:23], 1
	s_add_u32 s24, s2, 63
	v_add_co_u32 v46, vcc_lo, s12, v5
	v_add_co_ci_u32_e64 v47, null, s13, v6, vcc_lo
	v_add_co_u32 v48, vcc_lo, s14, v5
	v_add_co_ci_u32_e64 v49, null, s15, v6, vcc_lo
	v_add_co_u32 v50, vcc_lo, s12, v3
	v_add_co_ci_u32_e64 v51, null, s13, v4, vcc_lo
	v_add_co_u32 v52, vcc_lo, s14, v3
	v_add_co_ci_u32_e64 v53, null, s15, v4, vcc_lo
	s_addc_u32 s25, 0, 0
.LBB88_3:                               ; =>This Inner Loop Header: Depth=1
	v_cmp_ge_i64_e64 s1, s[24:25], s[8:9]
	v_add_co_u32 v55, s30, v21, s24
	v_add_co_ci_u32_e64 v56, null, 0, s25, s30
                                        ; implicit-def: $vgpr11_vgpr12_vgpr13_vgpr14_vgpr15_vgpr16_vgpr17_vgpr18
                                        ; implicit-def: $vgpr3_vgpr4_vgpr5_vgpr6_vgpr7_vgpr8_vgpr9_vgpr10
                                        ; implicit-def: $vgpr58
                                        ; implicit-def: $vgpr3
	s_and_b32 vcc_lo, exec_lo, s1
	s_mov_b32 s1, -1
                                        ; implicit-def: $vgpr11
                                        ; implicit-def: $vgpr4
	s_cbranch_vccz .LBB88_25
; %bb.4:                                ;   in Loop: Header=BB88_3 Depth=1
	s_load_dword s1, s[20:21], 0xc
	v_mov_b32_e32 v58, 0
	v_mov_b32_e32 v57, 0
	s_waitcnt lgkmcnt(0)
	s_and_b32 s1, s1, 0xffff
	v_mad_u32_u24 v3, v1, s1, v0
	s_mov_b32 s1, exec_lo
	v_and_b32_e32 v3, 31, v3
	v_cmpx_gt_u32_e32 8, v3
	s_cbranch_execz .LBB88_8
; %bb.5:                                ;   in Loop: Header=BB88_3 Depth=1
	v_add_co_u32 v3, vcc_lo, v55, v3
	v_add_co_ci_u32_e64 v4, null, 0, v56, vcc_lo
	v_mov_b32_e32 v57, 0
	v_add_co_u32 v3, vcc_lo, 0xffffffc1, v3
	v_add_co_ci_u32_e64 v4, null, -1, v4, vcc_lo
	v_mov_b32_e32 v58, 0
	s_mov_b32 s30, exec_lo
	v_cmpx_gt_i64_e64 s[8:9], v[3:4]
	s_cbranch_execz .LBB88_7
; %bb.6:                                ;   in Loop: Header=BB88_3 Depth=1
	v_lshlrev_b64 v[3:4], 2, v[3:4]
	v_add_co_u32 v5, vcc_lo, s16, v3
	v_add_co_ci_u32_e64 v6, null, s17, v4, vcc_lo
	v_add_co_u32 v3, vcc_lo, s18, v3
	v_add_co_ci_u32_e64 v4, null, s19, v4, vcc_lo
	global_load_dword v57, v[5:6], off
	global_load_dword v58, v[3:4], off
.LBB88_7:                               ;   in Loop: Header=BB88_3 Depth=1
	s_or_b32 exec_lo, exec_lo, s30
.LBB88_8:                               ;   in Loop: Header=BB88_3 Depth=1
	s_or_b32 exec_lo, exec_lo, s1
	v_add_co_u32 v10, vcc_lo, 0xffffffc1, v55
	v_add_co_ci_u32_e64 v11, null, -1, v56, vcc_lo
	v_mov_b32_e32 v9, v2
	v_mov_b32_e32 v3, v2
	;; [unrolled: 1-line block ×7, first 2 shown]
	v_cmp_gt_i64_e32 vcc_lo, s[8:9], v[10:11]
	v_mov_b32_e32 v18, v9
	v_mov_b32_e32 v15, v6
	;; [unrolled: 1-line block ×16, first 2 shown]
	s_and_b32 s30, s0, vcc_lo
	s_and_saveexec_b32 s1, s30
	s_cbranch_execz .LBB88_10
; %bb.9:                                ;   in Loop: Header=BB88_3 Depth=1
	v_add_co_u32 v3, vcc_lo, v22, v19
	v_add_co_ci_u32_e64 v4, null, v23, v20, vcc_lo
	v_add_co_u32 v5, vcc_lo, v24, v19
	v_add_co_ci_u32_e64 v6, null, v25, v20, vcc_lo
	global_load_ushort v3, v[3:4], off
	global_load_ushort v11, v[5:6], off
	v_mov_b32_e32 v4, v2
	v_mov_b32_e32 v5, v2
	;; [unrolled: 1-line block ×14, first 2 shown]
	s_waitcnt vmcnt(1)
	v_cvt_f32_f16_e32 v3, v3
	s_waitcnt vmcnt(0)
	v_cvt_f32_f16_e32 v11, v11
.LBB88_10:                              ;   in Loop: Header=BB88_3 Depth=1
	s_or_b32 exec_lo, exec_lo, s1
	v_add_co_u32 v59, vcc_lo, 0xffffffc2, v55
	v_add_co_ci_u32_e64 v60, null, -1, v56, vcc_lo
	v_cmp_gt_i64_e32 vcc_lo, s[8:9], v[59:60]
	s_and_b32 s30, s0, vcc_lo
	s_and_saveexec_b32 s1, s30
	s_cbranch_execz .LBB88_12
; %bb.11:                               ;   in Loop: Header=BB88_3 Depth=1
	v_add_co_u32 v59, vcc_lo, v50, v19
	v_add_co_ci_u32_e64 v60, null, v51, v20, vcc_lo
	v_add_co_u32 v63, vcc_lo, v52, v19
	v_add_co_ci_u32_e64 v64, null, v53, v20, vcc_lo
	global_load_ushort v4, v[59:60], off
	global_load_ushort v12, v[63:64], off
	s_waitcnt vmcnt(1)
	v_cvt_f32_f16_e32 v4, v4
	s_waitcnt vmcnt(0)
	v_cvt_f32_f16_e32 v12, v12
.LBB88_12:                              ;   in Loop: Header=BB88_3 Depth=1
	s_or_b32 exec_lo, exec_lo, s1
	v_add_co_u32 v59, vcc_lo, 0xffffffc3, v55
	v_add_co_ci_u32_e64 v60, null, -1, v56, vcc_lo
	v_cmp_gt_i64_e32 vcc_lo, s[8:9], v[59:60]
	s_and_b32 s30, s0, vcc_lo
	s_and_saveexec_b32 s1, s30
	s_cbranch_execz .LBB88_14
; %bb.13:                               ;   in Loop: Header=BB88_3 Depth=1
	v_add_co_u32 v59, vcc_lo, v46, v19
	v_add_co_ci_u32_e64 v60, null, v47, v20, vcc_lo
	v_add_co_u32 v63, vcc_lo, v48, v19
	v_add_co_ci_u32_e64 v64, null, v49, v20, vcc_lo
	global_load_ushort v5, v[59:60], off
	global_load_ushort v13, v[63:64], off
	s_waitcnt vmcnt(1)
	v_cvt_f32_f16_e32 v5, v5
	s_waitcnt vmcnt(0)
	v_cvt_f32_f16_e32 v13, v13
.LBB88_14:                              ;   in Loop: Header=BB88_3 Depth=1
	;; [unrolled: 19-line block ×7, first 2 shown]
	s_or_b32 exec_lo, exec_lo, s1
	s_waitcnt vmcnt(1)
	ds_bpermute_b32 v59, v2, v57
	ds_bpermute_b32 v60, v2, v57 offset:4
	ds_bpermute_b32 v61, v2, v57 offset:8
	s_waitcnt vmcnt(0)
	ds_bpermute_b32 v63, v2, v58
	ds_bpermute_b32 v64, v2, v57 offset:12
	ds_bpermute_b32 v65, v2, v58 offset:4
	;; [unrolled: 1-line block ×7, first 2 shown]
	s_mov_b32 s1, 0
	s_waitcnt lgkmcnt(10)
	v_sub_f32_e32 v11, v11, v59
	v_add_f32_e32 v59, v62, v3
	s_waitcnt lgkmcnt(9)
	v_sub_f32_e32 v12, v12, v60
	ds_bpermute_b32 v60, v2, v58 offset:16
	s_waitcnt lgkmcnt(9)
	v_sub_f32_e32 v13, v13, v61
	v_mul_f32_e32 v3, v3, v11
	ds_bpermute_b32 v61, v2, v58 offset:20
	v_mul_f32_e32 v12, v4, v12
	v_add_f32_e32 v4, v4, v59
	v_mul_f32_e32 v13, v5, v13
	s_waitcnt lgkmcnt(9)
	v_fma_f32 v11, v3, v63, v54
	s_waitcnt lgkmcnt(8)
	v_sub_f32_e32 v3, v14, v64
	ds_bpermute_b32 v63, v2, v58 offset:24
	v_add_f32_e32 v4, v5, v4
	ds_bpermute_b32 v58, v2, v58 offset:28
	s_waitcnt lgkmcnt(9)
	v_fmac_f32_e32 v11, v12, v65
	s_waitcnt lgkmcnt(8)
	v_sub_f32_e32 v12, v15, v66
	v_mul_f32_e32 v14, v6, v3
	ds_bpermute_b32 v3, v2, v57 offset:28
	s_waitcnt lgkmcnt(6)
	v_sub_f32_e32 v5, v16, v69
	v_fmac_f32_e32 v11, v13, v67
	v_mul_f32_e32 v12, v7, v12
	v_add_f32_e32 v4, v6, v4
	s_waitcnt lgkmcnt(5)
	v_sub_f32_e32 v6, v17, v70
	v_mul_f32_e32 v5, v8, v5
	v_fmac_f32_e32 v11, v14, v68
	v_add_f32_e32 v4, v7, v4
	v_mul_f32_e32 v6, v9, v6
	s_waitcnt lgkmcnt(4)
	v_fmac_f32_e32 v11, v12, v60
	v_add_f32_e32 v4, v8, v4
	s_waitcnt lgkmcnt(3)
	v_fmac_f32_e32 v11, v5, v61
	v_add_f32_e32 v4, v9, v4
	s_waitcnt lgkmcnt(2)
	v_fmac_f32_e32 v11, v6, v63
.LBB88_25:                              ;   in Loop: Header=BB88_3 Depth=1
	s_and_b32 vcc_lo, exec_lo, s1
	s_cbranch_vccz .LBB88_40
; %bb.26:                               ;   in Loop: Header=BB88_3 Depth=1
	s_load_dword s1, s[20:21], 0x0
	s_waitcnt lgkmcnt(0)
	v_mov_b32_e32 v58, 0
	v_mov_b32_e32 v57, 0
	s_cmp_lt_u32 s6, s1
	s_cselect_b32 s1, 12, 18
	s_add_u32 s30, s20, s1
	s_addc_u32 s31, s21, 0
	s_mov_b32 s1, exec_lo
	global_load_ushort v3, v2, s[30:31]
	s_waitcnt vmcnt(0)
	v_mad_u32_u24 v3, v1, v3, v0
	v_and_b32_e32 v3, 31, v3
	v_cmpx_gt_u32_e32 8, v3
	s_cbranch_execz .LBB88_30
; %bb.27:                               ;   in Loop: Header=BB88_3 Depth=1
	v_add_co_u32 v3, vcc_lo, v55, v3
	v_add_co_ci_u32_e64 v4, null, 0, v56, vcc_lo
	v_mov_b32_e32 v57, 0
	v_add_co_u32 v3, vcc_lo, 0xffffffc1, v3
	v_add_co_ci_u32_e64 v4, null, -1, v4, vcc_lo
	v_mov_b32_e32 v58, 0
	s_mov_b32 s30, exec_lo
	v_cmpx_gt_i64_e64 s[8:9], v[3:4]
	s_cbranch_execz .LBB88_29
; %bb.28:                               ;   in Loop: Header=BB88_3 Depth=1
	v_lshlrev_b64 v[3:4], 2, v[3:4]
	v_add_co_u32 v5, vcc_lo, s16, v3
	v_add_co_ci_u32_e64 v6, null, s17, v4, vcc_lo
	v_add_co_u32 v3, vcc_lo, s18, v3
	v_add_co_ci_u32_e64 v4, null, s19, v4, vcc_lo
	global_load_dword v57, v[5:6], off
	global_load_dword v58, v[3:4], off
.LBB88_29:                              ;   in Loop: Header=BB88_3 Depth=1
	s_or_b32 exec_lo, exec_lo, s30
.LBB88_30:                              ;   in Loop: Header=BB88_3 Depth=1
	s_or_b32 exec_lo, exec_lo, s1
	v_mov_b32_e32 v9, v2
	v_mov_b32_e32 v3, v2
	;; [unrolled: 1-line block ×23, first 2 shown]
	s_and_saveexec_b32 s1, s0
	s_cbranch_execnz .LBB88_42
; %bb.31:                               ;   in Loop: Header=BB88_3 Depth=1
	s_or_b32 exec_lo, exec_lo, s1
	s_and_saveexec_b32 s1, s0
	s_cbranch_execnz .LBB88_43
.LBB88_32:                              ;   in Loop: Header=BB88_3 Depth=1
	s_or_b32 exec_lo, exec_lo, s1
	s_and_saveexec_b32 s1, s0
	s_cbranch_execnz .LBB88_44
.LBB88_33:                              ;   in Loop: Header=BB88_3 Depth=1
	s_or_b32 exec_lo, exec_lo, s1
	s_and_saveexec_b32 s1, s0
	s_cbranch_execnz .LBB88_45
.LBB88_34:                              ;   in Loop: Header=BB88_3 Depth=1
	s_or_b32 exec_lo, exec_lo, s1
	s_and_saveexec_b32 s1, s0
	s_cbranch_execnz .LBB88_46
.LBB88_35:                              ;   in Loop: Header=BB88_3 Depth=1
	s_or_b32 exec_lo, exec_lo, s1
	s_and_saveexec_b32 s1, s0
	s_cbranch_execnz .LBB88_47
.LBB88_36:                              ;   in Loop: Header=BB88_3 Depth=1
	s_or_b32 exec_lo, exec_lo, s1
	s_and_saveexec_b32 s1, s0
	s_cbranch_execnz .LBB88_48
.LBB88_37:                              ;   in Loop: Header=BB88_3 Depth=1
	s_or_b32 exec_lo, exec_lo, s1
	s_and_saveexec_b32 s1, s0
	s_cbranch_execz .LBB88_39
.LBB88_38:                              ;   in Loop: Header=BB88_3 Depth=1
	v_add_co_u32 v55, vcc_lo, v26, v19
	v_add_co_ci_u32_e64 v56, null, v27, v20, vcc_lo
	v_add_co_u32 v59, vcc_lo, v28, v19
	v_add_co_ci_u32_e64 v60, null, v29, v20, vcc_lo
	global_load_ushort v10, v[55:56], off
	global_load_ushort v18, v[59:60], off
	s_waitcnt vmcnt(1)
	v_cvt_f32_f16_e32 v10, v10
	s_waitcnt vmcnt(0)
	v_cvt_f32_f16_e32 v18, v18
.LBB88_39:                              ;   in Loop: Header=BB88_3 Depth=1
	s_or_b32 exec_lo, exec_lo, s1
	s_waitcnt vmcnt(1)
	ds_bpermute_b32 v55, v2, v57
	ds_bpermute_b32 v56, v2, v57 offset:4
	ds_bpermute_b32 v59, v2, v57 offset:8
	s_waitcnt vmcnt(0)
	ds_bpermute_b32 v60, v2, v58
	ds_bpermute_b32 v61, v2, v57 offset:12
	ds_bpermute_b32 v63, v2, v58 offset:4
	;; [unrolled: 1-line block ×5, first 2 shown]
	s_waitcnt lgkmcnt(8)
	v_sub_f32_e32 v11, v11, v55
	ds_bpermute_b32 v55, v2, v58 offset:12
	s_waitcnt lgkmcnt(8)
	v_sub_f32_e32 v12, v12, v56
	ds_bpermute_b32 v56, v2, v58 offset:16
	s_waitcnt lgkmcnt(8)
	v_sub_f32_e32 v13, v13, v59
	v_mul_f32_e32 v11, v3, v11
	v_add_f32_e32 v3, v62, v3
	v_mul_f32_e32 v12, v4, v12
	ds_bpermute_b32 v59, v2, v58 offset:20
	s_waitcnt lgkmcnt(7)
	v_sub_f32_e32 v14, v14, v61
	v_fmac_f32_e32 v54, v11, v60
	ds_bpermute_b32 v11, v2, v57 offset:24
	v_mul_f32_e32 v13, v5, v13
	v_add_f32_e32 v3, v4, v3
	s_waitcnt lgkmcnt(6)
	v_sub_f32_e32 v4, v15, v64
	v_fmac_f32_e32 v54, v12, v63
	v_mul_f32_e32 v12, v6, v14
	s_waitcnt lgkmcnt(4)
	v_sub_f32_e32 v14, v16, v66
	v_add_f32_e32 v5, v5, v3
	v_mul_f32_e32 v4, v7, v4
	v_fmac_f32_e32 v54, v13, v65
	ds_bpermute_b32 v13, v2, v58 offset:24
	ds_bpermute_b32 v58, v2, v58 offset:28
	;; [unrolled: 1-line block ×3, first 2 shown]
	v_add_f32_e32 v5, v6, v5
	s_waitcnt lgkmcnt(6)
	v_fmac_f32_e32 v54, v12, v55
	v_mul_f32_e32 v6, v8, v14
	v_add_f32_e32 v5, v7, v5
	s_waitcnt lgkmcnt(5)
	v_fmac_f32_e32 v54, v4, v56
	s_waitcnt lgkmcnt(3)
	v_sub_f32_e32 v4, v17, v11
	v_add_f32_e32 v5, v8, v5
	v_fmac_f32_e32 v54, v6, v59
	v_mul_f32_e32 v4, v9, v4
	s_waitcnt lgkmcnt(2)
	v_fmac_f32_e32 v54, v4, v13
	v_add_f32_e32 v4, v9, v5
	v_mov_b32_e32 v11, v54
.LBB88_40:                              ;   in Loop: Header=BB88_3 Depth=1
	v_add_co_u32 v22, vcc_lo, v22, s22
	v_add_co_ci_u32_e64 v23, null, s23, v23, vcc_lo
	v_add_co_u32 v24, vcc_lo, v24, s22
	v_add_co_ci_u32_e64 v25, null, s23, v25, vcc_lo
	;; [unrolled: 2-line block ×10, first 2 shown]
	v_add_co_u32 v42, vcc_lo, v42, s22
	s_waitcnt lgkmcnt(0)
	v_sub_f32_e32 v3, v18, v3
	v_add_co_ci_u32_e64 v43, null, s23, v43, vcc_lo
	v_add_co_u32 v44, vcc_lo, v44, s22
	v_add_co_ci_u32_e64 v45, null, s23, v45, vcc_lo
	v_add_co_u32 v46, vcc_lo, v46, s22
	s_add_u32 s26, s26, s29
	v_add_co_ci_u32_e64 v47, null, s23, v47, vcc_lo
	v_add_co_u32 v48, vcc_lo, v48, s22
	v_mul_f32_e32 v3, v10, v3
	s_addc_u32 s27, s27, 0
	v_add_co_ci_u32_e64 v49, null, s23, v49, vcc_lo
	v_add_co_u32 v50, vcc_lo, v50, s22
	v_cmp_lt_i64_e64 s1, s[26:27], s[8:9]
	v_add_co_ci_u32_e64 v51, null, s23, v51, vcc_lo
	v_add_co_u32 v52, vcc_lo, v52, s22
	v_add_f32_e32 v62, v4, v10
	v_fmac_f32_e32 v11, v3, v58
	v_add_co_ci_u32_e64 v53, null, s23, v53, vcc_lo
	s_add_u32 s24, s24, s29
	s_addc_u32 s25, s25, 0
	s_and_b32 vcc_lo, exec_lo, s1
	s_cbranch_vccz .LBB88_50
; %bb.41:                               ;   in Loop: Header=BB88_3 Depth=1
	v_mov_b32_e32 v54, v11
	s_branch .LBB88_3
.LBB88_42:                              ;   in Loop: Header=BB88_3 Depth=1
	v_add_co_u32 v3, vcc_lo, v22, v19
	v_add_co_ci_u32_e64 v4, null, v23, v20, vcc_lo
	v_add_co_u32 v5, vcc_lo, v24, v19
	v_add_co_ci_u32_e64 v6, null, v25, v20, vcc_lo
	global_load_ushort v3, v[3:4], off
	global_load_ushort v11, v[5:6], off
	v_mov_b32_e32 v4, v2
	v_mov_b32_e32 v5, v2
	;; [unrolled: 1-line block ×14, first 2 shown]
	s_waitcnt vmcnt(1)
	v_cvt_f32_f16_e32 v3, v3
	s_waitcnt vmcnt(0)
	v_cvt_f32_f16_e32 v11, v11
	s_or_b32 exec_lo, exec_lo, s1
	s_and_saveexec_b32 s1, s0
	s_cbranch_execz .LBB88_32
.LBB88_43:                              ;   in Loop: Header=BB88_3 Depth=1
	v_add_co_u32 v55, vcc_lo, v50, v19
	v_add_co_ci_u32_e64 v56, null, v51, v20, vcc_lo
	v_add_co_u32 v59, vcc_lo, v52, v19
	v_add_co_ci_u32_e64 v60, null, v53, v20, vcc_lo
	global_load_ushort v4, v[55:56], off
	global_load_ushort v12, v[59:60], off
	s_waitcnt vmcnt(1)
	v_cvt_f32_f16_e32 v4, v4
	s_waitcnt vmcnt(0)
	v_cvt_f32_f16_e32 v12, v12
	s_or_b32 exec_lo, exec_lo, s1
	s_and_saveexec_b32 s1, s0
	s_cbranch_execz .LBB88_33
.LBB88_44:                              ;   in Loop: Header=BB88_3 Depth=1
	v_add_co_u32 v55, vcc_lo, v46, v19
	v_add_co_ci_u32_e64 v56, null, v47, v20, vcc_lo
	v_add_co_u32 v59, vcc_lo, v48, v19
	v_add_co_ci_u32_e64 v60, null, v49, v20, vcc_lo
	global_load_ushort v5, v[55:56], off
	global_load_ushort v13, v[59:60], off
	s_waitcnt vmcnt(1)
	v_cvt_f32_f16_e32 v5, v5
	s_waitcnt vmcnt(0)
	v_cvt_f32_f16_e32 v13, v13
	s_or_b32 exec_lo, exec_lo, s1
	s_and_saveexec_b32 s1, s0
	s_cbranch_execz .LBB88_34
.LBB88_45:                              ;   in Loop: Header=BB88_3 Depth=1
	v_add_co_u32 v55, vcc_lo, v42, v19
	v_add_co_ci_u32_e64 v56, null, v43, v20, vcc_lo
	v_add_co_u32 v59, vcc_lo, v44, v19
	v_add_co_ci_u32_e64 v60, null, v45, v20, vcc_lo
	global_load_ushort v6, v[55:56], off
	global_load_ushort v14, v[59:60], off
	s_waitcnt vmcnt(1)
	v_cvt_f32_f16_e32 v6, v6
	s_waitcnt vmcnt(0)
	v_cvt_f32_f16_e32 v14, v14
	s_or_b32 exec_lo, exec_lo, s1
	s_and_saveexec_b32 s1, s0
	s_cbranch_execz .LBB88_35
.LBB88_46:                              ;   in Loop: Header=BB88_3 Depth=1
	v_add_co_u32 v55, vcc_lo, v38, v19
	v_add_co_ci_u32_e64 v56, null, v39, v20, vcc_lo
	v_add_co_u32 v59, vcc_lo, v40, v19
	v_add_co_ci_u32_e64 v60, null, v41, v20, vcc_lo
	global_load_ushort v7, v[55:56], off
	global_load_ushort v15, v[59:60], off
	s_waitcnt vmcnt(1)
	v_cvt_f32_f16_e32 v7, v7
	s_waitcnt vmcnt(0)
	v_cvt_f32_f16_e32 v15, v15
	s_or_b32 exec_lo, exec_lo, s1
	s_and_saveexec_b32 s1, s0
	s_cbranch_execz .LBB88_36
.LBB88_47:                              ;   in Loop: Header=BB88_3 Depth=1
	v_add_co_u32 v55, vcc_lo, v34, v19
	v_add_co_ci_u32_e64 v56, null, v35, v20, vcc_lo
	v_add_co_u32 v59, vcc_lo, v36, v19
	v_add_co_ci_u32_e64 v60, null, v37, v20, vcc_lo
	global_load_ushort v8, v[55:56], off
	global_load_ushort v16, v[59:60], off
	s_waitcnt vmcnt(1)
	v_cvt_f32_f16_e32 v8, v8
	s_waitcnt vmcnt(0)
	v_cvt_f32_f16_e32 v16, v16
	s_or_b32 exec_lo, exec_lo, s1
	s_and_saveexec_b32 s1, s0
	s_cbranch_execz .LBB88_37
.LBB88_48:                              ;   in Loop: Header=BB88_3 Depth=1
	v_add_co_u32 v55, vcc_lo, v30, v19
	v_add_co_ci_u32_e64 v56, null, v31, v20, vcc_lo
	v_add_co_u32 v59, vcc_lo, v32, v19
	v_add_co_ci_u32_e64 v60, null, v33, v20, vcc_lo
	global_load_ushort v9, v[55:56], off
	global_load_ushort v17, v[59:60], off
	s_waitcnt vmcnt(1)
	v_cvt_f32_f16_e32 v9, v9
	s_waitcnt vmcnt(0)
	v_cvt_f32_f16_e32 v17, v17
	s_or_b32 exec_lo, exec_lo, s1
	s_and_saveexec_b32 s1, s0
	s_cbranch_execnz .LBB88_38
	s_branch .LBB88_39
.LBB88_49:
                                        ; implicit-def: $vgpr11
                                        ; implicit-def: $vgpr62
	s_branch .LBB88_51
.LBB88_50:
	s_cbranch_execnz .LBB88_83
.LBB88_51:
	v_mov_b32_e32 v11, 0
	v_mov_b32_e32 v62, 0
	s_andn2_b32 vcc_lo, exec_lo, s7
	s_cbranch_vccnz .LBB88_83
; %bb.52:
	s_load_dword s0, s[4:5], 0x44
	v_lshlrev_b32_e32 v49, 3, v1
	s_add_u32 s20, s4, 64
	s_addc_u32 s21, s5, 0
	v_lshlrev_b32_e32 v6, 4, v1
	v_mov_b32_e32 v84, 0
	v_add_co_u32 v10, s1, v49, s2
	v_add_co_ci_u32_e64 v11, null, 0, 0, s1
	v_mov_b32_e32 v83, 0
	v_mul_lo_u32 v4, s11, v10
	v_mad_u64_u32 v[2:3], null, s10, v10, 0
	v_mul_lo_u32 v5, s10, v11
	s_waitcnt lgkmcnt(0)
	s_lshl_b32 s1, s0, 6
	v_add3_u32 v3, v3, v5, v4
	s_mul_i32 s0, s11, s1
	s_mul_hi_u32 s7, s10, s1
	s_mul_i32 s22, s10, s1
	s_add_i32 s23, s7, s0
	v_lshlrev_b64 v[4:5], 1, v[2:3]
	s_lshl_b64 s[22:23], s[22:23], 1
	s_add_u32 s24, s2, 63
	s_addc_u32 s25, 0, 0
	s_lshl_b64 s[26:27], s[2:3], 1
	v_add_co_u32 v6, s0, v6, s26
	v_add_co_ci_u32_e64 v7, null, 0, s27, s0
	v_add_co_u32 v8, vcc_lo, v6, 2
	v_add_co_ci_u32_e64 v9, null, 0, v7, vcc_lo
	v_add_co_u32 v50, vcc_lo, s12, v4
	v_add_co_ci_u32_e64 v51, null, s13, v5, vcc_lo
	v_add_co_u32 v52, vcc_lo, s14, v4
	v_add_co_ci_u32_e64 v53, null, s15, v5, vcc_lo
	v_add_co_u32 v4, vcc_lo, v6, 4
	v_add_co_ci_u32_e64 v5, null, 0, v7, vcc_lo
	v_add_co_u32 v13, vcc_lo, v6, 6
	v_add_co_ci_u32_e64 v14, null, 0, v7, vcc_lo
	v_add_co_u32 v16, vcc_lo, v6, 8
	v_add_co_ci_u32_e64 v18, null, 0, v7, vcc_lo
	v_add_co_u32 v41, vcc_lo, v6, 10
	v_mad_u64_u32 v[21:22], null, s10, v4, s[12:13]
	v_mul_lo_u32 v5, s10, v5
	v_mul_lo_u32 v15, s11, v4
	v_mad_u64_u32 v[35:36], null, s10, v4, s[14:15]
	v_add_co_ci_u32_e64 v29, null, 0, v7, vcc_lo
	v_add_co_u32 v43, vcc_lo, v6, 12
	v_add_co_ci_u32_e64 v31, null, 0, v7, vcc_lo
	v_add_co_u32 v6, vcc_lo, v6, 14
	v_mad_u64_u32 v[19:20], null, s10, v8, s[12:13]
	v_mul_lo_u32 v9, s10, v9
	v_mul_lo_u32 v12, s11, v8
	v_mad_u64_u32 v[33:34], null, s10, v8, s[14:15]
	v_add_co_ci_u32_e64 v7, null, 0, v7, vcc_lo
	v_add_co_u32 v4, vcc_lo, v10, 7
	v_add3_u32 v22, v15, v22, v5
	v_add3_u32 v36, v15, v36, v5
	v_add_co_ci_u32_e64 v5, null, 0, v11, vcc_lo
	v_mul_lo_u32 v57, s10, v7
	v_add_co_u32 v7, vcc_lo, v10, 6
	v_add3_u32 v20, v12, v20, v9
	v_add3_u32 v34, v12, v34, v9
	v_add_co_ci_u32_e64 v12, null, 0, v11, vcc_lo
	v_mul_lo_u32 v8, s11, v4
	v_mul_lo_u32 v9, s10, v5
	v_mad_u64_u32 v[4:5], null, s10, v4, 0
	v_mad_u64_u32 v[23:24], null, s10, v13, s[12:13]
	v_mul_lo_u32 v17, s11, v13
	v_mul_lo_u32 v55, s10, v31
	v_mad_u64_u32 v[31:32], null, s10, v6, s[12:13]
	v_mul_lo_u32 v58, s11, v6
	v_mad_u64_u32 v[37:38], null, s10, v13, s[14:15]
	v_mad_u64_u32 v[45:46], null, s10, v6, s[14:15]
	v_mul_lo_u32 v13, s11, v7
	v_mul_lo_u32 v12, s10, v12
	v_mad_u64_u32 v[6:7], null, s10, v7, 0
	v_add3_u32 v5, v5, v9, v8
	v_add_co_u32 v8, vcc_lo, v10, 5
	v_mad_u64_u32 v[27:28], null, s10, v41, s[12:13]
	v_mul_lo_u32 v48, s10, v29
	v_mul_lo_u32 v54, s11, v41
	v_mad_u64_u32 v[41:42], null, s10, v41, s[14:15]
	v_add3_u32 v7, v7, v12, v13
	v_add_co_ci_u32_e64 v9, null, 0, v11, vcc_lo
	v_mad_u64_u32 v[29:30], null, s10, v43, s[12:13]
	v_mul_lo_u32 v56, s11, v43
	v_mad_u64_u32 v[43:44], null, s10, v43, s[14:15]
	v_lshlrev_b64 v[4:5], 1, v[4:5]
	v_lshlrev_b64 v[6:7], 1, v[6:7]
	v_mul_lo_u32 v12, s11, v8
	v_mul_lo_u32 v13, s10, v9
	v_mad_u64_u32 v[8:9], null, s10, v8, 0
	v_add3_u32 v28, v54, v28, v48
	v_add3_u32 v42, v54, v42, v48
	v_add_co_u32 v54, vcc_lo, s12, v4
	v_add3_u32 v30, v56, v30, v55
	v_add3_u32 v44, v56, v44, v55
	v_add_co_ci_u32_e64 v55, null, s13, v5, vcc_lo
	v_add_co_u32 v56, vcc_lo, s14, v4
	v_add3_u32 v32, v58, v32, v57
	v_add3_u32 v46, v58, v46, v57
	v_add_co_ci_u32_e64 v57, null, s15, v5, vcc_lo
	v_add_co_u32 v58, vcc_lo, s12, v6
	v_add_co_ci_u32_e64 v59, null, s13, v7, vcc_lo
	v_add3_u32 v9, v9, v13, v12
	v_add_co_u32 v12, vcc_lo, v10, 4
	v_add_co_ci_u32_e64 v13, null, 0, v11, vcc_lo
	v_add_co_u32 v60, vcc_lo, s14, v6
	v_add_co_ci_u32_e64 v61, null, s15, v7, vcc_lo
	v_lshlrev_b64 v[4:5], 1, v[8:9]
	v_mul_lo_u32 v8, s11, v12
	v_mul_lo_u32 v9, s10, v13
	v_mad_u64_u32 v[6:7], null, s10, v12, 0
	v_mul_lo_u32 v14, s10, v14
	v_add_co_u32 v12, vcc_lo, v10, 3
	v_add_co_ci_u32_e64 v13, null, 0, v11, vcc_lo
	v_add_co_u32 v63, vcc_lo, s12, v4
	v_add_co_ci_u32_e64 v64, null, s13, v5, vcc_lo
	v_add3_u32 v7, v7, v9, v8
	v_add_co_u32 v10, vcc_lo, v10, 2
	v_add3_u32 v24, v17, v24, v14
	v_add3_u32 v38, v17, v38, v14
	v_mul_lo_u32 v14, s11, v12
	v_mul_lo_u32 v13, s10, v13
	v_mad_u64_u32 v[8:9], null, s10, v12, 0
	v_add_co_ci_u32_e64 v11, null, 0, v11, vcc_lo
	v_add_co_u32 v65, vcc_lo, s14, v4
	v_add_co_ci_u32_e64 v66, null, s15, v5, vcc_lo
	v_lshlrev_b64 v[4:5], 1, v[6:7]
	v_mul_lo_u32 v12, s11, v10
	v_mul_lo_u32 v11, s10, v11
	v_mad_u64_u32 v[6:7], null, s10, v10, 0
	v_add3_u32 v9, v9, v13, v14
	v_add_co_u32 v67, vcc_lo, s12, v4
	v_add_co_ci_u32_e64 v68, null, s13, v5, vcc_lo
	v_add_co_u32 v69, vcc_lo, s14, v4
	v_add_co_ci_u32_e64 v70, null, s15, v5, vcc_lo
	v_lshlrev_b64 v[4:5], 1, v[8:9]
	v_add3_u32 v7, v7, v11, v12
	v_add_co_u32 v2, vcc_lo, v2, s10
	v_add_co_ci_u32_e64 v3, null, s11, v3, vcc_lo
	v_lshlrev_b64 v[6:7], 1, v[6:7]
	v_add_co_u32 v71, vcc_lo, s12, v4
	v_add_co_ci_u32_e64 v72, null, s13, v5, vcc_lo
	v_add_co_u32 v73, vcc_lo, s14, v4
	v_lshlrev_b64 v[3:4], 1, v[2:3]
	v_mov_b32_e32 v2, 0
	v_mad_u64_u32 v[25:26], null, s10, v16, s[12:13]
	v_mul_lo_u32 v18, s10, v18
	v_mul_lo_u32 v47, s11, v16
	v_mad_u64_u32 v[39:40], null, s10, v16, s[14:15]
	v_add_co_ci_u32_e64 v74, null, s15, v5, vcc_lo
	v_add_co_u32 v75, vcc_lo, s12, v6
	v_add_co_ci_u32_e64 v76, null, s13, v7, vcc_lo
	v_add_co_u32 v77, vcc_lo, s14, v6
	v_add_nc_u32_e32 v5, s28, v0
	v_mov_b32_e32 v6, v2
	v_add_co_ci_u32_e64 v78, null, s15, v7, vcc_lo
	v_add_co_u32 v79, vcc_lo, s12, v3
	v_add_co_ci_u32_e64 v80, null, s13, v4, vcc_lo
	v_add_co_u32 v81, vcc_lo, s14, v3
	v_add3_u32 v26, v47, v26, v18
	v_add3_u32 v40, v47, v40, v18
	v_lshlrev_b64 v[47:48], 1, v[5:6]
	v_add_co_ci_u32_e64 v82, null, s15, v4, vcc_lo
.LBB88_53:                              ; =>This Inner Loop Header: Depth=1
	v_cmp_ge_i64_e64 s0, s[24:25], s[8:9]
	v_add_co_u32 v85, s7, v49, s24
	v_add_co_ci_u32_e64 v86, null, 0, s25, s7
                                        ; implicit-def: $vgpr62
                                        ; implicit-def: $vgpr11
	s_and_b32 vcc_lo, exec_lo, s0
	s_mov_b32 s0, -1
	s_cbranch_vccz .LBB88_75
; %bb.54:                               ;   in Loop: Header=BB88_53 Depth=1
	s_load_dword s0, s[20:21], 0xc
	v_mov_b32_e32 v87, 0
	v_mov_b32_e32 v62, 0
	s_waitcnt lgkmcnt(0)
	s_and_b32 s0, s0, 0xffff
	v_mad_u32_u24 v3, v1, s0, v0
	s_mov_b32 s0, exec_lo
	v_and_b32_e32 v3, 31, v3
	v_cmpx_gt_u32_e32 8, v3
	s_cbranch_execz .LBB88_58
; %bb.55:                               ;   in Loop: Header=BB88_53 Depth=1
	v_add_co_u32 v3, vcc_lo, v85, v3
	v_add_co_ci_u32_e64 v4, null, 0, v86, vcc_lo
	v_mov_b32_e32 v62, 0
	v_add_co_u32 v3, vcc_lo, 0xffffffc1, v3
	v_add_co_ci_u32_e64 v4, null, -1, v4, vcc_lo
	v_mov_b32_e32 v87, 0
	s_mov_b32 s7, exec_lo
	v_cmpx_gt_i64_e64 s[8:9], v[3:4]
	s_cbranch_execz .LBB88_57
; %bb.56:                               ;   in Loop: Header=BB88_53 Depth=1
	v_lshlrev_b64 v[3:4], 2, v[3:4]
	v_add_co_u32 v5, vcc_lo, s16, v3
	v_add_co_ci_u32_e64 v6, null, s17, v4, vcc_lo
	v_add_co_u32 v3, vcc_lo, s18, v3
	v_add_co_ci_u32_e64 v4, null, s19, v4, vcc_lo
	global_load_dword v62, v[5:6], off
	global_load_dword v87, v[3:4], off
.LBB88_57:                              ;   in Loop: Header=BB88_53 Depth=1
	s_or_b32 exec_lo, exec_lo, s7
.LBB88_58:                              ;   in Loop: Header=BB88_53 Depth=1
	s_or_b32 exec_lo, exec_lo, s0
	v_add_co_u32 v10, vcc_lo, 0xffffffc1, v85
	v_add_co_ci_u32_e64 v11, null, -1, v86, vcc_lo
	v_mov_b32_e32 v9, v2
	v_mov_b32_e32 v3, v2
	;; [unrolled: 1-line block ×7, first 2 shown]
	v_cmp_gt_i64_e32 vcc_lo, s[8:9], v[10:11]
	v_mov_b32_e32 v18, v9
	v_mov_b32_e32 v15, v6
	;; [unrolled: 1-line block ×16, first 2 shown]
	s_and_saveexec_b32 s0, vcc_lo
	s_cbranch_execz .LBB88_60
; %bb.59:                               ;   in Loop: Header=BB88_53 Depth=1
	v_add_co_u32 v3, vcc_lo, v50, v47
	v_add_co_ci_u32_e64 v4, null, v51, v48, vcc_lo
	v_add_co_u32 v5, vcc_lo, v52, v47
	v_add_co_ci_u32_e64 v6, null, v53, v48, vcc_lo
	global_load_ushort v3, v[3:4], off
	global_load_ushort v11, v[5:6], off
	v_mov_b32_e32 v4, v2
	v_mov_b32_e32 v5, v2
	;; [unrolled: 1-line block ×14, first 2 shown]
	s_waitcnt vmcnt(1)
	v_cvt_f32_f16_e32 v3, v3
	s_waitcnt vmcnt(0)
	v_cvt_f32_f16_e32 v11, v11
.LBB88_60:                              ;   in Loop: Header=BB88_53 Depth=1
	s_or_b32 exec_lo, exec_lo, s0
	v_add_co_u32 v88, vcc_lo, 0xffffffc2, v85
	v_add_co_ci_u32_e64 v89, null, -1, v86, vcc_lo
	s_mov_b32 s0, exec_lo
	v_cmpx_gt_i64_e64 s[8:9], v[88:89]
	s_cbranch_execz .LBB88_62
; %bb.61:                               ;   in Loop: Header=BB88_53 Depth=1
	v_add_co_u32 v88, vcc_lo, v79, v47
	v_add_co_ci_u32_e64 v89, null, v80, v48, vcc_lo
	v_add_co_u32 v90, vcc_lo, v81, v47
	v_add_co_ci_u32_e64 v91, null, v82, v48, vcc_lo
	global_load_ushort v4, v[88:89], off
	global_load_ushort v12, v[90:91], off
	s_waitcnt vmcnt(1)
	v_cvt_f32_f16_e32 v4, v4
	s_waitcnt vmcnt(0)
	v_cvt_f32_f16_e32 v12, v12
.LBB88_62:                              ;   in Loop: Header=BB88_53 Depth=1
	s_or_b32 exec_lo, exec_lo, s0
	v_add_co_u32 v88, vcc_lo, 0xffffffc3, v85
	v_add_co_ci_u32_e64 v89, null, -1, v86, vcc_lo
	s_mov_b32 s0, exec_lo
	v_cmpx_gt_i64_e64 s[8:9], v[88:89]
	s_cbranch_execz .LBB88_64
; %bb.63:                               ;   in Loop: Header=BB88_53 Depth=1
	v_add_co_u32 v88, vcc_lo, v75, v47
	v_add_co_ci_u32_e64 v89, null, v76, v48, vcc_lo
	v_add_co_u32 v90, vcc_lo, v77, v47
	v_add_co_ci_u32_e64 v91, null, v78, v48, vcc_lo
	global_load_ushort v5, v[88:89], off
	global_load_ushort v13, v[90:91], off
	s_waitcnt vmcnt(1)
	v_cvt_f32_f16_e32 v5, v5
	s_waitcnt vmcnt(0)
	v_cvt_f32_f16_e32 v13, v13
.LBB88_64:                              ;   in Loop: Header=BB88_53 Depth=1
	;; [unrolled: 18-line block ×7, first 2 shown]
	s_or_b32 exec_lo, exec_lo, s0
	s_waitcnt vmcnt(1)
	ds_bpermute_b32 v89, v2, v62
	s_waitcnt vmcnt(0)
	ds_bpermute_b32 v88, v2, v87
	s_mov_b32 s0, 0
	s_waitcnt lgkmcnt(1)
	v_sub_f32_e32 v11, v11, v89
	ds_bpermute_b32 v89, v2, v62 offset:4
	v_mul_f32_e32 v11, v3, v11
	v_add_f32_e32 v3, v84, v3
	s_waitcnt lgkmcnt(1)
	v_fma_f32 v11, v11, v88, v83
	ds_bpermute_b32 v88, v2, v87 offset:4
	v_add_f32_e32 v3, v4, v3
	v_add_f32_e32 v3, v5, v3
	s_waitcnt lgkmcnt(1)
	v_sub_f32_e32 v12, v12, v89
	v_add_f32_e32 v3, v6, v3
	v_mul_f32_e32 v12, v4, v12
	ds_bpermute_b32 v4, v2, v87 offset:8
	v_add_f32_e32 v3, v7, v3
	s_waitcnt lgkmcnt(1)
	v_fmac_f32_e32 v11, v12, v88
	ds_bpermute_b32 v12, v2, v62 offset:8
	v_add_f32_e32 v3, v8, v3
	v_add_f32_e32 v3, v9, v3
	s_waitcnt lgkmcnt(0)
	v_sub_f32_e32 v12, v13, v12
	v_mul_f32_e32 v12, v5, v12
	ds_bpermute_b32 v5, v2, v62 offset:12
	v_fmac_f32_e32 v11, v12, v4
	ds_bpermute_b32 v4, v2, v87 offset:12
	s_waitcnt lgkmcnt(1)
	v_sub_f32_e32 v5, v14, v5
	v_mul_f32_e32 v5, v6, v5
	s_waitcnt lgkmcnt(0)
	v_fmac_f32_e32 v11, v5, v4
	ds_bpermute_b32 v5, v2, v62 offset:16
	ds_bpermute_b32 v4, v2, v87 offset:16
	s_waitcnt lgkmcnt(1)
	v_sub_f32_e32 v5, v15, v5
	v_mul_f32_e32 v5, v7, v5
	s_waitcnt lgkmcnt(0)
	v_fmac_f32_e32 v11, v5, v4
	ds_bpermute_b32 v5, v2, v62 offset:20
	;; [unrolled: 7-line block ×4, first 2 shown]
	ds_bpermute_b32 v4, v2, v87 offset:28
	v_add_f32_e32 v62, v10, v3
	s_waitcnt lgkmcnt(1)
	v_sub_f32_e32 v5, v18, v5
	v_mul_f32_e32 v5, v10, v5
	s_waitcnt lgkmcnt(0)
	v_fmac_f32_e32 v11, v5, v4
.LBB88_75:                              ;   in Loop: Header=BB88_53 Depth=1
	s_and_b32 vcc_lo, exec_lo, s0
	s_cbranch_vccz .LBB88_81
; %bb.76:                               ;   in Loop: Header=BB88_53 Depth=1
	s_load_dword s0, s[20:21], 0x0
	v_mov_b32_e32 v6, 0
	v_mov_b32_e32 v5, 0
	s_waitcnt lgkmcnt(0)
	s_cmp_lt_u32 s6, s0
	s_cselect_b32 s0, 12, 18
	s_add_u32 s12, s20, s0
	s_addc_u32 s13, s21, 0
	s_mov_b32 s0, exec_lo
	global_load_ushort v3, v2, s[12:13]
	s_waitcnt vmcnt(0)
	v_mad_u32_u24 v3, v1, v3, v0
	v_and_b32_e32 v3, 31, v3
	v_cmpx_gt_u32_e32 8, v3
	s_cbranch_execz .LBB88_80
; %bb.77:                               ;   in Loop: Header=BB88_53 Depth=1
	v_add_co_u32 v3, vcc_lo, v85, v3
	v_add_co_ci_u32_e64 v4, null, 0, v86, vcc_lo
	v_mov_b32_e32 v5, 0
	v_add_co_u32 v3, vcc_lo, 0xffffffc1, v3
	v_add_co_ci_u32_e64 v4, null, -1, v4, vcc_lo
	v_mov_b32_e32 v6, 0
	s_mov_b32 s7, exec_lo
	v_cmpx_gt_i64_e64 s[8:9], v[3:4]
	s_cbranch_execz .LBB88_79
; %bb.78:                               ;   in Loop: Header=BB88_53 Depth=1
	v_lshlrev_b64 v[3:4], 2, v[3:4]
	v_add_co_u32 v5, vcc_lo, s16, v3
	v_add_co_ci_u32_e64 v6, null, s17, v4, vcc_lo
	v_add_co_u32 v3, vcc_lo, s18, v3
	v_add_co_ci_u32_e64 v4, null, s19, v4, vcc_lo
	global_load_dword v5, v[5:6], off
	global_load_dword v6, v[3:4], off
.LBB88_79:                              ;   in Loop: Header=BB88_53 Depth=1
	s_or_b32 exec_lo, exec_lo, s7
.LBB88_80:                              ;   in Loop: Header=BB88_53 Depth=1
	s_or_b32 exec_lo, exec_lo, s0
	v_add_co_u32 v3, vcc_lo, v50, v47
	v_add_co_ci_u32_e64 v4, null, v51, v48, vcc_lo
	v_add_co_u32 v7, vcc_lo, v52, v47
	v_add_co_ci_u32_e64 v8, null, v53, v48, vcc_lo
	global_load_ushort v15, v[3:4], off
	v_add_co_u32 v3, vcc_lo, v19, v47
	v_add_co_ci_u32_e64 v4, null, v20, v48, vcc_lo
	v_add_co_u32 v9, vcc_lo, v33, v47
	v_add_co_ci_u32_e64 v10, null, v34, v48, vcc_lo
	;; [unrolled: 2-line block ×4, first 2 shown]
	global_load_ushort v16, v[7:8], off
	global_load_ushort v17, v[3:4], off
	;; [unrolled: 1-line block ×5, first 2 shown]
	v_add_co_u32 v3, vcc_lo, v23, v47
	v_add_co_ci_u32_e64 v4, null, v24, v48, vcc_lo
	v_add_co_u32 v7, vcc_lo, v37, v47
	v_add_co_ci_u32_e64 v8, null, v38, v48, vcc_lo
	;; [unrolled: 2-line block ×5, first 2 shown]
	global_load_ushort v86, v[7:8], off
	global_load_ushort v87, v[3:4], off
	;; [unrolled: 1-line block ×5, first 2 shown]
	v_add_co_u32 v3, vcc_lo, v41, v47
	v_add_co_ci_u32_e64 v4, null, v42, v48, vcc_lo
	v_add_co_u32 v7, vcc_lo, v29, v47
	v_add_co_ci_u32_e64 v8, null, v30, v48, vcc_lo
	;; [unrolled: 2-line block ×3, first 2 shown]
	global_load_ushort v13, v[3:4], off
	global_load_ushort v14, v[7:8], off
	;; [unrolled: 1-line block ×3, first 2 shown]
	v_add_co_u32 v7, s0, v45, v47
	v_add_co_u32 v3, vcc_lo, v31, v47
	v_add_co_ci_u32_e64 v8, null, v46, v48, s0
	v_add_co_ci_u32_e64 v4, null, v32, v48, vcc_lo
	global_load_ushort v7, v[7:8], off
	global_load_ushort v3, v[3:4], off
	s_waitcnt vmcnt(17)
	ds_bpermute_b32 v4, v2, v5
	s_waitcnt vmcnt(16)
	ds_bpermute_b32 v8, v2, v6
	ds_bpermute_b32 v89, v2, v5 offset:8
	ds_bpermute_b32 v90, v2, v6 offset:4
	;; [unrolled: 1-line block ×4, first 2 shown]
	s_waitcnt vmcnt(15)
	v_cvt_f32_f16_e32 v15, v15
	s_waitcnt vmcnt(14)
	v_cvt_f32_f16_e32 v10, v16
	ds_bpermute_b32 v16, v2, v5 offset:4
	s_waitcnt vmcnt(12)
	v_cvt_f32_f16_e32 v18, v18
	v_cvt_f32_f16_e32 v17, v17
	s_waitcnt vmcnt(10)
	v_cvt_f32_f16_e32 v85, v85
	s_waitcnt lgkmcnt(6)
	v_sub_f32_e32 v4, v10, v4
	ds_bpermute_b32 v10, v2, v5 offset:12
	v_cvt_f32_f16_e32 v62, v62
	s_waitcnt lgkmcnt(5)
	v_sub_f32_e32 v85, v85, v89
	v_mul_f32_e32 v4, v4, v15
	v_add_f32_e32 v15, v84, v15
	ds_bpermute_b32 v84, v2, v6 offset:20
	ds_bpermute_b32 v89, v2, v6 offset:24
	v_mul_f32_e32 v85, v85, v62
	v_fmac_f32_e32 v83, v4, v8
	ds_bpermute_b32 v8, v2, v5 offset:16
	ds_bpermute_b32 v4, v2, v6 offset:16
	ds_bpermute_b32 v6, v2, v6 offset:28
	s_waitcnt vmcnt(9)
	v_cvt_f32_f16_e32 v86, v86
	s_waitcnt lgkmcnt(6)
	v_sub_f32_e32 v16, v18, v16
	ds_bpermute_b32 v18, v2, v5 offset:20
	s_waitcnt vmcnt(8)
	v_cvt_f32_f16_e32 v87, v87
	s_waitcnt vmcnt(6)
	v_cvt_f32_f16_e32 v11, v11
	s_waitcnt lgkmcnt(6)
	v_sub_f32_e32 v10, v86, v10
	ds_bpermute_b32 v86, v2, v5 offset:24
	v_mul_f32_e32 v16, v16, v17
	ds_bpermute_b32 v5, v2, v5 offset:28
	v_cvt_f32_f16_e32 v88, v88
	v_mul_f32_e32 v10, v10, v87
	s_waitcnt vmcnt(5)
	v_cvt_f32_f16_e32 v12, v12
	v_fmac_f32_e32 v83, v16, v90
	s_waitcnt lgkmcnt(5)
	v_sub_f32_e32 v8, v11, v8
	s_waitcnt vmcnt(4)
	v_cvt_f32_f16_e32 v13, v13
	v_add_f32_e32 v11, v15, v17
	v_fmac_f32_e32 v83, v85, v91
	s_waitcnt vmcnt(2)
	v_cvt_f32_f16_e32 v9, v9
	v_mul_f32_e32 v8, v8, v88
	s_waitcnt lgkmcnt(2)
	v_sub_f32_e32 v13, v13, v18
	v_add_f32_e32 v11, v11, v62
	v_fmac_f32_e32 v83, v10, v92
	v_cvt_f32_f16_e32 v10, v14
	s_waitcnt lgkmcnt(1)
	v_sub_f32_e32 v9, v9, v86
	v_mul_f32_e32 v13, v13, v12
	v_add_f32_e32 v11, v11, v87
	v_fmac_f32_e32 v83, v8, v4
	s_waitcnt vmcnt(1)
	v_cvt_f32_f16_e32 v4, v7
	s_waitcnt vmcnt(0)
	v_cvt_f32_f16_e32 v3, v3
	v_mul_f32_e32 v7, v9, v10
	v_add_f32_e32 v8, v11, v88
	v_fmac_f32_e32 v83, v13, v84
	s_waitcnt lgkmcnt(0)
	v_sub_f32_e32 v4, v4, v5
	v_add_f32_e32 v5, v8, v12
	v_fmac_f32_e32 v83, v7, v89
	v_mul_f32_e32 v4, v4, v3
	v_add_f32_e32 v5, v5, v10
	v_fmac_f32_e32 v83, v4, v6
	v_add_f32_e32 v62, v5, v3
	v_mov_b32_e32 v11, v83
.LBB88_81:                              ;   in Loop: Header=BB88_53 Depth=1
	v_add_co_u32 v50, vcc_lo, v50, s22
	v_add_co_ci_u32_e64 v51, null, s23, v51, vcc_lo
	v_add_co_u32 v52, vcc_lo, v52, s22
	v_add_co_ci_u32_e64 v53, null, s23, v53, vcc_lo
	;; [unrolled: 2-line block ×26, first 2 shown]
	v_add_co_u32 v75, vcc_lo, v75, s22
	s_add_u32 s2, s2, s1
	v_add_co_ci_u32_e64 v76, null, s23, v76, vcc_lo
	v_add_co_u32 v77, vcc_lo, v77, s22
	s_addc_u32 s3, s3, 0
	v_add_co_ci_u32_e64 v78, null, s23, v78, vcc_lo
	v_add_co_u32 v79, vcc_lo, v79, s22
	v_cmp_ge_i64_e64 s0, s[2:3], s[8:9]
	v_add_co_ci_u32_e64 v80, null, s23, v80, vcc_lo
	v_add_co_u32 v81, vcc_lo, v81, s22
	v_add_co_ci_u32_e64 v82, null, s23, v82, vcc_lo
	s_add_u32 s24, s24, s1
	s_addc_u32 s25, s25, 0
	s_and_b32 vcc_lo, exec_lo, s0
	s_cbranch_vccnz .LBB88_83
; %bb.82:                               ;   in Loop: Header=BB88_53 Depth=1
	v_mov_b32_e32 v84, v62
	v_mov_b32_e32 v83, v11
	s_branch .LBB88_53
.LBB88_83:
	v_mad_u32_u24 v2, v1, 33, v0
	v_lshrrev_b32_e32 v3, 5, v0
	s_mov_b32 s0, exec_lo
	v_lshl_add_u32 v2, v2, 2, 0
	v_add_nc_u32_e32 v3, v3, v1
	ds_write_b32 v2, v11
	ds_write_b32 v2, v62 offset:1056
	s_waitcnt lgkmcnt(0)
	s_barrier
	buffer_gl0_inv
	v_cmpx_gt_u32_e32 32, v3
	s_cbranch_execz .LBB88_115
; %bb.84:
	s_load_dwordx4 s[12:15], s[4:5], 0x30
	v_and_b32_e32 v1, 31, v0
                                        ; implicit-def: $vgpr2
	v_cmp_gt_u32_e64 s0, 8, v1
	v_mul_u32_u24_e32 v4, 33, v1
                                        ; implicit-def: $vgpr1
	s_and_saveexec_b32 s1, s0
	s_cbranch_execz .LBB88_86
; %bb.85:
	v_add_nc_u32_e32 v1, v3, v4
	v_lshl_add_u32 v1, v1, 2, 0
	ds_read_b32 v2, v1
	ds_read_b32 v1, v1 offset:1056
.LBB88_86:
	s_or_b32 exec_lo, exec_lo, s1
	v_mbcnt_lo_u32_b32 v7, -1, 0
	s_mov_b32 s7, 0
	v_cmp_eq_u32_e64 s1, 0, v0
	s_lshl_b64 s[2:3], s[6:7], 5
	s_waitcnt lgkmcnt(0)
	s_cmp_lg_u64 s[12:13], 0
	v_xor_b32_e32 v5, 4, v7
	v_xor_b32_e32 v6, 2, v7
	;; [unrolled: 1-line block ×3, first 2 shown]
	s_cselect_b32 s5, -1, 0
	s_cmp_lg_u64 s[14:15], 0
	v_cmp_gt_i32_e32 vcc_lo, 32, v5
	s_cselect_b32 s4, -1, 0
	v_cndmask_b32_e32 v5, v7, v5, vcc_lo
	v_cmp_gt_i32_e32 vcc_lo, 32, v6
	v_lshlrev_b32_e32 v5, 2, v5
	v_cndmask_b32_e32 v6, v7, v6, vcc_lo
	v_cmp_gt_i32_e32 vcc_lo, 32, v10
	ds_bpermute_b32 v8, v5, v2
	ds_bpermute_b32 v9, v5, v1
	v_lshlrev_b32_e32 v6, 2, v6
	v_cndmask_b32_e32 v7, v7, v10, vcc_lo
	v_lshlrev_b32_e32 v7, 2, v7
	s_waitcnt lgkmcnt(1)
	v_add_f32_e32 v2, v2, v8
	s_waitcnt lgkmcnt(0)
	v_add_f32_e32 v1, v1, v9
	ds_bpermute_b32 v8, v6, v2
	ds_bpermute_b32 v9, v6, v1
	s_waitcnt lgkmcnt(1)
	v_add_f32_e32 v8, v2, v8
	s_waitcnt lgkmcnt(0)
	v_add_f32_e32 v9, v1, v9
	v_or_b32_e32 v1, s2, v3
	v_mov_b32_e32 v2, s3
	ds_bpermute_b32 v10, v7, v8
	ds_bpermute_b32 v11, v7, v9
	v_cmp_gt_i64_e32 vcc_lo, s[10:11], v[1:2]
	s_and_b32 s7, s1, vcc_lo
	s_waitcnt lgkmcnt(1)
	v_add_f32_e32 v8, v8, v10
	s_waitcnt lgkmcnt(0)
	v_add_f32_e32 v9, v9, v11
	s_and_saveexec_b32 s6, s7
	s_cbranch_execz .LBB88_91
; %bb.87:
	v_lshlrev_b64 v[0:1], 1, v[1:2]
	s_andn2_b32 vcc_lo, exec_lo, s5
	s_cbranch_vccnz .LBB88_89
; %bb.88:
	v_add_co_u32 v10, vcc_lo, s12, v0
	v_add_co_ci_u32_e64 v11, null, s13, v1, vcc_lo
	v_cvt_f16_f32_e32 v2, v8
	global_store_short v[10:11], v2, off
.LBB88_89:
	s_andn2_b32 vcc_lo, exec_lo, s4
	s_cbranch_vccnz .LBB88_91
; %bb.90:
	v_add_co_u32 v0, vcc_lo, s14, v0
	v_add_co_ci_u32_e64 v1, null, s15, v1, vcc_lo
	v_cvt_f16_f32_e32 v2, v9
	global_store_short v[0:1], v2, off
.LBB88_91:
	s_or_b32 exec_lo, exec_lo, s6
	v_cmp_gt_u32_e32 vcc_lo, 24, v3
	s_and_b32 exec_lo, exec_lo, vcc_lo
	s_cbranch_execz .LBB88_115
; %bb.92:
	s_and_saveexec_b32 s6, s0
	s_cbranch_execz .LBB88_94
; %bb.93:
	v_add_nc_u32_e32 v0, v3, v4
	v_lshl_add_u32 v0, v0, 2, 0
	ds_read_b32 v8, v0 offset:32
	ds_read_b32 v9, v0 offset:1088
.LBB88_94:
	s_or_b32 exec_lo, exec_lo, s6
	s_waitcnt lgkmcnt(1)
	ds_bpermute_b32 v0, v5, v8
	s_waitcnt lgkmcnt(1)
	ds_bpermute_b32 v1, v5, v9
	s_waitcnt lgkmcnt(1)
	v_add_f32_e32 v0, v8, v0
	s_waitcnt lgkmcnt(0)
	v_add_f32_e32 v1, v9, v1
	ds_bpermute_b32 v2, v6, v0
	ds_bpermute_b32 v8, v6, v1
	s_waitcnt lgkmcnt(1)
	v_add_f32_e32 v2, v0, v2
	s_waitcnt lgkmcnt(0)
	v_add_f32_e32 v8, v1, v8
	v_add_nc_u32_e32 v0, 8, v3
	ds_bpermute_b32 v9, v7, v2
	ds_bpermute_b32 v10, v7, v8
	v_add_co_u32 v0, s6, s2, v0
	v_add_co_ci_u32_e64 v1, null, s3, 0, s6
	v_cmp_gt_i64_e32 vcc_lo, s[10:11], v[0:1]
	s_and_b32 s7, s1, vcc_lo
	s_waitcnt lgkmcnt(1)
	v_add_f32_e32 v0, v2, v9
	s_waitcnt lgkmcnt(0)
	v_add_f32_e32 v1, v8, v10
	s_and_saveexec_b32 s6, s7
	s_cbranch_execz .LBB88_99
; %bb.95:
	s_andn2_b32 vcc_lo, exec_lo, s5
	s_cbranch_vccnz .LBB88_97
; %bb.96:
	v_add_co_u32 v8, s7, s2, v3
	v_add_co_ci_u32_e64 v9, null, s3, 0, s7
	v_cvt_f16_f32_e32 v2, v0
	v_lshlrev_b64 v[8:9], 1, v[8:9]
	v_add_co_u32 v8, vcc_lo, s12, v8
	v_add_co_ci_u32_e64 v9, null, s13, v9, vcc_lo
	global_store_short v[8:9], v2, off offset:16
.LBB88_97:
	s_andn2_b32 vcc_lo, exec_lo, s4
	s_cbranch_vccnz .LBB88_99
; %bb.98:
	v_add_co_u32 v8, s7, s2, v3
	v_add_co_ci_u32_e64 v9, null, s3, 0, s7
	v_cvt_f16_f32_e32 v2, v1
	v_lshlrev_b64 v[8:9], 1, v[8:9]
	v_add_co_u32 v8, vcc_lo, s14, v8
	v_add_co_ci_u32_e64 v9, null, s15, v9, vcc_lo
	global_store_short v[8:9], v2, off offset:16
.LBB88_99:
	s_or_b32 exec_lo, exec_lo, s6
	v_cmp_gt_u32_e32 vcc_lo, 16, v3
	s_and_b32 exec_lo, exec_lo, vcc_lo
	s_cbranch_execz .LBB88_115
; %bb.100:
	s_and_saveexec_b32 s6, s0
	s_cbranch_execz .LBB88_102
; %bb.101:
	v_add_nc_u32_e32 v0, v3, v4
	v_lshl_add_u32 v1, v0, 2, 0
	ds_read_b32 v0, v1 offset:64
	ds_read_b32 v1, v1 offset:1120
.LBB88_102:
	s_or_b32 exec_lo, exec_lo, s6
	s_waitcnt lgkmcnt(1)
	ds_bpermute_b32 v2, v5, v0
	s_waitcnt lgkmcnt(1)
	ds_bpermute_b32 v8, v5, v1
	s_waitcnt lgkmcnt(1)
	v_add_f32_e32 v0, v0, v2
	s_waitcnt lgkmcnt(0)
	v_add_f32_e32 v1, v1, v8
	ds_bpermute_b32 v2, v6, v0
	ds_bpermute_b32 v8, v6, v1
	s_waitcnt lgkmcnt(1)
	v_add_f32_e32 v2, v0, v2
	s_waitcnt lgkmcnt(0)
	v_add_f32_e32 v8, v1, v8
	v_add_nc_u32_e32 v0, 16, v3
	v_mov_b32_e32 v1, s3
	ds_bpermute_b32 v9, v7, v2
	ds_bpermute_b32 v10, v7, v8
	v_or_b32_e32 v0, s2, v0
	v_cmp_gt_i64_e32 vcc_lo, s[10:11], v[0:1]
	s_and_b32 s7, s1, vcc_lo
	s_waitcnt lgkmcnt(1)
	v_add_f32_e32 v0, v2, v9
	s_waitcnt lgkmcnt(0)
	v_add_f32_e32 v1, v8, v10
	s_and_saveexec_b32 s6, s7
	s_cbranch_execz .LBB88_107
; %bb.103:
	s_andn2_b32 vcc_lo, exec_lo, s5
	s_cbranch_vccnz .LBB88_105
; %bb.104:
	v_add_co_u32 v8, s7, s2, v3
	v_add_co_ci_u32_e64 v9, null, s3, 0, s7
	v_cvt_f16_f32_e32 v2, v0
	v_lshlrev_b64 v[8:9], 1, v[8:9]
	v_add_co_u32 v8, vcc_lo, s12, v8
	v_add_co_ci_u32_e64 v9, null, s13, v9, vcc_lo
	global_store_short v[8:9], v2, off offset:32
.LBB88_105:
	s_andn2_b32 vcc_lo, exec_lo, s4
	s_cbranch_vccnz .LBB88_107
; %bb.106:
	v_add_co_u32 v8, s7, s2, v3
	v_add_co_ci_u32_e64 v9, null, s3, 0, s7
	v_cvt_f16_f32_e32 v2, v1
	v_lshlrev_b64 v[8:9], 1, v[8:9]
	v_add_co_u32 v8, vcc_lo, s14, v8
	v_add_co_ci_u32_e64 v9, null, s15, v9, vcc_lo
	global_store_short v[8:9], v2, off offset:32
.LBB88_107:
	s_or_b32 exec_lo, exec_lo, s6
	v_cmp_gt_u32_e32 vcc_lo, 8, v3
	s_and_b32 exec_lo, exec_lo, vcc_lo
	s_cbranch_execz .LBB88_115
; %bb.108:
	s_and_saveexec_b32 s6, s0
	s_cbranch_execz .LBB88_110
; %bb.109:
	v_add_nc_u32_e32 v0, v3, v4
	v_lshl_add_u32 v1, v0, 2, 0
	ds_read_b32 v0, v1 offset:96
	ds_read_b32 v1, v1 offset:1152
.LBB88_110:
	s_or_b32 exec_lo, exec_lo, s6
	s_waitcnt lgkmcnt(1)
	ds_bpermute_b32 v2, v5, v0
	s_waitcnt lgkmcnt(1)
	ds_bpermute_b32 v4, v5, v1
	v_add_nc_u32_e32 v5, 24, v3
	v_or_b32_e32 v5, s2, v5
	s_waitcnt lgkmcnt(1)
	v_add_f32_e32 v0, v0, v2
	s_waitcnt lgkmcnt(0)
	v_add_f32_e32 v1, v1, v4
	ds_bpermute_b32 v2, v6, v0
	ds_bpermute_b32 v4, v6, v1
	v_mov_b32_e32 v6, s3
	v_cmp_gt_i64_e32 vcc_lo, s[10:11], v[5:6]
	s_and_b32 s0, s1, vcc_lo
	s_waitcnt lgkmcnt(1)
	v_add_f32_e32 v2, v0, v2
	s_waitcnt lgkmcnt(0)
	v_add_f32_e32 v0, v1, v4
	ds_bpermute_b32 v4, v7, v2
	ds_bpermute_b32 v1, v7, v0
	s_and_b32 exec_lo, exec_lo, s0
	s_cbranch_execz .LBB88_115
; %bb.111:
	s_andn2_b32 vcc_lo, exec_lo, s5
	s_cbranch_vccnz .LBB88_113
; %bb.112:
	v_add_co_u32 v5, s0, s2, v3
	v_add_co_ci_u32_e64 v6, null, s3, 0, s0
	s_waitcnt lgkmcnt(1)
	v_add_f32_e32 v2, v2, v4
	v_lshlrev_b64 v[5:6], 1, v[5:6]
	v_cvt_f16_f32_e32 v2, v2
	v_add_co_u32 v4, vcc_lo, s12, v5
	v_add_co_ci_u32_e64 v5, null, s13, v6, vcc_lo
	global_store_short v[4:5], v2, off offset:48
.LBB88_113:
	s_andn2_b32 vcc_lo, exec_lo, s4
	s_cbranch_vccnz .LBB88_115
; %bb.114:
	v_add_co_u32 v2, s0, s2, v3
	v_add_co_ci_u32_e64 v3, null, s3, 0, s0
	s_waitcnt lgkmcnt(0)
	v_add_f32_e32 v4, v0, v1
	v_lshlrev_b64 v[2:3], 1, v[2:3]
	v_add_co_u32 v0, vcc_lo, s14, v2
	v_add_co_ci_u32_e64 v1, null, s15, v3, vcc_lo
	v_cvt_f16_f32_e32 v2, v4
	global_store_short v[0:1], v2, off offset:48
.LBB88_115:
	s_endpgm
	.section	.rodata,"a",@progbits
	.p2align	6, 0x0
	.amdhsa_kernel _ZN2at6native12_GLOBAL__N_135GammaBetaBackwardCUDAKernelTemplateIN3c104HalfEfLj32ELj8ELj64ELb0ELb0ELb0EEEvllPKT_S7_PKT0_SA_PS5_SB_
		.amdhsa_group_segment_fixed_size 0
		.amdhsa_private_segment_fixed_size 0
		.amdhsa_kernarg_size 320
		.amdhsa_user_sgpr_count 6
		.amdhsa_user_sgpr_private_segment_buffer 1
		.amdhsa_user_sgpr_dispatch_ptr 0
		.amdhsa_user_sgpr_queue_ptr 0
		.amdhsa_user_sgpr_kernarg_segment_ptr 1
		.amdhsa_user_sgpr_dispatch_id 0
		.amdhsa_user_sgpr_flat_scratch_init 0
		.amdhsa_user_sgpr_private_segment_size 0
		.amdhsa_wavefront_size32 1
		.amdhsa_uses_dynamic_stack 0
		.amdhsa_system_sgpr_private_segment_wavefront_offset 0
		.amdhsa_system_sgpr_workgroup_id_x 1
		.amdhsa_system_sgpr_workgroup_id_y 1
		.amdhsa_system_sgpr_workgroup_id_z 0
		.amdhsa_system_sgpr_workgroup_info 0
		.amdhsa_system_vgpr_workitem_id 1
		.amdhsa_next_free_vgpr 93
		.amdhsa_next_free_sgpr 32
		.amdhsa_reserve_vcc 1
		.amdhsa_reserve_flat_scratch 0
		.amdhsa_float_round_mode_32 0
		.amdhsa_float_round_mode_16_64 0
		.amdhsa_float_denorm_mode_32 3
		.amdhsa_float_denorm_mode_16_64 3
		.amdhsa_dx10_clamp 1
		.amdhsa_ieee_mode 1
		.amdhsa_fp16_overflow 0
		.amdhsa_workgroup_processor_mode 1
		.amdhsa_memory_ordered 1
		.amdhsa_forward_progress 1
		.amdhsa_shared_vgpr_count 0
		.amdhsa_exception_fp_ieee_invalid_op 0
		.amdhsa_exception_fp_denorm_src 0
		.amdhsa_exception_fp_ieee_div_zero 0
		.amdhsa_exception_fp_ieee_overflow 0
		.amdhsa_exception_fp_ieee_underflow 0
		.amdhsa_exception_fp_ieee_inexact 0
		.amdhsa_exception_int_div_zero 0
	.end_amdhsa_kernel
	.section	.text._ZN2at6native12_GLOBAL__N_135GammaBetaBackwardCUDAKernelTemplateIN3c104HalfEfLj32ELj8ELj64ELb0ELb0ELb0EEEvllPKT_S7_PKT0_SA_PS5_SB_,"axG",@progbits,_ZN2at6native12_GLOBAL__N_135GammaBetaBackwardCUDAKernelTemplateIN3c104HalfEfLj32ELj8ELj64ELb0ELb0ELb0EEEvllPKT_S7_PKT0_SA_PS5_SB_,comdat
.Lfunc_end88:
	.size	_ZN2at6native12_GLOBAL__N_135GammaBetaBackwardCUDAKernelTemplateIN3c104HalfEfLj32ELj8ELj64ELb0ELb0ELb0EEEvllPKT_S7_PKT0_SA_PS5_SB_, .Lfunc_end88-_ZN2at6native12_GLOBAL__N_135GammaBetaBackwardCUDAKernelTemplateIN3c104HalfEfLj32ELj8ELj64ELb0ELb0ELb0EEEvllPKT_S7_PKT0_SA_PS5_SB_
                                        ; -- End function
	.set _ZN2at6native12_GLOBAL__N_135GammaBetaBackwardCUDAKernelTemplateIN3c104HalfEfLj32ELj8ELj64ELb0ELb0ELb0EEEvllPKT_S7_PKT0_SA_PS5_SB_.num_vgpr, 93
	.set _ZN2at6native12_GLOBAL__N_135GammaBetaBackwardCUDAKernelTemplateIN3c104HalfEfLj32ELj8ELj64ELb0ELb0ELb0EEEvllPKT_S7_PKT0_SA_PS5_SB_.num_agpr, 0
	.set _ZN2at6native12_GLOBAL__N_135GammaBetaBackwardCUDAKernelTemplateIN3c104HalfEfLj32ELj8ELj64ELb0ELb0ELb0EEEvllPKT_S7_PKT0_SA_PS5_SB_.numbered_sgpr, 32
	.set _ZN2at6native12_GLOBAL__N_135GammaBetaBackwardCUDAKernelTemplateIN3c104HalfEfLj32ELj8ELj64ELb0ELb0ELb0EEEvllPKT_S7_PKT0_SA_PS5_SB_.num_named_barrier, 0
	.set _ZN2at6native12_GLOBAL__N_135GammaBetaBackwardCUDAKernelTemplateIN3c104HalfEfLj32ELj8ELj64ELb0ELb0ELb0EEEvllPKT_S7_PKT0_SA_PS5_SB_.private_seg_size, 0
	.set _ZN2at6native12_GLOBAL__N_135GammaBetaBackwardCUDAKernelTemplateIN3c104HalfEfLj32ELj8ELj64ELb0ELb0ELb0EEEvllPKT_S7_PKT0_SA_PS5_SB_.uses_vcc, 1
	.set _ZN2at6native12_GLOBAL__N_135GammaBetaBackwardCUDAKernelTemplateIN3c104HalfEfLj32ELj8ELj64ELb0ELb0ELb0EEEvllPKT_S7_PKT0_SA_PS5_SB_.uses_flat_scratch, 0
	.set _ZN2at6native12_GLOBAL__N_135GammaBetaBackwardCUDAKernelTemplateIN3c104HalfEfLj32ELj8ELj64ELb0ELb0ELb0EEEvllPKT_S7_PKT0_SA_PS5_SB_.has_dyn_sized_stack, 0
	.set _ZN2at6native12_GLOBAL__N_135GammaBetaBackwardCUDAKernelTemplateIN3c104HalfEfLj32ELj8ELj64ELb0ELb0ELb0EEEvllPKT_S7_PKT0_SA_PS5_SB_.has_recursion, 0
	.set _ZN2at6native12_GLOBAL__N_135GammaBetaBackwardCUDAKernelTemplateIN3c104HalfEfLj32ELj8ELj64ELb0ELb0ELb0EEEvllPKT_S7_PKT0_SA_PS5_SB_.has_indirect_call, 0
	.section	.AMDGPU.csdata,"",@progbits
; Kernel info:
; codeLenInByte = 9672
; TotalNumSgprs: 34
; NumVgprs: 93
; ScratchSize: 0
; MemoryBound: 0
; FloatMode: 240
; IeeeMode: 1
; LDSByteSize: 0 bytes/workgroup (compile time only)
; SGPRBlocks: 0
; VGPRBlocks: 11
; NumSGPRsForWavesPerEU: 34
; NumVGPRsForWavesPerEU: 93
; Occupancy: 10
; WaveLimiterHint : 0
; COMPUTE_PGM_RSRC2:SCRATCH_EN: 0
; COMPUTE_PGM_RSRC2:USER_SGPR: 6
; COMPUTE_PGM_RSRC2:TRAP_HANDLER: 0
; COMPUTE_PGM_RSRC2:TGID_X_EN: 1
; COMPUTE_PGM_RSRC2:TGID_Y_EN: 1
; COMPUTE_PGM_RSRC2:TGID_Z_EN: 0
; COMPUTE_PGM_RSRC2:TIDIG_COMP_CNT: 1
	.section	.text._ZN2at6native12_GLOBAL__N_135GammaBetaBackwardCUDAKernelTemplateIN3c104HalfEfLj32ELj16ELj128ELb0ELb1ELb0EEEvllPKT_S7_PKT0_SA_PS5_SB_,"axG",@progbits,_ZN2at6native12_GLOBAL__N_135GammaBetaBackwardCUDAKernelTemplateIN3c104HalfEfLj32ELj16ELj128ELb0ELb1ELb0EEEvllPKT_S7_PKT0_SA_PS5_SB_,comdat
	.globl	_ZN2at6native12_GLOBAL__N_135GammaBetaBackwardCUDAKernelTemplateIN3c104HalfEfLj32ELj16ELj128ELb0ELb1ELb0EEEvllPKT_S7_PKT0_SA_PS5_SB_ ; -- Begin function _ZN2at6native12_GLOBAL__N_135GammaBetaBackwardCUDAKernelTemplateIN3c104HalfEfLj32ELj16ELj128ELb0ELb1ELb0EEEvllPKT_S7_PKT0_SA_PS5_SB_
	.p2align	8
	.type	_ZN2at6native12_GLOBAL__N_135GammaBetaBackwardCUDAKernelTemplateIN3c104HalfEfLj32ELj16ELj128ELb0ELb1ELb0EEEvllPKT_S7_PKT0_SA_PS5_SB_,@function
_ZN2at6native12_GLOBAL__N_135GammaBetaBackwardCUDAKernelTemplateIN3c104HalfEfLj32ELj16ELj128ELb0ELb1ELb0EEEvllPKT_S7_PKT0_SA_PS5_SB_: ; @_ZN2at6native12_GLOBAL__N_135GammaBetaBackwardCUDAKernelTemplateIN3c104HalfEfLj32ELj16ELj128ELb0ELb1ELb0EEEvllPKT_S7_PKT0_SA_PS5_SB_
; %bb.0:
	s_load_dwordx4 s[20:23], s[4:5], 0x0
	s_lshl_b32 s2, s7, 7
	s_mov_b32 s3, 0
	s_waitcnt lgkmcnt(0)
	v_cmp_gt_i64_e64 s0, s[20:21], s[2:3]
	s_and_b32 vcc_lo, exec_lo, s0
	s_cbranch_vccnz .LBB89_2
; %bb.1:
	s_mov_b32 s0, s3
	s_branch .LBB89_3
.LBB89_2:
	s_mov_b32 s0, -1
.LBB89_3:
	s_load_dwordx4 s[16:19], s[4:5], 0x30
	v_mov_b32_e32 v2, 0
	v_mov_b32_e32 v17, 0
	s_andn2_b32 vcc_lo, exec_lo, s0
	s_cbranch_vccnz .LBB89_10
; %bb.4:
	s_clause 0x2
	s_load_dword s0, s[4:5], 0x4c
	s_load_dword s1, s[4:5], 0x44
	s_load_dwordx8 s[8:15], s[4:5], 0x10
	v_lshlrev_b32_e32 v2, 3, v1
	v_mov_b32_e32 v3, 0
	v_mov_b32_e32 v8, 8
	;; [unrolled: 1-line block ×4, first 2 shown]
	v_add_co_u32 v4, s4, v2, s2
	v_add_co_ci_u32_e64 v5, null, 0, 0, s4
	v_lshl_add_u32 v2, s6, 5, v0
	v_mul_lo_u32 v17, s23, v4
	v_mad_u64_u32 v[6:7], null, s22, v4, 0
	v_mul_lo_u32 v18, s22, v5
	v_mov_b32_e32 v11, 16
	v_mov_b32_e32 v12, 20
	;; [unrolled: 1-line block ×3, first 2 shown]
	s_waitcnt lgkmcnt(0)
	s_and_b32 s0, s0, 0xffff
	s_lshl_b32 s4, s1, 7
	v_mad_u32_u24 v15, v1, s0, v0
	s_mul_i32 s1, s23, s4
	v_add3_u32 v7, v7, v18, v17
	s_mul_hi_u32 s7, s22, s4
	v_mov_b32_e32 v14, 28
	v_and_b32_e32 v19, 31, v15
	v_lshlrev_b64 v[15:16], 1, v[2:3]
	v_lshlrev_b64 v[17:18], 1, v[6:7]
	v_mov_b32_e32 v2, 0
	s_mov_b32 s5, 0
	v_add_co_u32 v4, vcc_lo, v4, v19
	v_add_co_ci_u32_e64 v5, null, 0, v5, vcc_lo
	v_add_co_u32 v15, vcc_lo, v17, v15
	v_cmp_gt_u32_e64 s0, 8, v19
	v_lshlrev_b64 v[6:7], 2, v[4:5]
	v_add_co_ci_u32_e64 v16, null, v18, v16, vcc_lo
	v_mov_b32_e32 v17, 0
	s_add_i32 s27, s7, s1
	s_mul_i32 s26, s22, s4
	s_lshl_b64 s[24:25], s[4:5], 2
	s_lshl_b64 s[26:27], s[26:27], 1
	;; [unrolled: 1-line block ×3, first 2 shown]
	s_branch .LBB89_7
.LBB89_5:                               ;   in Loop: Header=BB89_7 Depth=1
	s_or_b32 exec_lo, exec_lo, s5
.LBB89_6:                               ;   in Loop: Header=BB89_7 Depth=1
	s_or_b32 exec_lo, exec_lo, s1
	v_add_co_u32 v20, vcc_lo, s8, v15
	v_add_co_ci_u32_e64 v21, null, s9, v16, vcc_lo
	v_add_co_u32 v22, vcc_lo, s10, v15
	v_add_co_ci_u32_e64 v23, null, s11, v16, vcc_lo
	;; [unrolled: 2-line block ×5, first 2 shown]
	global_load_ushort v30, v[20:21], off
	global_load_ushort v31, v[22:23], off
	global_load_ushort v32, v[24:25], off
	global_load_ushort v33, v[26:27], off
	global_load_ushort v34, v[28:29], off
	v_add_co_u32 v20, vcc_lo, v26, s22
	v_add_co_ci_u32_e64 v21, null, s23, v27, vcc_lo
	v_add_co_u32 v22, vcc_lo, v28, s22
	v_add_co_ci_u32_e64 v23, null, s23, v29, vcc_lo
	;; [unrolled: 2-line block ×5, first 2 shown]
	global_load_ushort v35, v[20:21], off
	global_load_ushort v36, v[22:23], off
	;; [unrolled: 1-line block ×5, first 2 shown]
	v_add_co_u32 v20, vcc_lo, v26, s22
	v_add_co_ci_u32_e64 v21, null, s23, v27, vcc_lo
	v_add_co_u32 v22, vcc_lo, v28, s22
	v_add_co_ci_u32_e64 v23, null, s23, v29, vcc_lo
	;; [unrolled: 2-line block ×4, first 2 shown]
	global_load_ushort v28, v[20:21], off
	global_load_ushort v29, v[22:23], off
	;; [unrolled: 1-line block ×4, first 2 shown]
	v_add_co_u32 v20, vcc_lo, v26, s22
	v_add_co_ci_u32_e64 v21, null, s23, v27, vcc_lo
	v_add_co_u32 v22, vcc_lo, v24, s22
	v_add_co_ci_u32_e64 v23, null, s23, v25, vcc_lo
	global_load_ushort v20, v[20:21], off
	global_load_ushort v21, v[22:23], off
	s_waitcnt vmcnt(17)
	ds_bpermute_b32 v22, v3, v18
	ds_bpermute_b32 v25, v9, v18
	s_waitcnt vmcnt(16)
	ds_bpermute_b32 v23, v3, v19
	ds_bpermute_b32 v27, v8, v18
	;; [unrolled: 1-line block ×14, first 2 shown]
	s_add_u32 s2, s2, s4
	v_add_co_u32 v6, vcc_lo, v6, s24
	s_addc_u32 s3, s3, 0
	v_add_co_ci_u32_e64 v7, null, s25, v7, vcc_lo
	v_add_co_u32 v4, vcc_lo, v4, s4
	v_cmp_lt_i64_e64 s1, s[2:3], s[20:21]
	v_add_co_ci_u32_e64 v5, null, 0, v5, vcc_lo
	v_add_co_u32 v15, vcc_lo, v15, s26
	v_add_co_ci_u32_e64 v16, null, s27, v16, vcc_lo
	s_and_b32 vcc_lo, exec_lo, s1
	s_waitcnt vmcnt(15)
	v_cvt_f32_f16_e32 v30, v30
	s_waitcnt vmcnt(14)
	v_cvt_f32_f16_e32 v31, v31
	;; [unrolled: 2-line block ×3, first 2 shown]
	v_add_f32_e32 v17, v17, v30
	s_waitcnt lgkmcnt(15)
	v_sub_f32_e32 v22, v31, v22
	v_cvt_f32_f16_e32 v31, v32
	s_waitcnt lgkmcnt(14)
	v_sub_f32_e32 v25, v33, v25
	v_mul_f32_e32 v22, v22, v30
	s_waitcnt vmcnt(11)
	v_cvt_f32_f16_e32 v30, v34
	v_add_f32_e32 v17, v17, v31
	s_waitcnt lgkmcnt(13)
	v_fmac_f32_e32 v2, v22, v23
	v_mul_f32_e32 v22, v25, v31
	v_add_f32_e32 v17, v17, v30
	s_waitcnt vmcnt(10)
	v_cvt_f32_f16_e32 v32, v35
	s_waitcnt lgkmcnt(11)
	v_fmac_f32_e32 v2, v22, v24
	s_waitcnt vmcnt(8)
	v_cvt_f32_f16_e32 v25, v37
	s_waitcnt vmcnt(6)
	v_cvt_f32_f16_e32 v24, v39
	v_sub_f32_e32 v23, v32, v27
	v_cvt_f32_f16_e32 v27, v36
	v_mul_f32_e32 v22, v23, v30
	s_waitcnt lgkmcnt(10)
	v_sub_f32_e32 v23, v25, v43
	v_cvt_f32_f16_e32 v25, v38
	v_add_f32_e32 v17, v17, v27
	s_waitcnt lgkmcnt(9)
	v_fmac_f32_e32 v2, v22, v26
	v_mul_f32_e32 v22, v23, v27
	s_waitcnt lgkmcnt(8)
	v_sub_f32_e32 v23, v24, v45
	s_waitcnt vmcnt(5)
	v_cvt_f32_f16_e32 v26, v28
	s_waitcnt vmcnt(4)
	v_cvt_f32_f16_e32 v24, v29
	v_add_f32_e32 v17, v17, v25
	s_waitcnt lgkmcnt(7)
	v_fmac_f32_e32 v2, v22, v42
	v_mul_f32_e32 v22, v23, v25
	s_waitcnt vmcnt(3)
	v_cvt_f32_f16_e32 v25, v40
	s_waitcnt lgkmcnt(6)
	v_sub_f32_e32 v23, v24, v47
	s_waitcnt vmcnt(2)
	v_cvt_f32_f16_e32 v24, v41
	v_add_f32_e32 v17, v17, v26
	s_waitcnt lgkmcnt(5)
	v_fmac_f32_e32 v2, v22, v44
	v_mul_f32_e32 v22, v23, v26
	s_waitcnt lgkmcnt(4)
	v_sub_f32_e32 v23, v24, v49
	s_waitcnt vmcnt(1)
	v_cvt_f32_f16_e32 v20, v20
	s_waitcnt vmcnt(0)
	v_cvt_f32_f16_e32 v21, v21
	v_add_f32_e32 v17, v17, v25
	s_waitcnt lgkmcnt(3)
	v_fmac_f32_e32 v2, v22, v46
	v_mul_f32_e32 v22, v23, v25
	s_waitcnt lgkmcnt(2)
	v_sub_f32_e32 v18, v20, v18
	v_add_f32_e32 v17, v17, v21
	s_waitcnt lgkmcnt(1)
	v_fmac_f32_e32 v2, v22, v48
	v_mul_f32_e32 v18, v18, v21
	s_waitcnt lgkmcnt(0)
	v_fmac_f32_e32 v2, v18, v19
	s_cbranch_vccz .LBB89_10
.LBB89_7:                               ; =>This Inner Loop Header: Depth=1
	v_mov_b32_e32 v19, 0
	v_mov_b32_e32 v18, 0
	s_and_saveexec_b32 s1, s0
	s_cbranch_execz .LBB89_6
; %bb.8:                                ;   in Loop: Header=BB89_7 Depth=1
	v_mov_b32_e32 v18, 0
	v_mov_b32_e32 v19, 0
	s_mov_b32 s5, exec_lo
	v_cmpx_gt_i64_e64 s[20:21], v[4:5]
	s_cbranch_execz .LBB89_5
; %bb.9:                                ;   in Loop: Header=BB89_7 Depth=1
	v_add_co_u32 v18, vcc_lo, s12, v6
	v_add_co_ci_u32_e64 v19, null, s13, v7, vcc_lo
	v_add_co_u32 v20, vcc_lo, s14, v6
	v_add_co_ci_u32_e64 v21, null, s15, v7, vcc_lo
	global_load_dword v18, v[18:19], off
	global_load_dword v19, v[20:21], off
	s_branch .LBB89_5
.LBB89_10:
	v_mad_u32_u24 v3, v1, 33, v0
	v_lshrrev_b32_e32 v4, 5, v0
	s_mov_b32 s0, exec_lo
	v_lshl_add_u32 v5, v3, 2, 0
	v_add_nc_u32_e32 v3, v4, v1
	ds_write_b32 v5, v2
	ds_write_b32 v5, v17 offset:2112
	s_waitcnt lgkmcnt(0)
	s_barrier
	buffer_gl0_inv
	v_cmpx_gt_u32_e32 32, v3
	s_cbranch_execz .LBB89_26
; %bb.11:
	v_and_b32_e32 v1, 31, v0
                                        ; implicit-def: $vgpr6
	v_cmp_gt_u32_e64 s0, 16, v1
	v_mul_u32_u24_e32 v2, 33, v1
                                        ; implicit-def: $vgpr1
	s_and_saveexec_b32 s1, s0
	s_cbranch_execz .LBB89_13
; %bb.12:
	v_add_nc_u32_e32 v1, v3, v2
	v_lshl_add_u32 v1, v1, 2, 0
	ds_read_b32 v6, v1
	ds_read_b32 v1, v1 offset:2112
.LBB89_13:
	s_or_b32 exec_lo, exec_lo, s1
	v_mbcnt_lo_u32_b32 v7, -1, 0
	s_mov_b32 s7, 0
	v_cmp_eq_u32_e64 s1, 0, v0
	s_lshl_b64 s[2:3], s[6:7], 5
	s_cmp_lg_u64 s[16:17], 0
	v_xor_b32_e32 v4, 8, v7
	v_xor_b32_e32 v5, 4, v7
	;; [unrolled: 1-line block ×3, first 2 shown]
	s_cselect_b32 s5, -1, 0
	s_cmp_lg_u64 s[18:19], 0
	v_cmp_gt_i32_e32 vcc_lo, 32, v4
	s_cselect_b32 s4, -1, 0
	v_cndmask_b32_e32 v4, v7, v4, vcc_lo
	v_cmp_gt_i32_e32 vcc_lo, 32, v5
	v_lshlrev_b32_e32 v4, 2, v4
	v_cndmask_b32_e32 v5, v7, v5, vcc_lo
	s_waitcnt lgkmcnt(1)
	ds_bpermute_b32 v8, v4, v6
	s_waitcnt lgkmcnt(1)
	ds_bpermute_b32 v9, v4, v1
	v_lshlrev_b32_e32 v5, 2, v5
	s_waitcnt lgkmcnt(1)
	v_add_f32_e32 v8, v6, v8
	s_waitcnt lgkmcnt(0)
	v_add_f32_e32 v1, v1, v9
	v_xor_b32_e32 v6, 2, v7
	ds_bpermute_b32 v9, v5, v8
	ds_bpermute_b32 v10, v5, v1
	v_cmp_gt_i32_e32 vcc_lo, 32, v6
	v_cndmask_b32_e32 v6, v7, v6, vcc_lo
	v_cmp_gt_i32_e32 vcc_lo, 32, v11
	v_lshlrev_b32_e32 v6, 2, v6
	v_cndmask_b32_e32 v7, v7, v11, vcc_lo
	v_lshlrev_b32_e32 v7, 2, v7
	s_waitcnt lgkmcnt(1)
	v_add_f32_e32 v8, v8, v9
	s_waitcnt lgkmcnt(0)
	v_add_f32_e32 v1, v1, v10
	ds_bpermute_b32 v9, v6, v8
	ds_bpermute_b32 v10, v6, v1
	s_waitcnt lgkmcnt(1)
	v_add_f32_e32 v8, v8, v9
	s_waitcnt lgkmcnt(0)
	v_add_f32_e32 v1, v1, v10
	ds_bpermute_b32 v9, v7, v8
	ds_bpermute_b32 v10, v7, v1
	s_waitcnt lgkmcnt(1)
	v_add_f32_e32 v8, v8, v9
	s_waitcnt lgkmcnt(0)
	v_add_f32_e32 v9, v1, v10
	s_and_saveexec_b32 s6, s1
	s_cbranch_execz .LBB89_18
; %bb.14:
	v_mov_b32_e32 v1, s3
	v_or_b32_e32 v0, s2, v3
	s_andn2_b32 vcc_lo, exec_lo, s5
	v_lshlrev_b64 v[0:1], 1, v[0:1]
	s_cbranch_vccnz .LBB89_16
; %bb.15:
	v_add_co_u32 v10, vcc_lo, s16, v0
	v_add_co_ci_u32_e64 v11, null, s17, v1, vcc_lo
	v_cvt_f16_f32_e32 v12, v8
	global_store_short v[10:11], v12, off
.LBB89_16:
	s_andn2_b32 vcc_lo, exec_lo, s4
	s_cbranch_vccnz .LBB89_18
; %bb.17:
	v_add_co_u32 v0, vcc_lo, s18, v0
	v_add_co_ci_u32_e64 v1, null, s19, v1, vcc_lo
	v_cvt_f16_f32_e32 v10, v9
	global_store_short v[0:1], v10, off
.LBB89_18:
	s_or_b32 exec_lo, exec_lo, s6
	v_cmp_gt_u32_e32 vcc_lo, 16, v3
	s_and_b32 exec_lo, exec_lo, vcc_lo
	s_cbranch_execz .LBB89_26
; %bb.19:
	s_and_saveexec_b32 s6, s0
	s_cbranch_execz .LBB89_21
; %bb.20:
	v_add_nc_u32_e32 v0, v3, v2
	v_lshl_add_u32 v0, v0, 2, 0
	ds_read_b32 v8, v0 offset:64
	ds_read_b32 v9, v0 offset:2176
.LBB89_21:
	s_or_b32 exec_lo, exec_lo, s6
	s_waitcnt lgkmcnt(1)
	ds_bpermute_b32 v0, v4, v8
	s_waitcnt lgkmcnt(1)
	ds_bpermute_b32 v1, v4, v9
	s_waitcnt lgkmcnt(1)
	v_add_f32_e32 v0, v8, v0
	s_waitcnt lgkmcnt(0)
	v_add_f32_e32 v1, v9, v1
	ds_bpermute_b32 v2, v5, v0
	ds_bpermute_b32 v4, v5, v1
	s_waitcnt lgkmcnt(1)
	v_add_f32_e32 v0, v0, v2
	s_waitcnt lgkmcnt(0)
	v_add_f32_e32 v1, v1, v4
	ds_bpermute_b32 v2, v6, v0
	;; [unrolled: 6-line block ×3, first 2 shown]
	ds_bpermute_b32 v1, v7, v0
	s_and_b32 exec_lo, exec_lo, s1
	s_cbranch_execz .LBB89_26
; %bb.22:
	s_andn2_b32 vcc_lo, exec_lo, s5
	s_cbranch_vccnz .LBB89_24
; %bb.23:
	v_add_co_u32 v5, s0, s2, v3
	v_add_co_ci_u32_e64 v6, null, s3, 0, s0
	s_waitcnt lgkmcnt(1)
	v_add_f32_e32 v2, v2, v4
	v_lshlrev_b64 v[5:6], 1, v[5:6]
	v_cvt_f16_f32_e32 v2, v2
	v_add_co_u32 v4, vcc_lo, s16, v5
	v_add_co_ci_u32_e64 v5, null, s17, v6, vcc_lo
	global_store_short v[4:5], v2, off offset:32
.LBB89_24:
	s_andn2_b32 vcc_lo, exec_lo, s4
	s_cbranch_vccnz .LBB89_26
; %bb.25:
	v_add_co_u32 v2, s0, s2, v3
	v_add_co_ci_u32_e64 v3, null, s3, 0, s0
	s_waitcnt lgkmcnt(0)
	v_add_f32_e32 v4, v0, v1
	v_lshlrev_b64 v[2:3], 1, v[2:3]
	v_add_co_u32 v0, vcc_lo, s18, v2
	v_add_co_ci_u32_e64 v1, null, s19, v3, vcc_lo
	v_cvt_f16_f32_e32 v2, v4
	global_store_short v[0:1], v2, off offset:32
.LBB89_26:
	s_endpgm
	.section	.rodata,"a",@progbits
	.p2align	6, 0x0
	.amdhsa_kernel _ZN2at6native12_GLOBAL__N_135GammaBetaBackwardCUDAKernelTemplateIN3c104HalfEfLj32ELj16ELj128ELb0ELb1ELb0EEEvllPKT_S7_PKT0_SA_PS5_SB_
		.amdhsa_group_segment_fixed_size 0
		.amdhsa_private_segment_fixed_size 0
		.amdhsa_kernarg_size 320
		.amdhsa_user_sgpr_count 6
		.amdhsa_user_sgpr_private_segment_buffer 1
		.amdhsa_user_sgpr_dispatch_ptr 0
		.amdhsa_user_sgpr_queue_ptr 0
		.amdhsa_user_sgpr_kernarg_segment_ptr 1
		.amdhsa_user_sgpr_dispatch_id 0
		.amdhsa_user_sgpr_flat_scratch_init 0
		.amdhsa_user_sgpr_private_segment_size 0
		.amdhsa_wavefront_size32 1
		.amdhsa_uses_dynamic_stack 0
		.amdhsa_system_sgpr_private_segment_wavefront_offset 0
		.amdhsa_system_sgpr_workgroup_id_x 1
		.amdhsa_system_sgpr_workgroup_id_y 1
		.amdhsa_system_sgpr_workgroup_id_z 0
		.amdhsa_system_sgpr_workgroup_info 0
		.amdhsa_system_vgpr_workitem_id 1
		.amdhsa_next_free_vgpr 50
		.amdhsa_next_free_sgpr 28
		.amdhsa_reserve_vcc 1
		.amdhsa_reserve_flat_scratch 0
		.amdhsa_float_round_mode_32 0
		.amdhsa_float_round_mode_16_64 0
		.amdhsa_float_denorm_mode_32 3
		.amdhsa_float_denorm_mode_16_64 3
		.amdhsa_dx10_clamp 1
		.amdhsa_ieee_mode 1
		.amdhsa_fp16_overflow 0
		.amdhsa_workgroup_processor_mode 1
		.amdhsa_memory_ordered 1
		.amdhsa_forward_progress 1
		.amdhsa_shared_vgpr_count 0
		.amdhsa_exception_fp_ieee_invalid_op 0
		.amdhsa_exception_fp_denorm_src 0
		.amdhsa_exception_fp_ieee_div_zero 0
		.amdhsa_exception_fp_ieee_overflow 0
		.amdhsa_exception_fp_ieee_underflow 0
		.amdhsa_exception_fp_ieee_inexact 0
		.amdhsa_exception_int_div_zero 0
	.end_amdhsa_kernel
	.section	.text._ZN2at6native12_GLOBAL__N_135GammaBetaBackwardCUDAKernelTemplateIN3c104HalfEfLj32ELj16ELj128ELb0ELb1ELb0EEEvllPKT_S7_PKT0_SA_PS5_SB_,"axG",@progbits,_ZN2at6native12_GLOBAL__N_135GammaBetaBackwardCUDAKernelTemplateIN3c104HalfEfLj32ELj16ELj128ELb0ELb1ELb0EEEvllPKT_S7_PKT0_SA_PS5_SB_,comdat
.Lfunc_end89:
	.size	_ZN2at6native12_GLOBAL__N_135GammaBetaBackwardCUDAKernelTemplateIN3c104HalfEfLj32ELj16ELj128ELb0ELb1ELb0EEEvllPKT_S7_PKT0_SA_PS5_SB_, .Lfunc_end89-_ZN2at6native12_GLOBAL__N_135GammaBetaBackwardCUDAKernelTemplateIN3c104HalfEfLj32ELj16ELj128ELb0ELb1ELb0EEEvllPKT_S7_PKT0_SA_PS5_SB_
                                        ; -- End function
	.set _ZN2at6native12_GLOBAL__N_135GammaBetaBackwardCUDAKernelTemplateIN3c104HalfEfLj32ELj16ELj128ELb0ELb1ELb0EEEvllPKT_S7_PKT0_SA_PS5_SB_.num_vgpr, 50
	.set _ZN2at6native12_GLOBAL__N_135GammaBetaBackwardCUDAKernelTemplateIN3c104HalfEfLj32ELj16ELj128ELb0ELb1ELb0EEEvllPKT_S7_PKT0_SA_PS5_SB_.num_agpr, 0
	.set _ZN2at6native12_GLOBAL__N_135GammaBetaBackwardCUDAKernelTemplateIN3c104HalfEfLj32ELj16ELj128ELb0ELb1ELb0EEEvllPKT_S7_PKT0_SA_PS5_SB_.numbered_sgpr, 28
	.set _ZN2at6native12_GLOBAL__N_135GammaBetaBackwardCUDAKernelTemplateIN3c104HalfEfLj32ELj16ELj128ELb0ELb1ELb0EEEvllPKT_S7_PKT0_SA_PS5_SB_.num_named_barrier, 0
	.set _ZN2at6native12_GLOBAL__N_135GammaBetaBackwardCUDAKernelTemplateIN3c104HalfEfLj32ELj16ELj128ELb0ELb1ELb0EEEvllPKT_S7_PKT0_SA_PS5_SB_.private_seg_size, 0
	.set _ZN2at6native12_GLOBAL__N_135GammaBetaBackwardCUDAKernelTemplateIN3c104HalfEfLj32ELj16ELj128ELb0ELb1ELb0EEEvllPKT_S7_PKT0_SA_PS5_SB_.uses_vcc, 1
	.set _ZN2at6native12_GLOBAL__N_135GammaBetaBackwardCUDAKernelTemplateIN3c104HalfEfLj32ELj16ELj128ELb0ELb1ELb0EEEvllPKT_S7_PKT0_SA_PS5_SB_.uses_flat_scratch, 0
	.set _ZN2at6native12_GLOBAL__N_135GammaBetaBackwardCUDAKernelTemplateIN3c104HalfEfLj32ELj16ELj128ELb0ELb1ELb0EEEvllPKT_S7_PKT0_SA_PS5_SB_.has_dyn_sized_stack, 0
	.set _ZN2at6native12_GLOBAL__N_135GammaBetaBackwardCUDAKernelTemplateIN3c104HalfEfLj32ELj16ELj128ELb0ELb1ELb0EEEvllPKT_S7_PKT0_SA_PS5_SB_.has_recursion, 0
	.set _ZN2at6native12_GLOBAL__N_135GammaBetaBackwardCUDAKernelTemplateIN3c104HalfEfLj32ELj16ELj128ELb0ELb1ELb0EEEvllPKT_S7_PKT0_SA_PS5_SB_.has_indirect_call, 0
	.section	.AMDGPU.csdata,"",@progbits
; Kernel info:
; codeLenInByte = 2108
; TotalNumSgprs: 30
; NumVgprs: 50
; ScratchSize: 0
; MemoryBound: 0
; FloatMode: 240
; IeeeMode: 1
; LDSByteSize: 0 bytes/workgroup (compile time only)
; SGPRBlocks: 0
; VGPRBlocks: 6
; NumSGPRsForWavesPerEU: 30
; NumVGPRsForWavesPerEU: 50
; Occupancy: 16
; WaveLimiterHint : 0
; COMPUTE_PGM_RSRC2:SCRATCH_EN: 0
; COMPUTE_PGM_RSRC2:USER_SGPR: 6
; COMPUTE_PGM_RSRC2:TRAP_HANDLER: 0
; COMPUTE_PGM_RSRC2:TGID_X_EN: 1
; COMPUTE_PGM_RSRC2:TGID_Y_EN: 1
; COMPUTE_PGM_RSRC2:TGID_Z_EN: 0
; COMPUTE_PGM_RSRC2:TIDIG_COMP_CNT: 1
	.section	.text._ZN2at6native12_GLOBAL__N_135GammaBetaBackwardCUDAKernelTemplateIN3c104HalfEfLj32ELj16ELj128ELb0ELb0ELb0EEEvllPKT_S7_PKT0_SA_PS5_SB_,"axG",@progbits,_ZN2at6native12_GLOBAL__N_135GammaBetaBackwardCUDAKernelTemplateIN3c104HalfEfLj32ELj16ELj128ELb0ELb0ELb0EEEvllPKT_S7_PKT0_SA_PS5_SB_,comdat
	.globl	_ZN2at6native12_GLOBAL__N_135GammaBetaBackwardCUDAKernelTemplateIN3c104HalfEfLj32ELj16ELj128ELb0ELb0ELb0EEEvllPKT_S7_PKT0_SA_PS5_SB_ ; -- Begin function _ZN2at6native12_GLOBAL__N_135GammaBetaBackwardCUDAKernelTemplateIN3c104HalfEfLj32ELj16ELj128ELb0ELb0ELb0EEEvllPKT_S7_PKT0_SA_PS5_SB_
	.p2align	8
	.type	_ZN2at6native12_GLOBAL__N_135GammaBetaBackwardCUDAKernelTemplateIN3c104HalfEfLj32ELj16ELj128ELb0ELb0ELb0EEEvllPKT_S7_PKT0_SA_PS5_SB_,@function
_ZN2at6native12_GLOBAL__N_135GammaBetaBackwardCUDAKernelTemplateIN3c104HalfEfLj32ELj16ELj128ELb0ELb0ELb0EEEvllPKT_S7_PKT0_SA_PS5_SB_: ; @_ZN2at6native12_GLOBAL__N_135GammaBetaBackwardCUDAKernelTemplateIN3c104HalfEfLj32ELj16ELj128ELb0ELb0ELb0EEEvllPKT_S7_PKT0_SA_PS5_SB_
; %bb.0:
	s_clause 0x1
	s_load_dwordx8 s[8:15], s[4:5], 0x0
	s_load_dwordx4 s[16:19], s[4:5], 0x20
	s_lshl_b32 s28, s6, 5
	s_mov_b32 s3, 0
	s_or_b32 s2, s28, 31
	s_waitcnt lgkmcnt(0)
	v_cmp_le_i64_e64 s0, s[10:11], s[2:3]
	s_lshl_b32 s2, s7, 7
	v_cmp_gt_i64_e64 s7, s[8:9], s[2:3]
	s_and_b32 vcc_lo, exec_lo, s0
	v_cndmask_b32_e64 v2, 0, 1, s7
	v_cmp_ne_u32_e64 s0, 1, v2
	s_cbranch_vccz .LBB90_49
; %bb.1:
	v_mov_b32_e32 v11, 0
	v_mov_b32_e32 v62, 0
	s_and_b32 vcc_lo, exec_lo, s0
	s_cbranch_vccnz .LBB90_50
; %bb.2:
	v_lshlrev_b32_e32 v21, 3, v1
	v_mov_b32_e32 v2, 0
	v_add_nc_u32_e32 v5, s28, v0
	s_load_dword s1, s[4:5], 0x44
	s_add_u32 s20, s4, 64
	v_add_co_u32 v11, s0, v21, s2
	v_add_co_ci_u32_e64 v12, null, 0, 0, s0
	v_mov_b32_e32 v6, v2
	v_mul_lo_u32 v7, s11, v11
	v_mad_u64_u32 v[3:4], null, s10, v11, 0
	v_mul_lo_u32 v8, s10, v12
	v_cmp_gt_i64_e64 s0, s[10:11], v[5:6]
	v_lshlrev_b64 v[19:20], 1, v[5:6]
	s_addc_u32 s21, s5, 0
	v_mov_b32_e32 v62, 0
	v_mov_b32_e32 v54, 0
	s_mov_b64 s[26:27], s[2:3]
	v_add3_u32 v4, v4, v8, v7
	v_add_co_u32 v7, vcc_lo, v11, 7
	v_add_co_ci_u32_e64 v8, null, 0, v12, vcc_lo
	v_lshlrev_b64 v[5:6], 1, v[3:4]
	v_mul_lo_u32 v13, s11, v7
	s_waitcnt lgkmcnt(0)
	s_lshl_b32 s29, s1, 7
	v_mul_lo_u32 v14, s10, v8
	v_mad_u64_u32 v[7:8], null, s10, v7, 0
	v_add_co_u32 v22, vcc_lo, s12, v5
	v_add_co_ci_u32_e64 v23, null, s13, v6, vcc_lo
	v_add_co_u32 v9, vcc_lo, v11, 6
	v_add_co_ci_u32_e64 v10, null, 0, v12, vcc_lo
	v_add_co_u32 v24, vcc_lo, s14, v5
	v_mul_lo_u32 v15, s11, v9
	v_mul_lo_u32 v16, s10, v10
	v_mad_u64_u32 v[9:10], null, s10, v9, 0
	v_add3_u32 v8, v8, v14, v13
	v_add_co_ci_u32_e64 v25, null, s15, v6, vcc_lo
	v_add_co_u32 v13, vcc_lo, v11, 5
	v_add_co_ci_u32_e64 v14, null, 0, v12, vcc_lo
	v_add3_u32 v10, v10, v16, v15
	v_lshlrev_b64 v[5:6], 1, v[7:8]
	v_mul_lo_u32 v15, s11, v13
	v_mul_lo_u32 v14, s10, v14
	s_mul_i32 s1, s11, s29
	v_lshlrev_b64 v[7:8], 1, v[9:10]
	v_mad_u64_u32 v[9:10], null, s10, v13, 0
	v_add_co_u32 v26, vcc_lo, s12, v5
	v_add_co_ci_u32_e64 v27, null, s13, v6, vcc_lo
	v_add_co_u32 v28, vcc_lo, s14, v5
	v_add_co_ci_u32_e64 v29, null, s15, v6, vcc_lo
	v_add_co_u32 v30, vcc_lo, s12, v7
	v_add3_u32 v10, v10, v14, v15
	s_mul_hi_u32 s22, s10, s29
	v_add_co_ci_u32_e64 v31, null, s13, v8, vcc_lo
	v_add_co_u32 v13, vcc_lo, v11, 4
	s_add_i32 s23, s22, s1
	v_add_co_u32 v32, s1, s14, v7
	v_add_co_ci_u32_e64 v7, null, 0, v12, vcc_lo
	v_lshlrev_b64 v[5:6], 1, v[9:10]
	v_add_co_u32 v9, vcc_lo, v11, 3
	v_add_co_ci_u32_e64 v10, null, 0, v12, vcc_lo
	v_add_co_ci_u32_e64 v33, null, s15, v8, s1
	v_mul_lo_u32 v14, s11, v13
	v_mul_lo_u32 v15, s10, v7
	v_mad_u64_u32 v[7:8], null, s10, v13, 0
	v_mul_lo_u32 v13, s11, v9
	v_mul_lo_u32 v16, s10, v10
	v_mad_u64_u32 v[9:10], null, s10, v9, 0
	v_add_co_u32 v34, vcc_lo, s12, v5
	v_add_co_ci_u32_e64 v35, null, s13, v6, vcc_lo
	v_add3_u32 v8, v8, v15, v14
	v_add_co_u32 v36, vcc_lo, s14, v5
	v_add_co_ci_u32_e64 v37, null, s15, v6, vcc_lo
	v_add_co_u32 v11, vcc_lo, v11, 2
	v_add3_u32 v10, v10, v16, v13
	v_add_co_ci_u32_e64 v12, null, 0, v12, vcc_lo
	v_lshlrev_b64 v[5:6], 1, v[7:8]
	v_mul_lo_u32 v13, s11, v11
	v_lshlrev_b64 v[7:8], 1, v[9:10]
	v_mul_lo_u32 v12, s10, v12
	v_mad_u64_u32 v[9:10], null, s10, v11, 0
	v_add_co_u32 v38, vcc_lo, s12, v5
	v_add_co_ci_u32_e64 v39, null, s13, v6, vcc_lo
	v_add_co_u32 v40, vcc_lo, s14, v5
	v_add_co_ci_u32_e64 v41, null, s15, v6, vcc_lo
	;; [unrolled: 2-line block ×3, first 2 shown]
	v_add3_u32 v10, v10, v12, v13
	v_add_co_u32 v44, vcc_lo, s14, v7
	v_add_co_ci_u32_e64 v45, null, s15, v8, vcc_lo
	v_add_co_u32 v3, vcc_lo, v3, s10
	v_add_co_ci_u32_e64 v4, null, s11, v4, vcc_lo
	v_lshlrev_b64 v[5:6], 1, v[9:10]
	s_mul_i32 s22, s10, s29
	v_lshlrev_b64 v[3:4], 1, v[3:4]
	s_lshl_b64 s[22:23], s[22:23], 1
	s_add_u32 s24, s2, 0x7f
	v_add_co_u32 v46, vcc_lo, s12, v5
	v_add_co_ci_u32_e64 v47, null, s13, v6, vcc_lo
	v_add_co_u32 v48, vcc_lo, s14, v5
	v_add_co_ci_u32_e64 v49, null, s15, v6, vcc_lo
	v_add_co_u32 v50, vcc_lo, s12, v3
	v_add_co_ci_u32_e64 v51, null, s13, v4, vcc_lo
	v_add_co_u32 v52, vcc_lo, s14, v3
	v_add_co_ci_u32_e64 v53, null, s15, v4, vcc_lo
	s_addc_u32 s25, 0, 0
.LBB90_3:                               ; =>This Inner Loop Header: Depth=1
	v_cmp_ge_i64_e64 s1, s[24:25], s[8:9]
	v_add_co_u32 v55, s30, v21, s24
	v_add_co_ci_u32_e64 v56, null, 0, s25, s30
                                        ; implicit-def: $vgpr11_vgpr12_vgpr13_vgpr14_vgpr15_vgpr16_vgpr17_vgpr18
                                        ; implicit-def: $vgpr3_vgpr4_vgpr5_vgpr6_vgpr7_vgpr8_vgpr9_vgpr10
                                        ; implicit-def: $vgpr58
                                        ; implicit-def: $vgpr3
	s_and_b32 vcc_lo, exec_lo, s1
	s_mov_b32 s1, -1
                                        ; implicit-def: $vgpr11
                                        ; implicit-def: $vgpr4
	s_cbranch_vccz .LBB90_25
; %bb.4:                                ;   in Loop: Header=BB90_3 Depth=1
	s_load_dword s1, s[20:21], 0xc
	v_mov_b32_e32 v58, 0
	v_mov_b32_e32 v57, 0
	s_waitcnt lgkmcnt(0)
	s_and_b32 s1, s1, 0xffff
	v_mad_u32_u24 v3, v1, s1, v0
	s_mov_b32 s1, exec_lo
	v_and_b32_e32 v3, 31, v3
	v_cmpx_gt_u32_e32 8, v3
	s_cbranch_execz .LBB90_8
; %bb.5:                                ;   in Loop: Header=BB90_3 Depth=1
	v_add_co_u32 v3, vcc_lo, v55, v3
	v_add_co_ci_u32_e64 v4, null, 0, v56, vcc_lo
	v_mov_b32_e32 v57, 0
	v_add_co_u32 v3, vcc_lo, 0xffffff81, v3
	v_add_co_ci_u32_e64 v4, null, -1, v4, vcc_lo
	v_mov_b32_e32 v58, 0
	s_mov_b32 s30, exec_lo
	v_cmpx_gt_i64_e64 s[8:9], v[3:4]
	s_cbranch_execz .LBB90_7
; %bb.6:                                ;   in Loop: Header=BB90_3 Depth=1
	v_lshlrev_b64 v[3:4], 2, v[3:4]
	v_add_co_u32 v5, vcc_lo, s16, v3
	v_add_co_ci_u32_e64 v6, null, s17, v4, vcc_lo
	v_add_co_u32 v3, vcc_lo, s18, v3
	v_add_co_ci_u32_e64 v4, null, s19, v4, vcc_lo
	global_load_dword v57, v[5:6], off
	global_load_dword v58, v[3:4], off
.LBB90_7:                               ;   in Loop: Header=BB90_3 Depth=1
	s_or_b32 exec_lo, exec_lo, s30
.LBB90_8:                               ;   in Loop: Header=BB90_3 Depth=1
	s_or_b32 exec_lo, exec_lo, s1
	v_add_co_u32 v10, vcc_lo, 0xffffff81, v55
	v_add_co_ci_u32_e64 v11, null, -1, v56, vcc_lo
	v_mov_b32_e32 v9, v2
	v_mov_b32_e32 v3, v2
	v_mov_b32_e32 v4, v2
	v_mov_b32_e32 v5, v2
	v_mov_b32_e32 v6, v2
	v_mov_b32_e32 v7, v2
	v_mov_b32_e32 v8, v2
	v_cmp_gt_i64_e32 vcc_lo, s[8:9], v[10:11]
	v_mov_b32_e32 v18, v9
	v_mov_b32_e32 v15, v6
	;; [unrolled: 1-line block ×16, first 2 shown]
	s_and_b32 s30, s0, vcc_lo
	s_and_saveexec_b32 s1, s30
	s_cbranch_execz .LBB90_10
; %bb.9:                                ;   in Loop: Header=BB90_3 Depth=1
	v_add_co_u32 v3, vcc_lo, v22, v19
	v_add_co_ci_u32_e64 v4, null, v23, v20, vcc_lo
	v_add_co_u32 v5, vcc_lo, v24, v19
	v_add_co_ci_u32_e64 v6, null, v25, v20, vcc_lo
	global_load_ushort v3, v[3:4], off
	global_load_ushort v11, v[5:6], off
	v_mov_b32_e32 v4, v2
	v_mov_b32_e32 v5, v2
	;; [unrolled: 1-line block ×14, first 2 shown]
	s_waitcnt vmcnt(1)
	v_cvt_f32_f16_e32 v3, v3
	s_waitcnt vmcnt(0)
	v_cvt_f32_f16_e32 v11, v11
.LBB90_10:                              ;   in Loop: Header=BB90_3 Depth=1
	s_or_b32 exec_lo, exec_lo, s1
	v_add_co_u32 v59, vcc_lo, 0xffffff82, v55
	v_add_co_ci_u32_e64 v60, null, -1, v56, vcc_lo
	v_cmp_gt_i64_e32 vcc_lo, s[8:9], v[59:60]
	s_and_b32 s30, s0, vcc_lo
	s_and_saveexec_b32 s1, s30
	s_cbranch_execz .LBB90_12
; %bb.11:                               ;   in Loop: Header=BB90_3 Depth=1
	v_add_co_u32 v59, vcc_lo, v50, v19
	v_add_co_ci_u32_e64 v60, null, v51, v20, vcc_lo
	v_add_co_u32 v63, vcc_lo, v52, v19
	v_add_co_ci_u32_e64 v64, null, v53, v20, vcc_lo
	global_load_ushort v4, v[59:60], off
	global_load_ushort v12, v[63:64], off
	s_waitcnt vmcnt(1)
	v_cvt_f32_f16_e32 v4, v4
	s_waitcnt vmcnt(0)
	v_cvt_f32_f16_e32 v12, v12
.LBB90_12:                              ;   in Loop: Header=BB90_3 Depth=1
	s_or_b32 exec_lo, exec_lo, s1
	v_add_co_u32 v59, vcc_lo, 0xffffff83, v55
	v_add_co_ci_u32_e64 v60, null, -1, v56, vcc_lo
	v_cmp_gt_i64_e32 vcc_lo, s[8:9], v[59:60]
	s_and_b32 s30, s0, vcc_lo
	s_and_saveexec_b32 s1, s30
	s_cbranch_execz .LBB90_14
; %bb.13:                               ;   in Loop: Header=BB90_3 Depth=1
	v_add_co_u32 v59, vcc_lo, v46, v19
	v_add_co_ci_u32_e64 v60, null, v47, v20, vcc_lo
	v_add_co_u32 v63, vcc_lo, v48, v19
	v_add_co_ci_u32_e64 v64, null, v49, v20, vcc_lo
	global_load_ushort v5, v[59:60], off
	global_load_ushort v13, v[63:64], off
	s_waitcnt vmcnt(1)
	v_cvt_f32_f16_e32 v5, v5
	s_waitcnt vmcnt(0)
	v_cvt_f32_f16_e32 v13, v13
.LBB90_14:                              ;   in Loop: Header=BB90_3 Depth=1
	;; [unrolled: 19-line block ×7, first 2 shown]
	s_or_b32 exec_lo, exec_lo, s1
	s_waitcnt vmcnt(1)
	ds_bpermute_b32 v59, v2, v57
	ds_bpermute_b32 v60, v2, v57 offset:4
	ds_bpermute_b32 v61, v2, v57 offset:8
	s_waitcnt vmcnt(0)
	ds_bpermute_b32 v63, v2, v58
	ds_bpermute_b32 v64, v2, v57 offset:12
	ds_bpermute_b32 v65, v2, v58 offset:4
	;; [unrolled: 1-line block ×7, first 2 shown]
	s_mov_b32 s1, 0
	s_waitcnt lgkmcnt(10)
	v_sub_f32_e32 v11, v11, v59
	v_add_f32_e32 v59, v62, v3
	s_waitcnt lgkmcnt(9)
	v_sub_f32_e32 v12, v12, v60
	ds_bpermute_b32 v60, v2, v58 offset:16
	s_waitcnt lgkmcnt(9)
	v_sub_f32_e32 v13, v13, v61
	v_mul_f32_e32 v3, v3, v11
	ds_bpermute_b32 v61, v2, v58 offset:20
	v_mul_f32_e32 v12, v4, v12
	v_add_f32_e32 v4, v4, v59
	v_mul_f32_e32 v13, v5, v13
	s_waitcnt lgkmcnt(9)
	v_fma_f32 v11, v3, v63, v54
	s_waitcnt lgkmcnt(8)
	v_sub_f32_e32 v3, v14, v64
	ds_bpermute_b32 v63, v2, v58 offset:24
	v_add_f32_e32 v4, v5, v4
	ds_bpermute_b32 v58, v2, v58 offset:28
	s_waitcnt lgkmcnt(9)
	v_fmac_f32_e32 v11, v12, v65
	s_waitcnt lgkmcnt(8)
	v_sub_f32_e32 v12, v15, v66
	v_mul_f32_e32 v14, v6, v3
	ds_bpermute_b32 v3, v2, v57 offset:28
	s_waitcnt lgkmcnt(6)
	v_sub_f32_e32 v5, v16, v69
	v_fmac_f32_e32 v11, v13, v67
	v_mul_f32_e32 v12, v7, v12
	v_add_f32_e32 v4, v6, v4
	s_waitcnt lgkmcnt(5)
	v_sub_f32_e32 v6, v17, v70
	v_mul_f32_e32 v5, v8, v5
	v_fmac_f32_e32 v11, v14, v68
	v_add_f32_e32 v4, v7, v4
	v_mul_f32_e32 v6, v9, v6
	s_waitcnt lgkmcnt(4)
	v_fmac_f32_e32 v11, v12, v60
	v_add_f32_e32 v4, v8, v4
	s_waitcnt lgkmcnt(3)
	v_fmac_f32_e32 v11, v5, v61
	v_add_f32_e32 v4, v9, v4
	s_waitcnt lgkmcnt(2)
	v_fmac_f32_e32 v11, v6, v63
.LBB90_25:                              ;   in Loop: Header=BB90_3 Depth=1
	s_and_b32 vcc_lo, exec_lo, s1
	s_cbranch_vccz .LBB90_40
; %bb.26:                               ;   in Loop: Header=BB90_3 Depth=1
	s_load_dword s1, s[20:21], 0x0
	s_waitcnt lgkmcnt(0)
	v_mov_b32_e32 v58, 0
	v_mov_b32_e32 v57, 0
	s_cmp_lt_u32 s6, s1
	s_cselect_b32 s1, 12, 18
	s_add_u32 s30, s20, s1
	s_addc_u32 s31, s21, 0
	s_mov_b32 s1, exec_lo
	global_load_ushort v3, v2, s[30:31]
	s_waitcnt vmcnt(0)
	v_mad_u32_u24 v3, v1, v3, v0
	v_and_b32_e32 v3, 31, v3
	v_cmpx_gt_u32_e32 8, v3
	s_cbranch_execz .LBB90_30
; %bb.27:                               ;   in Loop: Header=BB90_3 Depth=1
	v_add_co_u32 v3, vcc_lo, v55, v3
	v_add_co_ci_u32_e64 v4, null, 0, v56, vcc_lo
	v_mov_b32_e32 v57, 0
	v_add_co_u32 v3, vcc_lo, 0xffffff81, v3
	v_add_co_ci_u32_e64 v4, null, -1, v4, vcc_lo
	v_mov_b32_e32 v58, 0
	s_mov_b32 s30, exec_lo
	v_cmpx_gt_i64_e64 s[8:9], v[3:4]
	s_cbranch_execz .LBB90_29
; %bb.28:                               ;   in Loop: Header=BB90_3 Depth=1
	v_lshlrev_b64 v[3:4], 2, v[3:4]
	v_add_co_u32 v5, vcc_lo, s16, v3
	v_add_co_ci_u32_e64 v6, null, s17, v4, vcc_lo
	v_add_co_u32 v3, vcc_lo, s18, v3
	v_add_co_ci_u32_e64 v4, null, s19, v4, vcc_lo
	global_load_dword v57, v[5:6], off
	global_load_dword v58, v[3:4], off
.LBB90_29:                              ;   in Loop: Header=BB90_3 Depth=1
	s_or_b32 exec_lo, exec_lo, s30
.LBB90_30:                              ;   in Loop: Header=BB90_3 Depth=1
	s_or_b32 exec_lo, exec_lo, s1
	v_mov_b32_e32 v9, v2
	v_mov_b32_e32 v3, v2
	;; [unrolled: 1-line block ×23, first 2 shown]
	s_and_saveexec_b32 s1, s0
	s_cbranch_execnz .LBB90_42
; %bb.31:                               ;   in Loop: Header=BB90_3 Depth=1
	s_or_b32 exec_lo, exec_lo, s1
	s_and_saveexec_b32 s1, s0
	s_cbranch_execnz .LBB90_43
.LBB90_32:                              ;   in Loop: Header=BB90_3 Depth=1
	s_or_b32 exec_lo, exec_lo, s1
	s_and_saveexec_b32 s1, s0
	s_cbranch_execnz .LBB90_44
.LBB90_33:                              ;   in Loop: Header=BB90_3 Depth=1
	s_or_b32 exec_lo, exec_lo, s1
	s_and_saveexec_b32 s1, s0
	s_cbranch_execnz .LBB90_45
.LBB90_34:                              ;   in Loop: Header=BB90_3 Depth=1
	s_or_b32 exec_lo, exec_lo, s1
	s_and_saveexec_b32 s1, s0
	s_cbranch_execnz .LBB90_46
.LBB90_35:                              ;   in Loop: Header=BB90_3 Depth=1
	s_or_b32 exec_lo, exec_lo, s1
	s_and_saveexec_b32 s1, s0
	s_cbranch_execnz .LBB90_47
.LBB90_36:                              ;   in Loop: Header=BB90_3 Depth=1
	s_or_b32 exec_lo, exec_lo, s1
	s_and_saveexec_b32 s1, s0
	s_cbranch_execnz .LBB90_48
.LBB90_37:                              ;   in Loop: Header=BB90_3 Depth=1
	s_or_b32 exec_lo, exec_lo, s1
	s_and_saveexec_b32 s1, s0
	s_cbranch_execz .LBB90_39
.LBB90_38:                              ;   in Loop: Header=BB90_3 Depth=1
	v_add_co_u32 v55, vcc_lo, v26, v19
	v_add_co_ci_u32_e64 v56, null, v27, v20, vcc_lo
	v_add_co_u32 v59, vcc_lo, v28, v19
	v_add_co_ci_u32_e64 v60, null, v29, v20, vcc_lo
	global_load_ushort v10, v[55:56], off
	global_load_ushort v18, v[59:60], off
	s_waitcnt vmcnt(1)
	v_cvt_f32_f16_e32 v10, v10
	s_waitcnt vmcnt(0)
	v_cvt_f32_f16_e32 v18, v18
.LBB90_39:                              ;   in Loop: Header=BB90_3 Depth=1
	s_or_b32 exec_lo, exec_lo, s1
	s_waitcnt vmcnt(1)
	ds_bpermute_b32 v55, v2, v57
	ds_bpermute_b32 v56, v2, v57 offset:4
	ds_bpermute_b32 v59, v2, v57 offset:8
	s_waitcnt vmcnt(0)
	ds_bpermute_b32 v60, v2, v58
	ds_bpermute_b32 v61, v2, v57 offset:12
	ds_bpermute_b32 v63, v2, v58 offset:4
	;; [unrolled: 1-line block ×5, first 2 shown]
	s_waitcnt lgkmcnt(8)
	v_sub_f32_e32 v11, v11, v55
	ds_bpermute_b32 v55, v2, v58 offset:12
	s_waitcnt lgkmcnt(8)
	v_sub_f32_e32 v12, v12, v56
	ds_bpermute_b32 v56, v2, v58 offset:16
	s_waitcnt lgkmcnt(8)
	v_sub_f32_e32 v13, v13, v59
	v_mul_f32_e32 v11, v3, v11
	v_add_f32_e32 v3, v62, v3
	v_mul_f32_e32 v12, v4, v12
	ds_bpermute_b32 v59, v2, v58 offset:20
	s_waitcnt lgkmcnt(7)
	v_sub_f32_e32 v14, v14, v61
	v_fmac_f32_e32 v54, v11, v60
	ds_bpermute_b32 v11, v2, v57 offset:24
	v_mul_f32_e32 v13, v5, v13
	v_add_f32_e32 v3, v4, v3
	s_waitcnt lgkmcnt(6)
	v_sub_f32_e32 v4, v15, v64
	v_fmac_f32_e32 v54, v12, v63
	v_mul_f32_e32 v12, v6, v14
	s_waitcnt lgkmcnt(4)
	v_sub_f32_e32 v14, v16, v66
	v_add_f32_e32 v5, v5, v3
	v_mul_f32_e32 v4, v7, v4
	v_fmac_f32_e32 v54, v13, v65
	ds_bpermute_b32 v13, v2, v58 offset:24
	ds_bpermute_b32 v58, v2, v58 offset:28
	;; [unrolled: 1-line block ×3, first 2 shown]
	v_add_f32_e32 v5, v6, v5
	s_waitcnt lgkmcnt(6)
	v_fmac_f32_e32 v54, v12, v55
	v_mul_f32_e32 v6, v8, v14
	v_add_f32_e32 v5, v7, v5
	s_waitcnt lgkmcnt(5)
	v_fmac_f32_e32 v54, v4, v56
	s_waitcnt lgkmcnt(3)
	v_sub_f32_e32 v4, v17, v11
	v_add_f32_e32 v5, v8, v5
	v_fmac_f32_e32 v54, v6, v59
	v_mul_f32_e32 v4, v9, v4
	s_waitcnt lgkmcnt(2)
	v_fmac_f32_e32 v54, v4, v13
	v_add_f32_e32 v4, v9, v5
	v_mov_b32_e32 v11, v54
.LBB90_40:                              ;   in Loop: Header=BB90_3 Depth=1
	v_add_co_u32 v22, vcc_lo, v22, s22
	v_add_co_ci_u32_e64 v23, null, s23, v23, vcc_lo
	v_add_co_u32 v24, vcc_lo, v24, s22
	v_add_co_ci_u32_e64 v25, null, s23, v25, vcc_lo
	;; [unrolled: 2-line block ×10, first 2 shown]
	v_add_co_u32 v42, vcc_lo, v42, s22
	s_waitcnt lgkmcnt(0)
	v_sub_f32_e32 v3, v18, v3
	v_add_co_ci_u32_e64 v43, null, s23, v43, vcc_lo
	v_add_co_u32 v44, vcc_lo, v44, s22
	v_add_co_ci_u32_e64 v45, null, s23, v45, vcc_lo
	v_add_co_u32 v46, vcc_lo, v46, s22
	s_add_u32 s26, s26, s29
	v_add_co_ci_u32_e64 v47, null, s23, v47, vcc_lo
	v_add_co_u32 v48, vcc_lo, v48, s22
	v_mul_f32_e32 v3, v10, v3
	s_addc_u32 s27, s27, 0
	v_add_co_ci_u32_e64 v49, null, s23, v49, vcc_lo
	v_add_co_u32 v50, vcc_lo, v50, s22
	v_cmp_lt_i64_e64 s1, s[26:27], s[8:9]
	v_add_co_ci_u32_e64 v51, null, s23, v51, vcc_lo
	v_add_co_u32 v52, vcc_lo, v52, s22
	v_add_f32_e32 v62, v4, v10
	v_fmac_f32_e32 v11, v3, v58
	v_add_co_ci_u32_e64 v53, null, s23, v53, vcc_lo
	s_add_u32 s24, s24, s29
	s_addc_u32 s25, s25, 0
	s_and_b32 vcc_lo, exec_lo, s1
	s_cbranch_vccz .LBB90_50
; %bb.41:                               ;   in Loop: Header=BB90_3 Depth=1
	v_mov_b32_e32 v54, v11
	s_branch .LBB90_3
.LBB90_42:                              ;   in Loop: Header=BB90_3 Depth=1
	v_add_co_u32 v3, vcc_lo, v22, v19
	v_add_co_ci_u32_e64 v4, null, v23, v20, vcc_lo
	v_add_co_u32 v5, vcc_lo, v24, v19
	v_add_co_ci_u32_e64 v6, null, v25, v20, vcc_lo
	global_load_ushort v3, v[3:4], off
	global_load_ushort v11, v[5:6], off
	v_mov_b32_e32 v4, v2
	v_mov_b32_e32 v5, v2
	;; [unrolled: 1-line block ×14, first 2 shown]
	s_waitcnt vmcnt(1)
	v_cvt_f32_f16_e32 v3, v3
	s_waitcnt vmcnt(0)
	v_cvt_f32_f16_e32 v11, v11
	s_or_b32 exec_lo, exec_lo, s1
	s_and_saveexec_b32 s1, s0
	s_cbranch_execz .LBB90_32
.LBB90_43:                              ;   in Loop: Header=BB90_3 Depth=1
	v_add_co_u32 v55, vcc_lo, v50, v19
	v_add_co_ci_u32_e64 v56, null, v51, v20, vcc_lo
	v_add_co_u32 v59, vcc_lo, v52, v19
	v_add_co_ci_u32_e64 v60, null, v53, v20, vcc_lo
	global_load_ushort v4, v[55:56], off
	global_load_ushort v12, v[59:60], off
	s_waitcnt vmcnt(1)
	v_cvt_f32_f16_e32 v4, v4
	s_waitcnt vmcnt(0)
	v_cvt_f32_f16_e32 v12, v12
	s_or_b32 exec_lo, exec_lo, s1
	s_and_saveexec_b32 s1, s0
	s_cbranch_execz .LBB90_33
.LBB90_44:                              ;   in Loop: Header=BB90_3 Depth=1
	v_add_co_u32 v55, vcc_lo, v46, v19
	v_add_co_ci_u32_e64 v56, null, v47, v20, vcc_lo
	v_add_co_u32 v59, vcc_lo, v48, v19
	v_add_co_ci_u32_e64 v60, null, v49, v20, vcc_lo
	global_load_ushort v5, v[55:56], off
	global_load_ushort v13, v[59:60], off
	s_waitcnt vmcnt(1)
	v_cvt_f32_f16_e32 v5, v5
	s_waitcnt vmcnt(0)
	v_cvt_f32_f16_e32 v13, v13
	s_or_b32 exec_lo, exec_lo, s1
	s_and_saveexec_b32 s1, s0
	s_cbranch_execz .LBB90_34
.LBB90_45:                              ;   in Loop: Header=BB90_3 Depth=1
	v_add_co_u32 v55, vcc_lo, v42, v19
	v_add_co_ci_u32_e64 v56, null, v43, v20, vcc_lo
	v_add_co_u32 v59, vcc_lo, v44, v19
	v_add_co_ci_u32_e64 v60, null, v45, v20, vcc_lo
	global_load_ushort v6, v[55:56], off
	global_load_ushort v14, v[59:60], off
	s_waitcnt vmcnt(1)
	v_cvt_f32_f16_e32 v6, v6
	s_waitcnt vmcnt(0)
	v_cvt_f32_f16_e32 v14, v14
	s_or_b32 exec_lo, exec_lo, s1
	s_and_saveexec_b32 s1, s0
	s_cbranch_execz .LBB90_35
.LBB90_46:                              ;   in Loop: Header=BB90_3 Depth=1
	v_add_co_u32 v55, vcc_lo, v38, v19
	v_add_co_ci_u32_e64 v56, null, v39, v20, vcc_lo
	v_add_co_u32 v59, vcc_lo, v40, v19
	v_add_co_ci_u32_e64 v60, null, v41, v20, vcc_lo
	global_load_ushort v7, v[55:56], off
	global_load_ushort v15, v[59:60], off
	s_waitcnt vmcnt(1)
	v_cvt_f32_f16_e32 v7, v7
	s_waitcnt vmcnt(0)
	v_cvt_f32_f16_e32 v15, v15
	s_or_b32 exec_lo, exec_lo, s1
	s_and_saveexec_b32 s1, s0
	s_cbranch_execz .LBB90_36
.LBB90_47:                              ;   in Loop: Header=BB90_3 Depth=1
	v_add_co_u32 v55, vcc_lo, v34, v19
	v_add_co_ci_u32_e64 v56, null, v35, v20, vcc_lo
	v_add_co_u32 v59, vcc_lo, v36, v19
	v_add_co_ci_u32_e64 v60, null, v37, v20, vcc_lo
	global_load_ushort v8, v[55:56], off
	global_load_ushort v16, v[59:60], off
	s_waitcnt vmcnt(1)
	v_cvt_f32_f16_e32 v8, v8
	s_waitcnt vmcnt(0)
	v_cvt_f32_f16_e32 v16, v16
	s_or_b32 exec_lo, exec_lo, s1
	s_and_saveexec_b32 s1, s0
	s_cbranch_execz .LBB90_37
.LBB90_48:                              ;   in Loop: Header=BB90_3 Depth=1
	v_add_co_u32 v55, vcc_lo, v30, v19
	v_add_co_ci_u32_e64 v56, null, v31, v20, vcc_lo
	v_add_co_u32 v59, vcc_lo, v32, v19
	v_add_co_ci_u32_e64 v60, null, v33, v20, vcc_lo
	global_load_ushort v9, v[55:56], off
	global_load_ushort v17, v[59:60], off
	s_waitcnt vmcnt(1)
	v_cvt_f32_f16_e32 v9, v9
	s_waitcnt vmcnt(0)
	v_cvt_f32_f16_e32 v17, v17
	s_or_b32 exec_lo, exec_lo, s1
	s_and_saveexec_b32 s1, s0
	s_cbranch_execnz .LBB90_38
	s_branch .LBB90_39
.LBB90_49:
                                        ; implicit-def: $vgpr11
                                        ; implicit-def: $vgpr62
	s_branch .LBB90_51
.LBB90_50:
	s_cbranch_execnz .LBB90_83
.LBB90_51:
	v_mov_b32_e32 v11, 0
	v_mov_b32_e32 v62, 0
	s_andn2_b32 vcc_lo, exec_lo, s7
	s_cbranch_vccnz .LBB90_83
; %bb.52:
	s_load_dword s0, s[4:5], 0x44
	v_lshlrev_b32_e32 v49, 3, v1
	s_add_u32 s20, s4, 64
	s_addc_u32 s21, s5, 0
	v_lshlrev_b32_e32 v6, 4, v1
	v_mov_b32_e32 v84, 0
	v_add_co_u32 v10, s1, v49, s2
	v_add_co_ci_u32_e64 v11, null, 0, 0, s1
	v_mov_b32_e32 v83, 0
	v_mul_lo_u32 v4, s11, v10
	v_mad_u64_u32 v[2:3], null, s10, v10, 0
	v_mul_lo_u32 v5, s10, v11
	s_waitcnt lgkmcnt(0)
	s_lshl_b32 s1, s0, 7
	v_add3_u32 v3, v3, v5, v4
	s_mul_i32 s0, s11, s1
	s_mul_hi_u32 s7, s10, s1
	s_mul_i32 s22, s10, s1
	s_add_i32 s23, s7, s0
	v_lshlrev_b64 v[4:5], 1, v[2:3]
	s_lshl_b64 s[22:23], s[22:23], 1
	s_add_u32 s24, s2, 0x7f
	s_addc_u32 s25, 0, 0
	s_lshl_b64 s[26:27], s[2:3], 1
	v_add_co_u32 v6, s0, v6, s26
	v_add_co_ci_u32_e64 v7, null, 0, s27, s0
	v_add_co_u32 v8, vcc_lo, v6, 2
	v_add_co_ci_u32_e64 v9, null, 0, v7, vcc_lo
	v_add_co_u32 v50, vcc_lo, s12, v4
	v_add_co_ci_u32_e64 v51, null, s13, v5, vcc_lo
	;; [unrolled: 2-line block ×6, first 2 shown]
	v_add_co_u32 v41, vcc_lo, v6, 10
	v_mad_u64_u32 v[21:22], null, s10, v4, s[12:13]
	v_mul_lo_u32 v5, s10, v5
	v_mul_lo_u32 v15, s11, v4
	v_mad_u64_u32 v[35:36], null, s10, v4, s[14:15]
	v_add_co_ci_u32_e64 v29, null, 0, v7, vcc_lo
	v_add_co_u32 v43, vcc_lo, v6, 12
	v_add_co_ci_u32_e64 v31, null, 0, v7, vcc_lo
	v_add_co_u32 v6, vcc_lo, v6, 14
	v_mad_u64_u32 v[19:20], null, s10, v8, s[12:13]
	v_mul_lo_u32 v9, s10, v9
	v_mul_lo_u32 v12, s11, v8
	v_mad_u64_u32 v[33:34], null, s10, v8, s[14:15]
	v_add_co_ci_u32_e64 v7, null, 0, v7, vcc_lo
	v_add_co_u32 v4, vcc_lo, v10, 7
	v_add3_u32 v22, v15, v22, v5
	v_add3_u32 v36, v15, v36, v5
	v_add_co_ci_u32_e64 v5, null, 0, v11, vcc_lo
	v_mul_lo_u32 v57, s10, v7
	v_add_co_u32 v7, vcc_lo, v10, 6
	v_add3_u32 v20, v12, v20, v9
	v_add3_u32 v34, v12, v34, v9
	v_add_co_ci_u32_e64 v12, null, 0, v11, vcc_lo
	v_mul_lo_u32 v8, s11, v4
	v_mul_lo_u32 v9, s10, v5
	v_mad_u64_u32 v[4:5], null, s10, v4, 0
	v_mad_u64_u32 v[23:24], null, s10, v13, s[12:13]
	v_mul_lo_u32 v17, s11, v13
	v_mul_lo_u32 v55, s10, v31
	v_mad_u64_u32 v[31:32], null, s10, v6, s[12:13]
	v_mul_lo_u32 v58, s11, v6
	v_mad_u64_u32 v[37:38], null, s10, v13, s[14:15]
	v_mad_u64_u32 v[45:46], null, s10, v6, s[14:15]
	v_mul_lo_u32 v13, s11, v7
	v_mul_lo_u32 v12, s10, v12
	v_mad_u64_u32 v[6:7], null, s10, v7, 0
	v_add3_u32 v5, v5, v9, v8
	v_add_co_u32 v8, vcc_lo, v10, 5
	v_mad_u64_u32 v[27:28], null, s10, v41, s[12:13]
	v_mul_lo_u32 v48, s10, v29
	v_mul_lo_u32 v54, s11, v41
	v_mad_u64_u32 v[41:42], null, s10, v41, s[14:15]
	v_add3_u32 v7, v7, v12, v13
	v_add_co_ci_u32_e64 v9, null, 0, v11, vcc_lo
	v_mad_u64_u32 v[29:30], null, s10, v43, s[12:13]
	v_mul_lo_u32 v56, s11, v43
	v_mad_u64_u32 v[43:44], null, s10, v43, s[14:15]
	v_lshlrev_b64 v[4:5], 1, v[4:5]
	v_lshlrev_b64 v[6:7], 1, v[6:7]
	v_mul_lo_u32 v12, s11, v8
	v_mul_lo_u32 v13, s10, v9
	v_mad_u64_u32 v[8:9], null, s10, v8, 0
	v_add3_u32 v28, v54, v28, v48
	v_add3_u32 v42, v54, v42, v48
	v_add_co_u32 v54, vcc_lo, s12, v4
	v_add3_u32 v30, v56, v30, v55
	v_add3_u32 v44, v56, v44, v55
	v_add_co_ci_u32_e64 v55, null, s13, v5, vcc_lo
	v_add_co_u32 v56, vcc_lo, s14, v4
	v_add3_u32 v32, v58, v32, v57
	v_add3_u32 v46, v58, v46, v57
	v_add_co_ci_u32_e64 v57, null, s15, v5, vcc_lo
	v_add_co_u32 v58, vcc_lo, s12, v6
	v_add_co_ci_u32_e64 v59, null, s13, v7, vcc_lo
	v_add3_u32 v9, v9, v13, v12
	v_add_co_u32 v12, vcc_lo, v10, 4
	v_add_co_ci_u32_e64 v13, null, 0, v11, vcc_lo
	v_add_co_u32 v60, vcc_lo, s14, v6
	v_add_co_ci_u32_e64 v61, null, s15, v7, vcc_lo
	v_lshlrev_b64 v[4:5], 1, v[8:9]
	v_mul_lo_u32 v8, s11, v12
	v_mul_lo_u32 v9, s10, v13
	v_mad_u64_u32 v[6:7], null, s10, v12, 0
	v_mul_lo_u32 v14, s10, v14
	v_add_co_u32 v12, vcc_lo, v10, 3
	v_add_co_ci_u32_e64 v13, null, 0, v11, vcc_lo
	v_add_co_u32 v63, vcc_lo, s12, v4
	v_add_co_ci_u32_e64 v64, null, s13, v5, vcc_lo
	v_add3_u32 v7, v7, v9, v8
	v_add_co_u32 v10, vcc_lo, v10, 2
	v_add3_u32 v24, v17, v24, v14
	v_add3_u32 v38, v17, v38, v14
	v_mul_lo_u32 v14, s11, v12
	v_mul_lo_u32 v13, s10, v13
	v_mad_u64_u32 v[8:9], null, s10, v12, 0
	v_add_co_ci_u32_e64 v11, null, 0, v11, vcc_lo
	v_add_co_u32 v65, vcc_lo, s14, v4
	v_add_co_ci_u32_e64 v66, null, s15, v5, vcc_lo
	v_lshlrev_b64 v[4:5], 1, v[6:7]
	v_mul_lo_u32 v12, s11, v10
	v_mul_lo_u32 v11, s10, v11
	v_mad_u64_u32 v[6:7], null, s10, v10, 0
	v_add3_u32 v9, v9, v13, v14
	v_add_co_u32 v67, vcc_lo, s12, v4
	v_add_co_ci_u32_e64 v68, null, s13, v5, vcc_lo
	v_add_co_u32 v69, vcc_lo, s14, v4
	v_add_co_ci_u32_e64 v70, null, s15, v5, vcc_lo
	v_lshlrev_b64 v[4:5], 1, v[8:9]
	v_add3_u32 v7, v7, v11, v12
	v_add_co_u32 v2, vcc_lo, v2, s10
	v_add_co_ci_u32_e64 v3, null, s11, v3, vcc_lo
	v_lshlrev_b64 v[6:7], 1, v[6:7]
	v_add_co_u32 v71, vcc_lo, s12, v4
	v_add_co_ci_u32_e64 v72, null, s13, v5, vcc_lo
	v_add_co_u32 v73, vcc_lo, s14, v4
	v_lshlrev_b64 v[3:4], 1, v[2:3]
	v_mov_b32_e32 v2, 0
	v_mad_u64_u32 v[25:26], null, s10, v16, s[12:13]
	v_mul_lo_u32 v18, s10, v18
	v_mul_lo_u32 v47, s11, v16
	v_mad_u64_u32 v[39:40], null, s10, v16, s[14:15]
	v_add_co_ci_u32_e64 v74, null, s15, v5, vcc_lo
	v_add_co_u32 v75, vcc_lo, s12, v6
	v_add_co_ci_u32_e64 v76, null, s13, v7, vcc_lo
	v_add_co_u32 v77, vcc_lo, s14, v6
	v_add_nc_u32_e32 v5, s28, v0
	v_mov_b32_e32 v6, v2
	v_add_co_ci_u32_e64 v78, null, s15, v7, vcc_lo
	v_add_co_u32 v79, vcc_lo, s12, v3
	v_add_co_ci_u32_e64 v80, null, s13, v4, vcc_lo
	v_add_co_u32 v81, vcc_lo, s14, v3
	v_add3_u32 v26, v47, v26, v18
	v_add3_u32 v40, v47, v40, v18
	v_lshlrev_b64 v[47:48], 1, v[5:6]
	v_add_co_ci_u32_e64 v82, null, s15, v4, vcc_lo
.LBB90_53:                              ; =>This Inner Loop Header: Depth=1
	v_cmp_ge_i64_e64 s0, s[24:25], s[8:9]
	v_add_co_u32 v85, s7, v49, s24
	v_add_co_ci_u32_e64 v86, null, 0, s25, s7
                                        ; implicit-def: $vgpr62
                                        ; implicit-def: $vgpr11
	s_and_b32 vcc_lo, exec_lo, s0
	s_mov_b32 s0, -1
	s_cbranch_vccz .LBB90_75
; %bb.54:                               ;   in Loop: Header=BB90_53 Depth=1
	s_load_dword s0, s[20:21], 0xc
	v_mov_b32_e32 v87, 0
	v_mov_b32_e32 v62, 0
	s_waitcnt lgkmcnt(0)
	s_and_b32 s0, s0, 0xffff
	v_mad_u32_u24 v3, v1, s0, v0
	s_mov_b32 s0, exec_lo
	v_and_b32_e32 v3, 31, v3
	v_cmpx_gt_u32_e32 8, v3
	s_cbranch_execz .LBB90_58
; %bb.55:                               ;   in Loop: Header=BB90_53 Depth=1
	v_add_co_u32 v3, vcc_lo, v85, v3
	v_add_co_ci_u32_e64 v4, null, 0, v86, vcc_lo
	v_mov_b32_e32 v62, 0
	v_add_co_u32 v3, vcc_lo, 0xffffff81, v3
	v_add_co_ci_u32_e64 v4, null, -1, v4, vcc_lo
	v_mov_b32_e32 v87, 0
	s_mov_b32 s7, exec_lo
	v_cmpx_gt_i64_e64 s[8:9], v[3:4]
	s_cbranch_execz .LBB90_57
; %bb.56:                               ;   in Loop: Header=BB90_53 Depth=1
	v_lshlrev_b64 v[3:4], 2, v[3:4]
	v_add_co_u32 v5, vcc_lo, s16, v3
	v_add_co_ci_u32_e64 v6, null, s17, v4, vcc_lo
	v_add_co_u32 v3, vcc_lo, s18, v3
	v_add_co_ci_u32_e64 v4, null, s19, v4, vcc_lo
	global_load_dword v62, v[5:6], off
	global_load_dword v87, v[3:4], off
.LBB90_57:                              ;   in Loop: Header=BB90_53 Depth=1
	s_or_b32 exec_lo, exec_lo, s7
.LBB90_58:                              ;   in Loop: Header=BB90_53 Depth=1
	s_or_b32 exec_lo, exec_lo, s0
	v_add_co_u32 v10, vcc_lo, 0xffffff81, v85
	v_add_co_ci_u32_e64 v11, null, -1, v86, vcc_lo
	v_mov_b32_e32 v9, v2
	v_mov_b32_e32 v3, v2
	;; [unrolled: 1-line block ×7, first 2 shown]
	v_cmp_gt_i64_e32 vcc_lo, s[8:9], v[10:11]
	v_mov_b32_e32 v18, v9
	v_mov_b32_e32 v15, v6
	;; [unrolled: 1-line block ×16, first 2 shown]
	s_and_saveexec_b32 s0, vcc_lo
	s_cbranch_execz .LBB90_60
; %bb.59:                               ;   in Loop: Header=BB90_53 Depth=1
	v_add_co_u32 v3, vcc_lo, v50, v47
	v_add_co_ci_u32_e64 v4, null, v51, v48, vcc_lo
	v_add_co_u32 v5, vcc_lo, v52, v47
	v_add_co_ci_u32_e64 v6, null, v53, v48, vcc_lo
	global_load_ushort v3, v[3:4], off
	global_load_ushort v11, v[5:6], off
	v_mov_b32_e32 v4, v2
	v_mov_b32_e32 v5, v2
	;; [unrolled: 1-line block ×14, first 2 shown]
	s_waitcnt vmcnt(1)
	v_cvt_f32_f16_e32 v3, v3
	s_waitcnt vmcnt(0)
	v_cvt_f32_f16_e32 v11, v11
.LBB90_60:                              ;   in Loop: Header=BB90_53 Depth=1
	s_or_b32 exec_lo, exec_lo, s0
	v_add_co_u32 v88, vcc_lo, 0xffffff82, v85
	v_add_co_ci_u32_e64 v89, null, -1, v86, vcc_lo
	s_mov_b32 s0, exec_lo
	v_cmpx_gt_i64_e64 s[8:9], v[88:89]
	s_cbranch_execz .LBB90_62
; %bb.61:                               ;   in Loop: Header=BB90_53 Depth=1
	v_add_co_u32 v88, vcc_lo, v79, v47
	v_add_co_ci_u32_e64 v89, null, v80, v48, vcc_lo
	v_add_co_u32 v90, vcc_lo, v81, v47
	v_add_co_ci_u32_e64 v91, null, v82, v48, vcc_lo
	global_load_ushort v4, v[88:89], off
	global_load_ushort v12, v[90:91], off
	s_waitcnt vmcnt(1)
	v_cvt_f32_f16_e32 v4, v4
	s_waitcnt vmcnt(0)
	v_cvt_f32_f16_e32 v12, v12
.LBB90_62:                              ;   in Loop: Header=BB90_53 Depth=1
	s_or_b32 exec_lo, exec_lo, s0
	v_add_co_u32 v88, vcc_lo, 0xffffff83, v85
	v_add_co_ci_u32_e64 v89, null, -1, v86, vcc_lo
	s_mov_b32 s0, exec_lo
	v_cmpx_gt_i64_e64 s[8:9], v[88:89]
	s_cbranch_execz .LBB90_64
; %bb.63:                               ;   in Loop: Header=BB90_53 Depth=1
	v_add_co_u32 v88, vcc_lo, v75, v47
	v_add_co_ci_u32_e64 v89, null, v76, v48, vcc_lo
	v_add_co_u32 v90, vcc_lo, v77, v47
	v_add_co_ci_u32_e64 v91, null, v78, v48, vcc_lo
	global_load_ushort v5, v[88:89], off
	global_load_ushort v13, v[90:91], off
	s_waitcnt vmcnt(1)
	v_cvt_f32_f16_e32 v5, v5
	s_waitcnt vmcnt(0)
	v_cvt_f32_f16_e32 v13, v13
.LBB90_64:                              ;   in Loop: Header=BB90_53 Depth=1
	;; [unrolled: 18-line block ×7, first 2 shown]
	s_or_b32 exec_lo, exec_lo, s0
	s_waitcnt vmcnt(1)
	ds_bpermute_b32 v89, v2, v62
	s_waitcnt vmcnt(0)
	ds_bpermute_b32 v88, v2, v87
	s_mov_b32 s0, 0
	s_waitcnt lgkmcnt(1)
	v_sub_f32_e32 v11, v11, v89
	ds_bpermute_b32 v89, v2, v62 offset:4
	v_mul_f32_e32 v11, v3, v11
	v_add_f32_e32 v3, v84, v3
	s_waitcnt lgkmcnt(1)
	v_fma_f32 v11, v11, v88, v83
	ds_bpermute_b32 v88, v2, v87 offset:4
	v_add_f32_e32 v3, v4, v3
	v_add_f32_e32 v3, v5, v3
	s_waitcnt lgkmcnt(1)
	v_sub_f32_e32 v12, v12, v89
	v_add_f32_e32 v3, v6, v3
	v_mul_f32_e32 v12, v4, v12
	ds_bpermute_b32 v4, v2, v87 offset:8
	v_add_f32_e32 v3, v7, v3
	s_waitcnt lgkmcnt(1)
	v_fmac_f32_e32 v11, v12, v88
	ds_bpermute_b32 v12, v2, v62 offset:8
	v_add_f32_e32 v3, v8, v3
	v_add_f32_e32 v3, v9, v3
	s_waitcnt lgkmcnt(0)
	v_sub_f32_e32 v12, v13, v12
	v_mul_f32_e32 v12, v5, v12
	ds_bpermute_b32 v5, v2, v62 offset:12
	v_fmac_f32_e32 v11, v12, v4
	ds_bpermute_b32 v4, v2, v87 offset:12
	s_waitcnt lgkmcnt(1)
	v_sub_f32_e32 v5, v14, v5
	v_mul_f32_e32 v5, v6, v5
	s_waitcnt lgkmcnt(0)
	v_fmac_f32_e32 v11, v5, v4
	ds_bpermute_b32 v5, v2, v62 offset:16
	ds_bpermute_b32 v4, v2, v87 offset:16
	s_waitcnt lgkmcnt(1)
	v_sub_f32_e32 v5, v15, v5
	v_mul_f32_e32 v5, v7, v5
	s_waitcnt lgkmcnt(0)
	v_fmac_f32_e32 v11, v5, v4
	ds_bpermute_b32 v5, v2, v62 offset:20
	;; [unrolled: 7-line block ×4, first 2 shown]
	ds_bpermute_b32 v4, v2, v87 offset:28
	v_add_f32_e32 v62, v10, v3
	s_waitcnt lgkmcnt(1)
	v_sub_f32_e32 v5, v18, v5
	v_mul_f32_e32 v5, v10, v5
	s_waitcnt lgkmcnt(0)
	v_fmac_f32_e32 v11, v5, v4
.LBB90_75:                              ;   in Loop: Header=BB90_53 Depth=1
	s_and_b32 vcc_lo, exec_lo, s0
	s_cbranch_vccz .LBB90_81
; %bb.76:                               ;   in Loop: Header=BB90_53 Depth=1
	s_load_dword s0, s[20:21], 0x0
	v_mov_b32_e32 v6, 0
	v_mov_b32_e32 v5, 0
	s_waitcnt lgkmcnt(0)
	s_cmp_lt_u32 s6, s0
	s_cselect_b32 s0, 12, 18
	s_add_u32 s12, s20, s0
	s_addc_u32 s13, s21, 0
	s_mov_b32 s0, exec_lo
	global_load_ushort v3, v2, s[12:13]
	s_waitcnt vmcnt(0)
	v_mad_u32_u24 v3, v1, v3, v0
	v_and_b32_e32 v3, 31, v3
	v_cmpx_gt_u32_e32 8, v3
	s_cbranch_execz .LBB90_80
; %bb.77:                               ;   in Loop: Header=BB90_53 Depth=1
	v_add_co_u32 v3, vcc_lo, v85, v3
	v_add_co_ci_u32_e64 v4, null, 0, v86, vcc_lo
	v_mov_b32_e32 v5, 0
	v_add_co_u32 v3, vcc_lo, 0xffffff81, v3
	v_add_co_ci_u32_e64 v4, null, -1, v4, vcc_lo
	v_mov_b32_e32 v6, 0
	s_mov_b32 s7, exec_lo
	v_cmpx_gt_i64_e64 s[8:9], v[3:4]
	s_cbranch_execz .LBB90_79
; %bb.78:                               ;   in Loop: Header=BB90_53 Depth=1
	v_lshlrev_b64 v[3:4], 2, v[3:4]
	v_add_co_u32 v5, vcc_lo, s16, v3
	v_add_co_ci_u32_e64 v6, null, s17, v4, vcc_lo
	v_add_co_u32 v3, vcc_lo, s18, v3
	v_add_co_ci_u32_e64 v4, null, s19, v4, vcc_lo
	global_load_dword v5, v[5:6], off
	global_load_dword v6, v[3:4], off
.LBB90_79:                              ;   in Loop: Header=BB90_53 Depth=1
	s_or_b32 exec_lo, exec_lo, s7
.LBB90_80:                              ;   in Loop: Header=BB90_53 Depth=1
	s_or_b32 exec_lo, exec_lo, s0
	v_add_co_u32 v3, vcc_lo, v50, v47
	v_add_co_ci_u32_e64 v4, null, v51, v48, vcc_lo
	v_add_co_u32 v7, vcc_lo, v52, v47
	v_add_co_ci_u32_e64 v8, null, v53, v48, vcc_lo
	global_load_ushort v15, v[3:4], off
	v_add_co_u32 v3, vcc_lo, v19, v47
	v_add_co_ci_u32_e64 v4, null, v20, v48, vcc_lo
	v_add_co_u32 v9, vcc_lo, v33, v47
	v_add_co_ci_u32_e64 v10, null, v34, v48, vcc_lo
	;; [unrolled: 2-line block ×4, first 2 shown]
	global_load_ushort v16, v[7:8], off
	global_load_ushort v17, v[3:4], off
	;; [unrolled: 1-line block ×5, first 2 shown]
	v_add_co_u32 v3, vcc_lo, v23, v47
	v_add_co_ci_u32_e64 v4, null, v24, v48, vcc_lo
	v_add_co_u32 v7, vcc_lo, v37, v47
	v_add_co_ci_u32_e64 v8, null, v38, v48, vcc_lo
	;; [unrolled: 2-line block ×5, first 2 shown]
	global_load_ushort v86, v[7:8], off
	global_load_ushort v87, v[3:4], off
	;; [unrolled: 1-line block ×5, first 2 shown]
	v_add_co_u32 v3, vcc_lo, v41, v47
	v_add_co_ci_u32_e64 v4, null, v42, v48, vcc_lo
	v_add_co_u32 v7, vcc_lo, v29, v47
	v_add_co_ci_u32_e64 v8, null, v30, v48, vcc_lo
	;; [unrolled: 2-line block ×3, first 2 shown]
	global_load_ushort v13, v[3:4], off
	global_load_ushort v14, v[7:8], off
	;; [unrolled: 1-line block ×3, first 2 shown]
	v_add_co_u32 v7, s0, v45, v47
	v_add_co_u32 v3, vcc_lo, v31, v47
	v_add_co_ci_u32_e64 v8, null, v46, v48, s0
	v_add_co_ci_u32_e64 v4, null, v32, v48, vcc_lo
	global_load_ushort v7, v[7:8], off
	global_load_ushort v3, v[3:4], off
	s_waitcnt vmcnt(17)
	ds_bpermute_b32 v4, v2, v5
	s_waitcnt vmcnt(16)
	ds_bpermute_b32 v8, v2, v6
	ds_bpermute_b32 v89, v2, v5 offset:8
	ds_bpermute_b32 v90, v2, v6 offset:4
	;; [unrolled: 1-line block ×4, first 2 shown]
	s_waitcnt vmcnt(15)
	v_cvt_f32_f16_e32 v15, v15
	s_waitcnt vmcnt(14)
	v_cvt_f32_f16_e32 v10, v16
	ds_bpermute_b32 v16, v2, v5 offset:4
	s_waitcnt vmcnt(12)
	v_cvt_f32_f16_e32 v18, v18
	v_cvt_f32_f16_e32 v17, v17
	s_waitcnt vmcnt(10)
	v_cvt_f32_f16_e32 v85, v85
	s_waitcnt lgkmcnt(6)
	v_sub_f32_e32 v4, v10, v4
	ds_bpermute_b32 v10, v2, v5 offset:12
	v_cvt_f32_f16_e32 v62, v62
	s_waitcnt lgkmcnt(5)
	v_sub_f32_e32 v85, v85, v89
	v_mul_f32_e32 v4, v4, v15
	v_add_f32_e32 v15, v84, v15
	ds_bpermute_b32 v84, v2, v6 offset:20
	ds_bpermute_b32 v89, v2, v6 offset:24
	v_mul_f32_e32 v85, v85, v62
	v_fmac_f32_e32 v83, v4, v8
	ds_bpermute_b32 v8, v2, v5 offset:16
	ds_bpermute_b32 v4, v2, v6 offset:16
	;; [unrolled: 1-line block ×3, first 2 shown]
	s_waitcnt vmcnt(9)
	v_cvt_f32_f16_e32 v86, v86
	s_waitcnt lgkmcnt(6)
	v_sub_f32_e32 v16, v18, v16
	ds_bpermute_b32 v18, v2, v5 offset:20
	s_waitcnt vmcnt(8)
	v_cvt_f32_f16_e32 v87, v87
	s_waitcnt vmcnt(6)
	v_cvt_f32_f16_e32 v11, v11
	s_waitcnt lgkmcnt(6)
	v_sub_f32_e32 v10, v86, v10
	ds_bpermute_b32 v86, v2, v5 offset:24
	v_mul_f32_e32 v16, v16, v17
	ds_bpermute_b32 v5, v2, v5 offset:28
	v_cvt_f32_f16_e32 v88, v88
	v_mul_f32_e32 v10, v10, v87
	s_waitcnt vmcnt(5)
	v_cvt_f32_f16_e32 v12, v12
	v_fmac_f32_e32 v83, v16, v90
	s_waitcnt lgkmcnt(5)
	v_sub_f32_e32 v8, v11, v8
	s_waitcnt vmcnt(4)
	v_cvt_f32_f16_e32 v13, v13
	v_add_f32_e32 v11, v15, v17
	v_fmac_f32_e32 v83, v85, v91
	s_waitcnt vmcnt(2)
	v_cvt_f32_f16_e32 v9, v9
	v_mul_f32_e32 v8, v8, v88
	s_waitcnt lgkmcnt(2)
	v_sub_f32_e32 v13, v13, v18
	v_add_f32_e32 v11, v11, v62
	v_fmac_f32_e32 v83, v10, v92
	v_cvt_f32_f16_e32 v10, v14
	s_waitcnt lgkmcnt(1)
	v_sub_f32_e32 v9, v9, v86
	v_mul_f32_e32 v13, v13, v12
	v_add_f32_e32 v11, v11, v87
	v_fmac_f32_e32 v83, v8, v4
	s_waitcnt vmcnt(1)
	v_cvt_f32_f16_e32 v4, v7
	s_waitcnt vmcnt(0)
	v_cvt_f32_f16_e32 v3, v3
	v_mul_f32_e32 v7, v9, v10
	v_add_f32_e32 v8, v11, v88
	v_fmac_f32_e32 v83, v13, v84
	s_waitcnt lgkmcnt(0)
	v_sub_f32_e32 v4, v4, v5
	v_add_f32_e32 v5, v8, v12
	v_fmac_f32_e32 v83, v7, v89
	v_mul_f32_e32 v4, v4, v3
	v_add_f32_e32 v5, v5, v10
	v_fmac_f32_e32 v83, v4, v6
	v_add_f32_e32 v62, v5, v3
	v_mov_b32_e32 v11, v83
.LBB90_81:                              ;   in Loop: Header=BB90_53 Depth=1
	v_add_co_u32 v50, vcc_lo, v50, s22
	v_add_co_ci_u32_e64 v51, null, s23, v51, vcc_lo
	v_add_co_u32 v52, vcc_lo, v52, s22
	v_add_co_ci_u32_e64 v53, null, s23, v53, vcc_lo
	;; [unrolled: 2-line block ×26, first 2 shown]
	v_add_co_u32 v75, vcc_lo, v75, s22
	s_add_u32 s2, s2, s1
	v_add_co_ci_u32_e64 v76, null, s23, v76, vcc_lo
	v_add_co_u32 v77, vcc_lo, v77, s22
	s_addc_u32 s3, s3, 0
	v_add_co_ci_u32_e64 v78, null, s23, v78, vcc_lo
	v_add_co_u32 v79, vcc_lo, v79, s22
	v_cmp_ge_i64_e64 s0, s[2:3], s[8:9]
	v_add_co_ci_u32_e64 v80, null, s23, v80, vcc_lo
	v_add_co_u32 v81, vcc_lo, v81, s22
	v_add_co_ci_u32_e64 v82, null, s23, v82, vcc_lo
	s_add_u32 s24, s24, s1
	s_addc_u32 s25, s25, 0
	s_and_b32 vcc_lo, exec_lo, s0
	s_cbranch_vccnz .LBB90_83
; %bb.82:                               ;   in Loop: Header=BB90_53 Depth=1
	v_mov_b32_e32 v84, v62
	v_mov_b32_e32 v83, v11
	s_branch .LBB90_53
.LBB90_83:
	v_mad_u32_u24 v2, v1, 33, v0
	v_lshrrev_b32_e32 v3, 5, v0
	s_mov_b32 s0, exec_lo
	v_lshl_add_u32 v2, v2, 2, 0
	v_add_nc_u32_e32 v3, v3, v1
	ds_write_b32 v2, v11
	ds_write_b32 v2, v62 offset:2112
	s_waitcnt lgkmcnt(0)
	s_barrier
	buffer_gl0_inv
	v_cmpx_gt_u32_e32 32, v3
	s_cbranch_execz .LBB90_99
; %bb.84:
	s_load_dwordx4 s[12:15], s[4:5], 0x30
	v_and_b32_e32 v1, 31, v0
                                        ; implicit-def: $vgpr2
	v_cmp_gt_u32_e64 s0, 16, v1
	v_mul_u32_u24_e32 v4, 33, v1
                                        ; implicit-def: $vgpr1
	s_and_saveexec_b32 s1, s0
	s_cbranch_execz .LBB90_86
; %bb.85:
	v_add_nc_u32_e32 v1, v3, v4
	v_lshl_add_u32 v1, v1, 2, 0
	ds_read_b32 v2, v1
	ds_read_b32 v1, v1 offset:2112
.LBB90_86:
	s_or_b32 exec_lo, exec_lo, s1
	v_mbcnt_lo_u32_b32 v8, -1, 0
	s_mov_b32 s7, 0
	v_cmp_eq_u32_e64 s1, 0, v0
	s_lshl_b64 s[2:3], s[6:7], 5
	s_waitcnt lgkmcnt(0)
	s_cmp_lg_u64 s[12:13], 0
	v_xor_b32_e32 v5, 8, v8
	v_xor_b32_e32 v6, 4, v8
	;; [unrolled: 1-line block ×3, first 2 shown]
	s_cselect_b32 s5, -1, 0
	s_cmp_lg_u64 s[14:15], 0
	v_cmp_gt_i32_e32 vcc_lo, 32, v5
	s_cselect_b32 s4, -1, 0
	v_cndmask_b32_e32 v5, v8, v5, vcc_lo
	v_cmp_gt_i32_e32 vcc_lo, 32, v6
	v_lshlrev_b32_e32 v5, 2, v5
	v_cndmask_b32_e32 v6, v8, v6, vcc_lo
	ds_bpermute_b32 v7, v5, v2
	ds_bpermute_b32 v9, v5, v1
	v_lshlrev_b32_e32 v6, 2, v6
	s_waitcnt lgkmcnt(1)
	v_add_f32_e32 v2, v2, v7
	s_waitcnt lgkmcnt(0)
	v_add_f32_e32 v1, v1, v9
	v_xor_b32_e32 v7, 2, v8
	ds_bpermute_b32 v9, v6, v2
	ds_bpermute_b32 v10, v6, v1
	v_cmp_gt_i32_e32 vcc_lo, 32, v7
	v_cndmask_b32_e32 v7, v8, v7, vcc_lo
	v_cmp_gt_i32_e32 vcc_lo, 32, v11
	v_lshlrev_b32_e32 v7, 2, v7
	v_cndmask_b32_e32 v8, v8, v11, vcc_lo
	v_lshlrev_b32_e32 v8, 2, v8
	s_waitcnt lgkmcnt(1)
	v_add_f32_e32 v2, v2, v9
	s_waitcnt lgkmcnt(0)
	v_add_f32_e32 v1, v1, v10
	ds_bpermute_b32 v9, v7, v2
	ds_bpermute_b32 v10, v7, v1
	s_waitcnt lgkmcnt(1)
	v_add_f32_e32 v9, v2, v9
	s_waitcnt lgkmcnt(0)
	v_add_f32_e32 v10, v1, v10
	v_or_b32_e32 v1, s2, v3
	v_mov_b32_e32 v2, s3
	ds_bpermute_b32 v11, v8, v9
	ds_bpermute_b32 v12, v8, v10
	v_cmp_gt_i64_e32 vcc_lo, s[10:11], v[1:2]
	s_and_b32 s7, s1, vcc_lo
	s_waitcnt lgkmcnt(1)
	v_add_f32_e32 v9, v9, v11
	s_waitcnt lgkmcnt(0)
	v_add_f32_e32 v10, v10, v12
	s_and_saveexec_b32 s6, s7
	s_cbranch_execz .LBB90_91
; %bb.87:
	v_lshlrev_b64 v[0:1], 1, v[1:2]
	s_andn2_b32 vcc_lo, exec_lo, s5
	s_cbranch_vccnz .LBB90_89
; %bb.88:
	v_add_co_u32 v11, vcc_lo, s12, v0
	v_add_co_ci_u32_e64 v12, null, s13, v1, vcc_lo
	v_cvt_f16_f32_e32 v2, v9
	global_store_short v[11:12], v2, off
.LBB90_89:
	s_andn2_b32 vcc_lo, exec_lo, s4
	s_cbranch_vccnz .LBB90_91
; %bb.90:
	v_add_co_u32 v0, vcc_lo, s14, v0
	v_add_co_ci_u32_e64 v1, null, s15, v1, vcc_lo
	v_cvt_f16_f32_e32 v2, v10
	global_store_short v[0:1], v2, off
.LBB90_91:
	s_or_b32 exec_lo, exec_lo, s6
	v_cmp_gt_u32_e32 vcc_lo, 16, v3
	s_and_b32 exec_lo, exec_lo, vcc_lo
	s_cbranch_execz .LBB90_99
; %bb.92:
	s_and_saveexec_b32 s6, s0
	s_cbranch_execz .LBB90_94
; %bb.93:
	v_add_nc_u32_e32 v0, v3, v4
	v_lshl_add_u32 v0, v0, 2, 0
	ds_read_b32 v9, v0 offset:64
	ds_read_b32 v10, v0 offset:2176
.LBB90_94:
	s_or_b32 exec_lo, exec_lo, s6
	s_waitcnt lgkmcnt(1)
	ds_bpermute_b32 v0, v5, v9
	s_waitcnt lgkmcnt(1)
	ds_bpermute_b32 v1, v5, v10
	v_add_nc_u32_e32 v5, 16, v3
	v_or_b32_e32 v5, s2, v5
	s_waitcnt lgkmcnt(1)
	v_add_f32_e32 v0, v9, v0
	s_waitcnt lgkmcnt(0)
	v_add_f32_e32 v1, v10, v1
	ds_bpermute_b32 v2, v6, v0
	ds_bpermute_b32 v4, v6, v1
	v_mov_b32_e32 v6, s3
	v_cmp_gt_i64_e32 vcc_lo, s[10:11], v[5:6]
	s_and_b32 s0, s1, vcc_lo
	s_waitcnt lgkmcnt(1)
	v_add_f32_e32 v0, v0, v2
	s_waitcnt lgkmcnt(0)
	v_add_f32_e32 v1, v1, v4
	ds_bpermute_b32 v2, v7, v0
	ds_bpermute_b32 v4, v7, v1
	s_waitcnt lgkmcnt(1)
	v_add_f32_e32 v2, v0, v2
	s_waitcnt lgkmcnt(0)
	v_add_f32_e32 v0, v1, v4
	ds_bpermute_b32 v4, v8, v2
	ds_bpermute_b32 v1, v8, v0
	s_and_b32 exec_lo, exec_lo, s0
	s_cbranch_execz .LBB90_99
; %bb.95:
	s_andn2_b32 vcc_lo, exec_lo, s5
	s_cbranch_vccnz .LBB90_97
; %bb.96:
	v_add_co_u32 v5, s0, s2, v3
	v_add_co_ci_u32_e64 v6, null, s3, 0, s0
	s_waitcnt lgkmcnt(1)
	v_add_f32_e32 v2, v2, v4
	v_lshlrev_b64 v[5:6], 1, v[5:6]
	v_cvt_f16_f32_e32 v2, v2
	v_add_co_u32 v4, vcc_lo, s12, v5
	v_add_co_ci_u32_e64 v5, null, s13, v6, vcc_lo
	global_store_short v[4:5], v2, off offset:32
.LBB90_97:
	s_andn2_b32 vcc_lo, exec_lo, s4
	s_cbranch_vccnz .LBB90_99
; %bb.98:
	v_add_co_u32 v2, s0, s2, v3
	v_add_co_ci_u32_e64 v3, null, s3, 0, s0
	s_waitcnt lgkmcnt(0)
	v_add_f32_e32 v4, v0, v1
	v_lshlrev_b64 v[2:3], 1, v[2:3]
	v_add_co_u32 v0, vcc_lo, s14, v2
	v_add_co_ci_u32_e64 v1, null, s15, v3, vcc_lo
	v_cvt_f16_f32_e32 v2, v4
	global_store_short v[0:1], v2, off offset:32
.LBB90_99:
	s_endpgm
	.section	.rodata,"a",@progbits
	.p2align	6, 0x0
	.amdhsa_kernel _ZN2at6native12_GLOBAL__N_135GammaBetaBackwardCUDAKernelTemplateIN3c104HalfEfLj32ELj16ELj128ELb0ELb0ELb0EEEvllPKT_S7_PKT0_SA_PS5_SB_
		.amdhsa_group_segment_fixed_size 0
		.amdhsa_private_segment_fixed_size 0
		.amdhsa_kernarg_size 320
		.amdhsa_user_sgpr_count 6
		.amdhsa_user_sgpr_private_segment_buffer 1
		.amdhsa_user_sgpr_dispatch_ptr 0
		.amdhsa_user_sgpr_queue_ptr 0
		.amdhsa_user_sgpr_kernarg_segment_ptr 1
		.amdhsa_user_sgpr_dispatch_id 0
		.amdhsa_user_sgpr_flat_scratch_init 0
		.amdhsa_user_sgpr_private_segment_size 0
		.amdhsa_wavefront_size32 1
		.amdhsa_uses_dynamic_stack 0
		.amdhsa_system_sgpr_private_segment_wavefront_offset 0
		.amdhsa_system_sgpr_workgroup_id_x 1
		.amdhsa_system_sgpr_workgroup_id_y 1
		.amdhsa_system_sgpr_workgroup_id_z 0
		.amdhsa_system_sgpr_workgroup_info 0
		.amdhsa_system_vgpr_workitem_id 1
		.amdhsa_next_free_vgpr 93
		.amdhsa_next_free_sgpr 32
		.amdhsa_reserve_vcc 1
		.amdhsa_reserve_flat_scratch 0
		.amdhsa_float_round_mode_32 0
		.amdhsa_float_round_mode_16_64 0
		.amdhsa_float_denorm_mode_32 3
		.amdhsa_float_denorm_mode_16_64 3
		.amdhsa_dx10_clamp 1
		.amdhsa_ieee_mode 1
		.amdhsa_fp16_overflow 0
		.amdhsa_workgroup_processor_mode 1
		.amdhsa_memory_ordered 1
		.amdhsa_forward_progress 1
		.amdhsa_shared_vgpr_count 0
		.amdhsa_exception_fp_ieee_invalid_op 0
		.amdhsa_exception_fp_denorm_src 0
		.amdhsa_exception_fp_ieee_div_zero 0
		.amdhsa_exception_fp_ieee_overflow 0
		.amdhsa_exception_fp_ieee_underflow 0
		.amdhsa_exception_fp_ieee_inexact 0
		.amdhsa_exception_int_div_zero 0
	.end_amdhsa_kernel
	.section	.text._ZN2at6native12_GLOBAL__N_135GammaBetaBackwardCUDAKernelTemplateIN3c104HalfEfLj32ELj16ELj128ELb0ELb0ELb0EEEvllPKT_S7_PKT0_SA_PS5_SB_,"axG",@progbits,_ZN2at6native12_GLOBAL__N_135GammaBetaBackwardCUDAKernelTemplateIN3c104HalfEfLj32ELj16ELj128ELb0ELb0ELb0EEEvllPKT_S7_PKT0_SA_PS5_SB_,comdat
.Lfunc_end90:
	.size	_ZN2at6native12_GLOBAL__N_135GammaBetaBackwardCUDAKernelTemplateIN3c104HalfEfLj32ELj16ELj128ELb0ELb0ELb0EEEvllPKT_S7_PKT0_SA_PS5_SB_, .Lfunc_end90-_ZN2at6native12_GLOBAL__N_135GammaBetaBackwardCUDAKernelTemplateIN3c104HalfEfLj32ELj16ELj128ELb0ELb0ELb0EEEvllPKT_S7_PKT0_SA_PS5_SB_
                                        ; -- End function
	.set _ZN2at6native12_GLOBAL__N_135GammaBetaBackwardCUDAKernelTemplateIN3c104HalfEfLj32ELj16ELj128ELb0ELb0ELb0EEEvllPKT_S7_PKT0_SA_PS5_SB_.num_vgpr, 93
	.set _ZN2at6native12_GLOBAL__N_135GammaBetaBackwardCUDAKernelTemplateIN3c104HalfEfLj32ELj16ELj128ELb0ELb0ELb0EEEvllPKT_S7_PKT0_SA_PS5_SB_.num_agpr, 0
	.set _ZN2at6native12_GLOBAL__N_135GammaBetaBackwardCUDAKernelTemplateIN3c104HalfEfLj32ELj16ELj128ELb0ELb0ELb0EEEvllPKT_S7_PKT0_SA_PS5_SB_.numbered_sgpr, 32
	.set _ZN2at6native12_GLOBAL__N_135GammaBetaBackwardCUDAKernelTemplateIN3c104HalfEfLj32ELj16ELj128ELb0ELb0ELb0EEEvllPKT_S7_PKT0_SA_PS5_SB_.num_named_barrier, 0
	.set _ZN2at6native12_GLOBAL__N_135GammaBetaBackwardCUDAKernelTemplateIN3c104HalfEfLj32ELj16ELj128ELb0ELb0ELb0EEEvllPKT_S7_PKT0_SA_PS5_SB_.private_seg_size, 0
	.set _ZN2at6native12_GLOBAL__N_135GammaBetaBackwardCUDAKernelTemplateIN3c104HalfEfLj32ELj16ELj128ELb0ELb0ELb0EEEvllPKT_S7_PKT0_SA_PS5_SB_.uses_vcc, 1
	.set _ZN2at6native12_GLOBAL__N_135GammaBetaBackwardCUDAKernelTemplateIN3c104HalfEfLj32ELj16ELj128ELb0ELb0ELb0EEEvllPKT_S7_PKT0_SA_PS5_SB_.uses_flat_scratch, 0
	.set _ZN2at6native12_GLOBAL__N_135GammaBetaBackwardCUDAKernelTemplateIN3c104HalfEfLj32ELj16ELj128ELb0ELb0ELb0EEEvllPKT_S7_PKT0_SA_PS5_SB_.has_dyn_sized_stack, 0
	.set _ZN2at6native12_GLOBAL__N_135GammaBetaBackwardCUDAKernelTemplateIN3c104HalfEfLj32ELj16ELj128ELb0ELb0ELb0EEEvllPKT_S7_PKT0_SA_PS5_SB_.has_recursion, 0
	.set _ZN2at6native12_GLOBAL__N_135GammaBetaBackwardCUDAKernelTemplateIN3c104HalfEfLj32ELj16ELj128ELb0ELb0ELb0EEEvllPKT_S7_PKT0_SA_PS5_SB_.has_indirect_call, 0
	.section	.AMDGPU.csdata,"",@progbits
; Kernel info:
; codeLenInByte = 9136
; TotalNumSgprs: 34
; NumVgprs: 93
; ScratchSize: 0
; MemoryBound: 0
; FloatMode: 240
; IeeeMode: 1
; LDSByteSize: 0 bytes/workgroup (compile time only)
; SGPRBlocks: 0
; VGPRBlocks: 11
; NumSGPRsForWavesPerEU: 34
; NumVGPRsForWavesPerEU: 93
; Occupancy: 10
; WaveLimiterHint : 0
; COMPUTE_PGM_RSRC2:SCRATCH_EN: 0
; COMPUTE_PGM_RSRC2:USER_SGPR: 6
; COMPUTE_PGM_RSRC2:TRAP_HANDLER: 0
; COMPUTE_PGM_RSRC2:TGID_X_EN: 1
; COMPUTE_PGM_RSRC2:TGID_Y_EN: 1
; COMPUTE_PGM_RSRC2:TGID_Z_EN: 0
; COMPUTE_PGM_RSRC2:TIDIG_COMP_CNT: 1
	.section	.text._ZN2at6native12_GLOBAL__N_135GammaBetaBackwardCUDAKernelTemplateIN3c104HalfEfLj32ELj32ELj256ELb0ELb1ELb0EEEvllPKT_S7_PKT0_SA_PS5_SB_,"axG",@progbits,_ZN2at6native12_GLOBAL__N_135GammaBetaBackwardCUDAKernelTemplateIN3c104HalfEfLj32ELj32ELj256ELb0ELb1ELb0EEEvllPKT_S7_PKT0_SA_PS5_SB_,comdat
	.globl	_ZN2at6native12_GLOBAL__N_135GammaBetaBackwardCUDAKernelTemplateIN3c104HalfEfLj32ELj32ELj256ELb0ELb1ELb0EEEvllPKT_S7_PKT0_SA_PS5_SB_ ; -- Begin function _ZN2at6native12_GLOBAL__N_135GammaBetaBackwardCUDAKernelTemplateIN3c104HalfEfLj32ELj32ELj256ELb0ELb1ELb0EEEvllPKT_S7_PKT0_SA_PS5_SB_
	.p2align	8
	.type	_ZN2at6native12_GLOBAL__N_135GammaBetaBackwardCUDAKernelTemplateIN3c104HalfEfLj32ELj32ELj256ELb0ELb1ELb0EEEvllPKT_S7_PKT0_SA_PS5_SB_,@function
_ZN2at6native12_GLOBAL__N_135GammaBetaBackwardCUDAKernelTemplateIN3c104HalfEfLj32ELj32ELj256ELb0ELb1ELb0EEEvllPKT_S7_PKT0_SA_PS5_SB_: ; @_ZN2at6native12_GLOBAL__N_135GammaBetaBackwardCUDAKernelTemplateIN3c104HalfEfLj32ELj32ELj256ELb0ELb1ELb0EEEvllPKT_S7_PKT0_SA_PS5_SB_
; %bb.0:
	s_load_dwordx4 s[20:23], s[4:5], 0x0
	s_lshl_b32 s2, s7, 8
	s_mov_b32 s3, 0
	s_waitcnt lgkmcnt(0)
	v_cmp_gt_i64_e64 s0, s[20:21], s[2:3]
	s_and_b32 vcc_lo, exec_lo, s0
	s_cbranch_vccnz .LBB91_2
; %bb.1:
	s_mov_b32 s0, s3
	s_branch .LBB91_3
.LBB91_2:
	s_mov_b32 s0, -1
.LBB91_3:
	s_load_dwordx4 s[16:19], s[4:5], 0x30
	v_mov_b32_e32 v2, 0
	v_mov_b32_e32 v17, 0
	s_andn2_b32 vcc_lo, exec_lo, s0
	s_cbranch_vccnz .LBB91_10
; %bb.4:
	s_clause 0x2
	s_load_dword s0, s[4:5], 0x4c
	s_load_dword s1, s[4:5], 0x44
	s_load_dwordx8 s[8:15], s[4:5], 0x10
	v_lshlrev_b32_e32 v4, 3, v1
	v_mov_b32_e32 v3, 0
	v_lshl_add_u32 v2, s6, 5, v0
	v_mov_b32_e32 v8, 4
	v_mov_b32_e32 v9, 8
	v_add_co_u32 v4, s4, v4, s2
	v_add_co_ci_u32_e64 v5, null, 0, 0, s4
	v_mov_b32_e32 v10, 12
	v_mul_lo_u32 v17, s23, v4
	v_mad_u64_u32 v[6:7], null, s22, v4, 0
	v_mul_lo_u32 v18, s22, v5
	v_mov_b32_e32 v11, 16
	v_mov_b32_e32 v12, 20
	;; [unrolled: 1-line block ×3, first 2 shown]
	s_waitcnt lgkmcnt(0)
	s_and_b32 s0, s0, 0xffff
	s_lshl_b32 s4, s1, 8
	v_mad_u32_u24 v15, v1, s0, v0
	s_mul_i32 s1, s23, s4
	v_add3_u32 v7, v7, v18, v17
	s_mul_hi_u32 s7, s22, s4
	v_mov_b32_e32 v14, 28
	v_and_b32_e32 v19, 31, v15
	v_lshlrev_b64 v[15:16], 1, v[2:3]
	v_lshlrev_b64 v[17:18], 1, v[6:7]
	v_mov_b32_e32 v2, 0
	s_mov_b32 s5, 0
	v_add_co_u32 v4, vcc_lo, v4, v19
	v_add_co_ci_u32_e64 v5, null, 0, v5, vcc_lo
	v_add_co_u32 v15, vcc_lo, v17, v15
	v_cmp_gt_u32_e64 s0, 8, v19
	v_lshlrev_b64 v[6:7], 2, v[4:5]
	v_add_co_ci_u32_e64 v16, null, v18, v16, vcc_lo
	v_mov_b32_e32 v17, 0
	s_add_i32 s27, s7, s1
	s_mul_i32 s26, s22, s4
	s_lshl_b64 s[24:25], s[4:5], 2
	s_lshl_b64 s[26:27], s[26:27], 1
	;; [unrolled: 1-line block ×3, first 2 shown]
	s_branch .LBB91_7
.LBB91_5:                               ;   in Loop: Header=BB91_7 Depth=1
	s_or_b32 exec_lo, exec_lo, s5
.LBB91_6:                               ;   in Loop: Header=BB91_7 Depth=1
	s_or_b32 exec_lo, exec_lo, s1
	v_add_co_u32 v20, vcc_lo, s8, v15
	v_add_co_ci_u32_e64 v21, null, s9, v16, vcc_lo
	v_add_co_u32 v22, vcc_lo, s10, v15
	v_add_co_ci_u32_e64 v23, null, s11, v16, vcc_lo
	;; [unrolled: 2-line block ×5, first 2 shown]
	global_load_ushort v30, v[20:21], off
	global_load_ushort v31, v[22:23], off
	;; [unrolled: 1-line block ×5, first 2 shown]
	v_add_co_u32 v20, vcc_lo, v26, s22
	v_add_co_ci_u32_e64 v21, null, s23, v27, vcc_lo
	v_add_co_u32 v22, vcc_lo, v28, s22
	v_add_co_ci_u32_e64 v23, null, s23, v29, vcc_lo
	;; [unrolled: 2-line block ×5, first 2 shown]
	global_load_ushort v35, v[20:21], off
	global_load_ushort v36, v[22:23], off
	global_load_ushort v37, v[24:25], off
	global_load_ushort v38, v[26:27], off
	global_load_ushort v39, v[28:29], off
	v_add_co_u32 v20, vcc_lo, v26, s22
	v_add_co_ci_u32_e64 v21, null, s23, v27, vcc_lo
	v_add_co_u32 v22, vcc_lo, v28, s22
	v_add_co_ci_u32_e64 v23, null, s23, v29, vcc_lo
	;; [unrolled: 2-line block ×4, first 2 shown]
	global_load_ushort v28, v[20:21], off
	global_load_ushort v29, v[22:23], off
	global_load_ushort v40, v[24:25], off
	global_load_ushort v41, v[26:27], off
	v_add_co_u32 v20, vcc_lo, v26, s22
	v_add_co_ci_u32_e64 v21, null, s23, v27, vcc_lo
	v_add_co_u32 v22, vcc_lo, v24, s22
	v_add_co_ci_u32_e64 v23, null, s23, v25, vcc_lo
	global_load_ushort v20, v[20:21], off
	global_load_ushort v21, v[22:23], off
	s_waitcnt vmcnt(17)
	ds_bpermute_b32 v22, v3, v18
	ds_bpermute_b32 v25, v8, v18
	s_waitcnt vmcnt(16)
	ds_bpermute_b32 v23, v3, v19
	ds_bpermute_b32 v27, v9, v18
	;; [unrolled: 1-line block ×14, first 2 shown]
	s_add_u32 s2, s2, s4
	v_add_co_u32 v6, vcc_lo, v6, s24
	s_addc_u32 s3, s3, 0
	v_add_co_ci_u32_e64 v7, null, s25, v7, vcc_lo
	v_add_co_u32 v4, vcc_lo, v4, s4
	v_cmp_lt_i64_e64 s1, s[2:3], s[20:21]
	v_add_co_ci_u32_e64 v5, null, 0, v5, vcc_lo
	v_add_co_u32 v15, vcc_lo, v15, s26
	v_add_co_ci_u32_e64 v16, null, s27, v16, vcc_lo
	s_and_b32 vcc_lo, exec_lo, s1
	s_waitcnt vmcnt(15)
	v_cvt_f32_f16_e32 v30, v30
	s_waitcnt vmcnt(14)
	v_cvt_f32_f16_e32 v31, v31
	;; [unrolled: 2-line block ×3, first 2 shown]
	v_add_f32_e32 v17, v17, v30
	s_waitcnt lgkmcnt(15)
	v_sub_f32_e32 v22, v31, v22
	v_cvt_f32_f16_e32 v31, v32
	s_waitcnt lgkmcnt(14)
	v_sub_f32_e32 v25, v33, v25
	v_mul_f32_e32 v22, v22, v30
	s_waitcnt vmcnt(11)
	v_cvt_f32_f16_e32 v30, v34
	v_add_f32_e32 v17, v17, v31
	s_waitcnt lgkmcnt(13)
	v_fmac_f32_e32 v2, v22, v23
	v_mul_f32_e32 v22, v25, v31
	v_add_f32_e32 v17, v17, v30
	s_waitcnt vmcnt(10)
	v_cvt_f32_f16_e32 v32, v35
	s_waitcnt lgkmcnt(11)
	v_fmac_f32_e32 v2, v22, v24
	s_waitcnt vmcnt(8)
	v_cvt_f32_f16_e32 v25, v37
	s_waitcnt vmcnt(6)
	v_cvt_f32_f16_e32 v24, v39
	v_sub_f32_e32 v23, v32, v27
	v_cvt_f32_f16_e32 v27, v36
	v_mul_f32_e32 v22, v23, v30
	s_waitcnt lgkmcnt(10)
	v_sub_f32_e32 v23, v25, v43
	v_cvt_f32_f16_e32 v25, v38
	v_add_f32_e32 v17, v17, v27
	s_waitcnt lgkmcnt(9)
	v_fmac_f32_e32 v2, v22, v26
	v_mul_f32_e32 v22, v23, v27
	s_waitcnt lgkmcnt(8)
	v_sub_f32_e32 v23, v24, v45
	s_waitcnt vmcnt(5)
	v_cvt_f32_f16_e32 v26, v28
	s_waitcnt vmcnt(4)
	v_cvt_f32_f16_e32 v24, v29
	v_add_f32_e32 v17, v17, v25
	s_waitcnt lgkmcnt(7)
	v_fmac_f32_e32 v2, v22, v42
	v_mul_f32_e32 v22, v23, v25
	s_waitcnt vmcnt(3)
	v_cvt_f32_f16_e32 v25, v40
	s_waitcnt lgkmcnt(6)
	v_sub_f32_e32 v23, v24, v47
	s_waitcnt vmcnt(2)
	v_cvt_f32_f16_e32 v24, v41
	v_add_f32_e32 v17, v17, v26
	s_waitcnt lgkmcnt(5)
	v_fmac_f32_e32 v2, v22, v44
	v_mul_f32_e32 v22, v23, v26
	s_waitcnt lgkmcnt(4)
	v_sub_f32_e32 v23, v24, v49
	s_waitcnt vmcnt(1)
	v_cvt_f32_f16_e32 v20, v20
	s_waitcnt vmcnt(0)
	v_cvt_f32_f16_e32 v21, v21
	v_add_f32_e32 v17, v17, v25
	s_waitcnt lgkmcnt(3)
	v_fmac_f32_e32 v2, v22, v46
	v_mul_f32_e32 v22, v23, v25
	s_waitcnt lgkmcnt(2)
	v_sub_f32_e32 v18, v20, v18
	v_add_f32_e32 v17, v17, v21
	s_waitcnt lgkmcnt(1)
	v_fmac_f32_e32 v2, v22, v48
	v_mul_f32_e32 v18, v18, v21
	s_waitcnt lgkmcnt(0)
	v_fmac_f32_e32 v2, v18, v19
	s_cbranch_vccz .LBB91_10
.LBB91_7:                               ; =>This Inner Loop Header: Depth=1
	v_mov_b32_e32 v19, 0
	v_mov_b32_e32 v18, 0
	s_and_saveexec_b32 s1, s0
	s_cbranch_execz .LBB91_6
; %bb.8:                                ;   in Loop: Header=BB91_7 Depth=1
	v_mov_b32_e32 v18, 0
	v_mov_b32_e32 v19, 0
	s_mov_b32 s5, exec_lo
	v_cmpx_gt_i64_e64 s[20:21], v[4:5]
	s_cbranch_execz .LBB91_5
; %bb.9:                                ;   in Loop: Header=BB91_7 Depth=1
	v_add_co_u32 v18, vcc_lo, s12, v6
	v_add_co_ci_u32_e64 v19, null, s13, v7, vcc_lo
	v_add_co_u32 v20, vcc_lo, s14, v6
	v_add_co_ci_u32_e64 v21, null, s15, v7, vcc_lo
	global_load_dword v18, v[18:19], off
	global_load_dword v19, v[20:21], off
	s_branch .LBB91_5
.LBB91_10:
	v_mad_u32_u24 v3, v1, 33, v0
	v_lshrrev_b32_e32 v4, 5, v0
	s_mov_b32 s0, exec_lo
	v_lshl_add_u32 v3, v3, 2, 0
	v_add_nc_u32_e32 v1, v4, v1
	ds_write_b32 v3, v2
	ds_write_b32 v3, v17 offset:4224
	s_waitcnt lgkmcnt(0)
	s_barrier
	buffer_gl0_inv
	v_cmpx_gt_u32_e32 32, v1
	s_cbranch_execz .LBB91_16
; %bb.11:
	v_and_b32_e32 v2, 31, v0
	v_mbcnt_lo_u32_b32 v3, -1, 0
	v_mad_u32_u24 v2, v2, 33, v1
	v_xor_b32_e32 v5, 16, v3
	v_xor_b32_e32 v7, 8, v3
	v_lshl_add_u32 v2, v2, 2, 0
	v_cmp_gt_i32_e32 vcc_lo, 32, v5
	ds_read_b32 v4, v2
	ds_read_b32 v2, v2 offset:4224
	v_cndmask_b32_e32 v5, v3, v5, vcc_lo
	v_cmp_gt_i32_e32 vcc_lo, 32, v7
	v_lshlrev_b32_e32 v5, 2, v5
	v_cndmask_b32_e32 v7, v3, v7, vcc_lo
	v_lshlrev_b32_e32 v7, 2, v7
	s_waitcnt lgkmcnt(1)
	ds_bpermute_b32 v6, v5, v4
	s_waitcnt lgkmcnt(1)
	ds_bpermute_b32 v5, v5, v2
	s_waitcnt lgkmcnt(1)
	v_add_f32_e32 v4, v4, v6
	s_waitcnt lgkmcnt(0)
	v_add_f32_e32 v2, v2, v5
	ds_bpermute_b32 v5, v7, v4
	ds_bpermute_b32 v6, v7, v2
	v_xor_b32_e32 v7, 4, v3
	v_cmp_gt_i32_e32 vcc_lo, 32, v7
	v_cndmask_b32_e32 v7, v3, v7, vcc_lo
	v_lshlrev_b32_e32 v7, 2, v7
	s_waitcnt lgkmcnt(1)
	v_add_f32_e32 v4, v4, v5
	s_waitcnt lgkmcnt(0)
	v_add_f32_e32 v2, v2, v6
	ds_bpermute_b32 v5, v7, v4
	ds_bpermute_b32 v6, v7, v2
	v_xor_b32_e32 v7, 2, v3
	v_cmp_gt_i32_e32 vcc_lo, 32, v7
	v_cndmask_b32_e32 v7, v3, v7, vcc_lo
	v_lshlrev_b32_e32 v7, 2, v7
	s_waitcnt lgkmcnt(1)
	v_add_f32_e32 v4, v4, v5
	s_waitcnt lgkmcnt(0)
	v_add_f32_e32 v2, v2, v6
	ds_bpermute_b32 v5, v7, v4
	ds_bpermute_b32 v6, v7, v2
	v_xor_b32_e32 v7, 1, v3
	v_cmp_gt_i32_e32 vcc_lo, 32, v7
	v_cndmask_b32_e32 v3, v3, v7, vcc_lo
	v_cmp_eq_u32_e32 vcc_lo, 0, v0
	v_lshlrev_b32_e32 v3, 2, v3
	s_waitcnt lgkmcnt(1)
	v_add_f32_e32 v4, v4, v5
	s_waitcnt lgkmcnt(0)
	v_add_f32_e32 v2, v2, v6
	ds_bpermute_b32 v5, v3, v4
	ds_bpermute_b32 v3, v3, v2
	s_and_b32 exec_lo, exec_lo, vcc_lo
	s_cbranch_execz .LBB91_16
; %bb.12:
	s_mov_b32 s7, 0
	s_lshl_b64 s[0:1], s[6:7], 5
	s_cmp_eq_u64 s[16:17], 0
	v_or_b32_e32 v0, s0, v1
	v_mov_b32_e32 v1, s1
	v_lshlrev_b64 v[0:1], 1, v[0:1]
	s_cbranch_scc1 .LBB91_14
; %bb.13:
	s_waitcnt lgkmcnt(1)
	v_add_f32_e32 v6, v4, v5
	v_add_co_u32 v4, vcc_lo, s16, v0
	v_add_co_ci_u32_e64 v5, null, s17, v1, vcc_lo
	v_cvt_f16_f32_e32 v6, v6
	global_store_short v[4:5], v6, off
.LBB91_14:
	s_cmp_eq_u64 s[18:19], 0
	s_cbranch_scc1 .LBB91_16
; %bb.15:
	s_waitcnt lgkmcnt(0)
	v_add_f32_e32 v2, v2, v3
	v_add_co_u32 v0, vcc_lo, s18, v0
	v_add_co_ci_u32_e64 v1, null, s19, v1, vcc_lo
	v_cvt_f16_f32_e32 v2, v2
	global_store_short v[0:1], v2, off
.LBB91_16:
	s_endpgm
	.section	.rodata,"a",@progbits
	.p2align	6, 0x0
	.amdhsa_kernel _ZN2at6native12_GLOBAL__N_135GammaBetaBackwardCUDAKernelTemplateIN3c104HalfEfLj32ELj32ELj256ELb0ELb1ELb0EEEvllPKT_S7_PKT0_SA_PS5_SB_
		.amdhsa_group_segment_fixed_size 0
		.amdhsa_private_segment_fixed_size 0
		.amdhsa_kernarg_size 320
		.amdhsa_user_sgpr_count 6
		.amdhsa_user_sgpr_private_segment_buffer 1
		.amdhsa_user_sgpr_dispatch_ptr 0
		.amdhsa_user_sgpr_queue_ptr 0
		.amdhsa_user_sgpr_kernarg_segment_ptr 1
		.amdhsa_user_sgpr_dispatch_id 0
		.amdhsa_user_sgpr_flat_scratch_init 0
		.amdhsa_user_sgpr_private_segment_size 0
		.amdhsa_wavefront_size32 1
		.amdhsa_uses_dynamic_stack 0
		.amdhsa_system_sgpr_private_segment_wavefront_offset 0
		.amdhsa_system_sgpr_workgroup_id_x 1
		.amdhsa_system_sgpr_workgroup_id_y 1
		.amdhsa_system_sgpr_workgroup_id_z 0
		.amdhsa_system_sgpr_workgroup_info 0
		.amdhsa_system_vgpr_workitem_id 1
		.amdhsa_next_free_vgpr 50
		.amdhsa_next_free_sgpr 28
		.amdhsa_reserve_vcc 1
		.amdhsa_reserve_flat_scratch 0
		.amdhsa_float_round_mode_32 0
		.amdhsa_float_round_mode_16_64 0
		.amdhsa_float_denorm_mode_32 3
		.amdhsa_float_denorm_mode_16_64 3
		.amdhsa_dx10_clamp 1
		.amdhsa_ieee_mode 1
		.amdhsa_fp16_overflow 0
		.amdhsa_workgroup_processor_mode 1
		.amdhsa_memory_ordered 1
		.amdhsa_forward_progress 1
		.amdhsa_shared_vgpr_count 0
		.amdhsa_exception_fp_ieee_invalid_op 0
		.amdhsa_exception_fp_denorm_src 0
		.amdhsa_exception_fp_ieee_div_zero 0
		.amdhsa_exception_fp_ieee_overflow 0
		.amdhsa_exception_fp_ieee_underflow 0
		.amdhsa_exception_fp_ieee_inexact 0
		.amdhsa_exception_int_div_zero 0
	.end_amdhsa_kernel
	.section	.text._ZN2at6native12_GLOBAL__N_135GammaBetaBackwardCUDAKernelTemplateIN3c104HalfEfLj32ELj32ELj256ELb0ELb1ELb0EEEvllPKT_S7_PKT0_SA_PS5_SB_,"axG",@progbits,_ZN2at6native12_GLOBAL__N_135GammaBetaBackwardCUDAKernelTemplateIN3c104HalfEfLj32ELj32ELj256ELb0ELb1ELb0EEEvllPKT_S7_PKT0_SA_PS5_SB_,comdat
.Lfunc_end91:
	.size	_ZN2at6native12_GLOBAL__N_135GammaBetaBackwardCUDAKernelTemplateIN3c104HalfEfLj32ELj32ELj256ELb0ELb1ELb0EEEvllPKT_S7_PKT0_SA_PS5_SB_, .Lfunc_end91-_ZN2at6native12_GLOBAL__N_135GammaBetaBackwardCUDAKernelTemplateIN3c104HalfEfLj32ELj32ELj256ELb0ELb1ELb0EEEvllPKT_S7_PKT0_SA_PS5_SB_
                                        ; -- End function
	.set _ZN2at6native12_GLOBAL__N_135GammaBetaBackwardCUDAKernelTemplateIN3c104HalfEfLj32ELj32ELj256ELb0ELb1ELb0EEEvllPKT_S7_PKT0_SA_PS5_SB_.num_vgpr, 50
	.set _ZN2at6native12_GLOBAL__N_135GammaBetaBackwardCUDAKernelTemplateIN3c104HalfEfLj32ELj32ELj256ELb0ELb1ELb0EEEvllPKT_S7_PKT0_SA_PS5_SB_.num_agpr, 0
	.set _ZN2at6native12_GLOBAL__N_135GammaBetaBackwardCUDAKernelTemplateIN3c104HalfEfLj32ELj32ELj256ELb0ELb1ELb0EEEvllPKT_S7_PKT0_SA_PS5_SB_.numbered_sgpr, 28
	.set _ZN2at6native12_GLOBAL__N_135GammaBetaBackwardCUDAKernelTemplateIN3c104HalfEfLj32ELj32ELj256ELb0ELb1ELb0EEEvllPKT_S7_PKT0_SA_PS5_SB_.num_named_barrier, 0
	.set _ZN2at6native12_GLOBAL__N_135GammaBetaBackwardCUDAKernelTemplateIN3c104HalfEfLj32ELj32ELj256ELb0ELb1ELb0EEEvllPKT_S7_PKT0_SA_PS5_SB_.private_seg_size, 0
	.set _ZN2at6native12_GLOBAL__N_135GammaBetaBackwardCUDAKernelTemplateIN3c104HalfEfLj32ELj32ELj256ELb0ELb1ELb0EEEvllPKT_S7_PKT0_SA_PS5_SB_.uses_vcc, 1
	.set _ZN2at6native12_GLOBAL__N_135GammaBetaBackwardCUDAKernelTemplateIN3c104HalfEfLj32ELj32ELj256ELb0ELb1ELb0EEEvllPKT_S7_PKT0_SA_PS5_SB_.uses_flat_scratch, 0
	.set _ZN2at6native12_GLOBAL__N_135GammaBetaBackwardCUDAKernelTemplateIN3c104HalfEfLj32ELj32ELj256ELb0ELb1ELb0EEEvllPKT_S7_PKT0_SA_PS5_SB_.has_dyn_sized_stack, 0
	.set _ZN2at6native12_GLOBAL__N_135GammaBetaBackwardCUDAKernelTemplateIN3c104HalfEfLj32ELj32ELj256ELb0ELb1ELb0EEEvllPKT_S7_PKT0_SA_PS5_SB_.has_recursion, 0
	.set _ZN2at6native12_GLOBAL__N_135GammaBetaBackwardCUDAKernelTemplateIN3c104HalfEfLj32ELj32ELj256ELb0ELb1ELb0EEEvllPKT_S7_PKT0_SA_PS5_SB_.has_indirect_call, 0
	.section	.AMDGPU.csdata,"",@progbits
; Kernel info:
; codeLenInByte = 1796
; TotalNumSgprs: 30
; NumVgprs: 50
; ScratchSize: 0
; MemoryBound: 0
; FloatMode: 240
; IeeeMode: 1
; LDSByteSize: 0 bytes/workgroup (compile time only)
; SGPRBlocks: 0
; VGPRBlocks: 6
; NumSGPRsForWavesPerEU: 30
; NumVGPRsForWavesPerEU: 50
; Occupancy: 16
; WaveLimiterHint : 0
; COMPUTE_PGM_RSRC2:SCRATCH_EN: 0
; COMPUTE_PGM_RSRC2:USER_SGPR: 6
; COMPUTE_PGM_RSRC2:TRAP_HANDLER: 0
; COMPUTE_PGM_RSRC2:TGID_X_EN: 1
; COMPUTE_PGM_RSRC2:TGID_Y_EN: 1
; COMPUTE_PGM_RSRC2:TGID_Z_EN: 0
; COMPUTE_PGM_RSRC2:TIDIG_COMP_CNT: 1
	.section	.text._ZN2at6native12_GLOBAL__N_135GammaBetaBackwardCUDAKernelTemplateIN3c104HalfEfLj32ELj32ELj256ELb0ELb0ELb0EEEvllPKT_S7_PKT0_SA_PS5_SB_,"axG",@progbits,_ZN2at6native12_GLOBAL__N_135GammaBetaBackwardCUDAKernelTemplateIN3c104HalfEfLj32ELj32ELj256ELb0ELb0ELb0EEEvllPKT_S7_PKT0_SA_PS5_SB_,comdat
	.globl	_ZN2at6native12_GLOBAL__N_135GammaBetaBackwardCUDAKernelTemplateIN3c104HalfEfLj32ELj32ELj256ELb0ELb0ELb0EEEvllPKT_S7_PKT0_SA_PS5_SB_ ; -- Begin function _ZN2at6native12_GLOBAL__N_135GammaBetaBackwardCUDAKernelTemplateIN3c104HalfEfLj32ELj32ELj256ELb0ELb0ELb0EEEvllPKT_S7_PKT0_SA_PS5_SB_
	.p2align	8
	.type	_ZN2at6native12_GLOBAL__N_135GammaBetaBackwardCUDAKernelTemplateIN3c104HalfEfLj32ELj32ELj256ELb0ELb0ELb0EEEvllPKT_S7_PKT0_SA_PS5_SB_,@function
_ZN2at6native12_GLOBAL__N_135GammaBetaBackwardCUDAKernelTemplateIN3c104HalfEfLj32ELj32ELj256ELb0ELb0ELb0EEEvllPKT_S7_PKT0_SA_PS5_SB_: ; @_ZN2at6native12_GLOBAL__N_135GammaBetaBackwardCUDAKernelTemplateIN3c104HalfEfLj32ELj32ELj256ELb0ELb0ELb0EEEvllPKT_S7_PKT0_SA_PS5_SB_
; %bb.0:
	s_clause 0x1
	s_load_dwordx8 s[8:15], s[4:5], 0x0
	s_load_dwordx4 s[16:19], s[4:5], 0x20
	s_lshl_b32 s28, s6, 5
	s_mov_b32 s3, 0
	s_or_b32 s2, s28, 31
	s_waitcnt lgkmcnt(0)
	v_cmp_le_i64_e64 s0, s[10:11], s[2:3]
	s_lshl_b32 s2, s7, 8
	v_cmp_gt_i64_e64 s7, s[8:9], s[2:3]
	s_and_b32 vcc_lo, exec_lo, s0
	v_cndmask_b32_e64 v2, 0, 1, s7
	v_cmp_ne_u32_e64 s0, 1, v2
	s_cbranch_vccz .LBB92_49
; %bb.1:
	v_mov_b32_e32 v11, 0
	v_mov_b32_e32 v62, 0
	s_and_b32 vcc_lo, exec_lo, s0
	s_cbranch_vccnz .LBB92_50
; %bb.2:
	v_lshlrev_b32_e32 v21, 3, v1
	v_mov_b32_e32 v2, 0
	v_add_nc_u32_e32 v5, s28, v0
	s_load_dword s1, s[4:5], 0x44
	s_add_u32 s20, s4, 64
	v_add_co_u32 v11, s0, v21, s2
	v_add_co_ci_u32_e64 v12, null, 0, 0, s0
	v_mov_b32_e32 v6, v2
	v_mul_lo_u32 v7, s11, v11
	v_mad_u64_u32 v[3:4], null, s10, v11, 0
	v_mul_lo_u32 v8, s10, v12
	v_cmp_gt_i64_e64 s0, s[10:11], v[5:6]
	v_lshlrev_b64 v[19:20], 1, v[5:6]
	s_addc_u32 s21, s5, 0
	v_mov_b32_e32 v62, 0
	v_mov_b32_e32 v54, 0
	s_mov_b64 s[26:27], s[2:3]
	v_add3_u32 v4, v4, v8, v7
	v_add_co_u32 v7, vcc_lo, v11, 7
	v_add_co_ci_u32_e64 v8, null, 0, v12, vcc_lo
	v_lshlrev_b64 v[5:6], 1, v[3:4]
	v_mul_lo_u32 v13, s11, v7
	s_waitcnt lgkmcnt(0)
	s_lshl_b32 s29, s1, 8
	v_mul_lo_u32 v14, s10, v8
	v_mad_u64_u32 v[7:8], null, s10, v7, 0
	v_add_co_u32 v22, vcc_lo, s12, v5
	v_add_co_ci_u32_e64 v23, null, s13, v6, vcc_lo
	v_add_co_u32 v9, vcc_lo, v11, 6
	v_add_co_ci_u32_e64 v10, null, 0, v12, vcc_lo
	v_add_co_u32 v24, vcc_lo, s14, v5
	v_mul_lo_u32 v15, s11, v9
	v_mul_lo_u32 v16, s10, v10
	v_mad_u64_u32 v[9:10], null, s10, v9, 0
	v_add3_u32 v8, v8, v14, v13
	v_add_co_ci_u32_e64 v25, null, s15, v6, vcc_lo
	v_add_co_u32 v13, vcc_lo, v11, 5
	v_add_co_ci_u32_e64 v14, null, 0, v12, vcc_lo
	v_add3_u32 v10, v10, v16, v15
	v_lshlrev_b64 v[5:6], 1, v[7:8]
	v_mul_lo_u32 v15, s11, v13
	v_mul_lo_u32 v14, s10, v14
	s_mul_i32 s1, s11, s29
	v_lshlrev_b64 v[7:8], 1, v[9:10]
	v_mad_u64_u32 v[9:10], null, s10, v13, 0
	v_add_co_u32 v26, vcc_lo, s12, v5
	v_add_co_ci_u32_e64 v27, null, s13, v6, vcc_lo
	v_add_co_u32 v28, vcc_lo, s14, v5
	v_add_co_ci_u32_e64 v29, null, s15, v6, vcc_lo
	v_add_co_u32 v30, vcc_lo, s12, v7
	v_add3_u32 v10, v10, v14, v15
	s_mul_hi_u32 s22, s10, s29
	v_add_co_ci_u32_e64 v31, null, s13, v8, vcc_lo
	v_add_co_u32 v13, vcc_lo, v11, 4
	s_add_i32 s23, s22, s1
	v_add_co_u32 v32, s1, s14, v7
	v_add_co_ci_u32_e64 v7, null, 0, v12, vcc_lo
	v_lshlrev_b64 v[5:6], 1, v[9:10]
	v_add_co_u32 v9, vcc_lo, v11, 3
	v_add_co_ci_u32_e64 v10, null, 0, v12, vcc_lo
	v_add_co_ci_u32_e64 v33, null, s15, v8, s1
	v_mul_lo_u32 v14, s11, v13
	v_mul_lo_u32 v15, s10, v7
	v_mad_u64_u32 v[7:8], null, s10, v13, 0
	v_mul_lo_u32 v13, s11, v9
	v_mul_lo_u32 v16, s10, v10
	v_mad_u64_u32 v[9:10], null, s10, v9, 0
	v_add_co_u32 v34, vcc_lo, s12, v5
	v_add_co_ci_u32_e64 v35, null, s13, v6, vcc_lo
	v_add3_u32 v8, v8, v15, v14
	v_add_co_u32 v36, vcc_lo, s14, v5
	v_add_co_ci_u32_e64 v37, null, s15, v6, vcc_lo
	v_add_co_u32 v11, vcc_lo, v11, 2
	v_add3_u32 v10, v10, v16, v13
	v_add_co_ci_u32_e64 v12, null, 0, v12, vcc_lo
	v_lshlrev_b64 v[5:6], 1, v[7:8]
	v_mul_lo_u32 v13, s11, v11
	v_lshlrev_b64 v[7:8], 1, v[9:10]
	v_mul_lo_u32 v12, s10, v12
	v_mad_u64_u32 v[9:10], null, s10, v11, 0
	v_add_co_u32 v38, vcc_lo, s12, v5
	v_add_co_ci_u32_e64 v39, null, s13, v6, vcc_lo
	v_add_co_u32 v40, vcc_lo, s14, v5
	v_add_co_ci_u32_e64 v41, null, s15, v6, vcc_lo
	v_add_co_u32 v42, vcc_lo, s12, v7
	v_add_co_ci_u32_e64 v43, null, s13, v8, vcc_lo
	v_add3_u32 v10, v10, v12, v13
	v_add_co_u32 v44, vcc_lo, s14, v7
	v_add_co_ci_u32_e64 v45, null, s15, v8, vcc_lo
	v_add_co_u32 v3, vcc_lo, v3, s10
	v_add_co_ci_u32_e64 v4, null, s11, v4, vcc_lo
	v_lshlrev_b64 v[5:6], 1, v[9:10]
	s_mul_i32 s22, s10, s29
	v_lshlrev_b64 v[3:4], 1, v[3:4]
	s_lshl_b64 s[22:23], s[22:23], 1
	s_add_u32 s24, s2, 0xff
	v_add_co_u32 v46, vcc_lo, s12, v5
	v_add_co_ci_u32_e64 v47, null, s13, v6, vcc_lo
	v_add_co_u32 v48, vcc_lo, s14, v5
	v_add_co_ci_u32_e64 v49, null, s15, v6, vcc_lo
	;; [unrolled: 2-line block ×4, first 2 shown]
	s_addc_u32 s25, 0, 0
.LBB92_3:                               ; =>This Inner Loop Header: Depth=1
	v_cmp_ge_i64_e64 s1, s[24:25], s[8:9]
	v_add_co_u32 v55, s30, v21, s24
	v_add_co_ci_u32_e64 v56, null, 0, s25, s30
                                        ; implicit-def: $vgpr11_vgpr12_vgpr13_vgpr14_vgpr15_vgpr16_vgpr17_vgpr18
                                        ; implicit-def: $vgpr3_vgpr4_vgpr5_vgpr6_vgpr7_vgpr8_vgpr9_vgpr10
                                        ; implicit-def: $vgpr58
                                        ; implicit-def: $vgpr3
	s_and_b32 vcc_lo, exec_lo, s1
	s_mov_b32 s1, -1
                                        ; implicit-def: $vgpr11
                                        ; implicit-def: $vgpr4
	s_cbranch_vccz .LBB92_25
; %bb.4:                                ;   in Loop: Header=BB92_3 Depth=1
	s_load_dword s1, s[20:21], 0xc
	v_mov_b32_e32 v58, 0
	v_mov_b32_e32 v57, 0
	s_waitcnt lgkmcnt(0)
	s_and_b32 s1, s1, 0xffff
	v_mad_u32_u24 v3, v1, s1, v0
	s_mov_b32 s1, exec_lo
	v_and_b32_e32 v3, 31, v3
	v_cmpx_gt_u32_e32 8, v3
	s_cbranch_execz .LBB92_8
; %bb.5:                                ;   in Loop: Header=BB92_3 Depth=1
	v_add_co_u32 v3, vcc_lo, v55, v3
	v_add_co_ci_u32_e64 v4, null, 0, v56, vcc_lo
	v_mov_b32_e32 v57, 0
	v_add_co_u32 v3, vcc_lo, 0xffffff01, v3
	v_add_co_ci_u32_e64 v4, null, -1, v4, vcc_lo
	v_mov_b32_e32 v58, 0
	s_mov_b32 s30, exec_lo
	v_cmpx_gt_i64_e64 s[8:9], v[3:4]
	s_cbranch_execz .LBB92_7
; %bb.6:                                ;   in Loop: Header=BB92_3 Depth=1
	v_lshlrev_b64 v[3:4], 2, v[3:4]
	v_add_co_u32 v5, vcc_lo, s16, v3
	v_add_co_ci_u32_e64 v6, null, s17, v4, vcc_lo
	v_add_co_u32 v3, vcc_lo, s18, v3
	v_add_co_ci_u32_e64 v4, null, s19, v4, vcc_lo
	global_load_dword v57, v[5:6], off
	global_load_dword v58, v[3:4], off
.LBB92_7:                               ;   in Loop: Header=BB92_3 Depth=1
	s_or_b32 exec_lo, exec_lo, s30
.LBB92_8:                               ;   in Loop: Header=BB92_3 Depth=1
	s_or_b32 exec_lo, exec_lo, s1
	v_add_co_u32 v10, vcc_lo, 0xffffff01, v55
	v_add_co_ci_u32_e64 v11, null, -1, v56, vcc_lo
	v_mov_b32_e32 v9, v2
	v_mov_b32_e32 v3, v2
	;; [unrolled: 1-line block ×7, first 2 shown]
	v_cmp_gt_i64_e32 vcc_lo, s[8:9], v[10:11]
	v_mov_b32_e32 v18, v9
	v_mov_b32_e32 v15, v6
	;; [unrolled: 1-line block ×16, first 2 shown]
	s_and_b32 s30, s0, vcc_lo
	s_and_saveexec_b32 s1, s30
	s_cbranch_execz .LBB92_10
; %bb.9:                                ;   in Loop: Header=BB92_3 Depth=1
	v_add_co_u32 v3, vcc_lo, v22, v19
	v_add_co_ci_u32_e64 v4, null, v23, v20, vcc_lo
	v_add_co_u32 v5, vcc_lo, v24, v19
	v_add_co_ci_u32_e64 v6, null, v25, v20, vcc_lo
	global_load_ushort v3, v[3:4], off
	global_load_ushort v11, v[5:6], off
	v_mov_b32_e32 v4, v2
	v_mov_b32_e32 v5, v2
	;; [unrolled: 1-line block ×14, first 2 shown]
	s_waitcnt vmcnt(1)
	v_cvt_f32_f16_e32 v3, v3
	s_waitcnt vmcnt(0)
	v_cvt_f32_f16_e32 v11, v11
.LBB92_10:                              ;   in Loop: Header=BB92_3 Depth=1
	s_or_b32 exec_lo, exec_lo, s1
	v_add_co_u32 v59, vcc_lo, 0xffffff02, v55
	v_add_co_ci_u32_e64 v60, null, -1, v56, vcc_lo
	v_cmp_gt_i64_e32 vcc_lo, s[8:9], v[59:60]
	s_and_b32 s30, s0, vcc_lo
	s_and_saveexec_b32 s1, s30
	s_cbranch_execz .LBB92_12
; %bb.11:                               ;   in Loop: Header=BB92_3 Depth=1
	v_add_co_u32 v59, vcc_lo, v50, v19
	v_add_co_ci_u32_e64 v60, null, v51, v20, vcc_lo
	v_add_co_u32 v63, vcc_lo, v52, v19
	v_add_co_ci_u32_e64 v64, null, v53, v20, vcc_lo
	global_load_ushort v4, v[59:60], off
	global_load_ushort v12, v[63:64], off
	s_waitcnt vmcnt(1)
	v_cvt_f32_f16_e32 v4, v4
	s_waitcnt vmcnt(0)
	v_cvt_f32_f16_e32 v12, v12
.LBB92_12:                              ;   in Loop: Header=BB92_3 Depth=1
	s_or_b32 exec_lo, exec_lo, s1
	v_add_co_u32 v59, vcc_lo, 0xffffff03, v55
	v_add_co_ci_u32_e64 v60, null, -1, v56, vcc_lo
	v_cmp_gt_i64_e32 vcc_lo, s[8:9], v[59:60]
	s_and_b32 s30, s0, vcc_lo
	s_and_saveexec_b32 s1, s30
	s_cbranch_execz .LBB92_14
; %bb.13:                               ;   in Loop: Header=BB92_3 Depth=1
	v_add_co_u32 v59, vcc_lo, v46, v19
	v_add_co_ci_u32_e64 v60, null, v47, v20, vcc_lo
	v_add_co_u32 v63, vcc_lo, v48, v19
	v_add_co_ci_u32_e64 v64, null, v49, v20, vcc_lo
	global_load_ushort v5, v[59:60], off
	global_load_ushort v13, v[63:64], off
	s_waitcnt vmcnt(1)
	v_cvt_f32_f16_e32 v5, v5
	s_waitcnt vmcnt(0)
	v_cvt_f32_f16_e32 v13, v13
.LBB92_14:                              ;   in Loop: Header=BB92_3 Depth=1
	;; [unrolled: 19-line block ×7, first 2 shown]
	s_or_b32 exec_lo, exec_lo, s1
	s_waitcnt vmcnt(1)
	ds_bpermute_b32 v59, v2, v57
	ds_bpermute_b32 v60, v2, v57 offset:4
	ds_bpermute_b32 v61, v2, v57 offset:8
	s_waitcnt vmcnt(0)
	ds_bpermute_b32 v63, v2, v58
	ds_bpermute_b32 v64, v2, v57 offset:12
	ds_bpermute_b32 v65, v2, v58 offset:4
	;; [unrolled: 1-line block ×7, first 2 shown]
	s_mov_b32 s1, 0
	s_waitcnt lgkmcnt(10)
	v_sub_f32_e32 v11, v11, v59
	v_add_f32_e32 v59, v62, v3
	s_waitcnt lgkmcnt(9)
	v_sub_f32_e32 v12, v12, v60
	ds_bpermute_b32 v60, v2, v58 offset:16
	s_waitcnt lgkmcnt(9)
	v_sub_f32_e32 v13, v13, v61
	v_mul_f32_e32 v3, v3, v11
	ds_bpermute_b32 v61, v2, v58 offset:20
	v_mul_f32_e32 v12, v4, v12
	v_add_f32_e32 v4, v4, v59
	v_mul_f32_e32 v13, v5, v13
	s_waitcnt lgkmcnt(9)
	v_fma_f32 v11, v3, v63, v54
	s_waitcnt lgkmcnt(8)
	v_sub_f32_e32 v3, v14, v64
	ds_bpermute_b32 v63, v2, v58 offset:24
	v_add_f32_e32 v4, v5, v4
	ds_bpermute_b32 v58, v2, v58 offset:28
	s_waitcnt lgkmcnt(9)
	v_fmac_f32_e32 v11, v12, v65
	s_waitcnt lgkmcnt(8)
	v_sub_f32_e32 v12, v15, v66
	v_mul_f32_e32 v14, v6, v3
	ds_bpermute_b32 v3, v2, v57 offset:28
	s_waitcnt lgkmcnt(6)
	v_sub_f32_e32 v5, v16, v69
	v_fmac_f32_e32 v11, v13, v67
	v_mul_f32_e32 v12, v7, v12
	v_add_f32_e32 v4, v6, v4
	s_waitcnt lgkmcnt(5)
	v_sub_f32_e32 v6, v17, v70
	v_mul_f32_e32 v5, v8, v5
	v_fmac_f32_e32 v11, v14, v68
	v_add_f32_e32 v4, v7, v4
	v_mul_f32_e32 v6, v9, v6
	s_waitcnt lgkmcnt(4)
	v_fmac_f32_e32 v11, v12, v60
	v_add_f32_e32 v4, v8, v4
	s_waitcnt lgkmcnt(3)
	v_fmac_f32_e32 v11, v5, v61
	v_add_f32_e32 v4, v9, v4
	s_waitcnt lgkmcnt(2)
	v_fmac_f32_e32 v11, v6, v63
.LBB92_25:                              ;   in Loop: Header=BB92_3 Depth=1
	s_and_b32 vcc_lo, exec_lo, s1
	s_cbranch_vccz .LBB92_40
; %bb.26:                               ;   in Loop: Header=BB92_3 Depth=1
	s_load_dword s1, s[20:21], 0x0
	s_waitcnt lgkmcnt(0)
	v_mov_b32_e32 v58, 0
	v_mov_b32_e32 v57, 0
	s_cmp_lt_u32 s6, s1
	s_cselect_b32 s1, 12, 18
	s_add_u32 s30, s20, s1
	s_addc_u32 s31, s21, 0
	s_mov_b32 s1, exec_lo
	global_load_ushort v3, v2, s[30:31]
	s_waitcnt vmcnt(0)
	v_mad_u32_u24 v3, v1, v3, v0
	v_and_b32_e32 v3, 31, v3
	v_cmpx_gt_u32_e32 8, v3
	s_cbranch_execz .LBB92_30
; %bb.27:                               ;   in Loop: Header=BB92_3 Depth=1
	v_add_co_u32 v3, vcc_lo, v55, v3
	v_add_co_ci_u32_e64 v4, null, 0, v56, vcc_lo
	v_mov_b32_e32 v57, 0
	v_add_co_u32 v3, vcc_lo, 0xffffff01, v3
	v_add_co_ci_u32_e64 v4, null, -1, v4, vcc_lo
	v_mov_b32_e32 v58, 0
	s_mov_b32 s30, exec_lo
	v_cmpx_gt_i64_e64 s[8:9], v[3:4]
	s_cbranch_execz .LBB92_29
; %bb.28:                               ;   in Loop: Header=BB92_3 Depth=1
	v_lshlrev_b64 v[3:4], 2, v[3:4]
	v_add_co_u32 v5, vcc_lo, s16, v3
	v_add_co_ci_u32_e64 v6, null, s17, v4, vcc_lo
	v_add_co_u32 v3, vcc_lo, s18, v3
	v_add_co_ci_u32_e64 v4, null, s19, v4, vcc_lo
	global_load_dword v57, v[5:6], off
	global_load_dword v58, v[3:4], off
.LBB92_29:                              ;   in Loop: Header=BB92_3 Depth=1
	s_or_b32 exec_lo, exec_lo, s30
.LBB92_30:                              ;   in Loop: Header=BB92_3 Depth=1
	s_or_b32 exec_lo, exec_lo, s1
	v_mov_b32_e32 v9, v2
	v_mov_b32_e32 v3, v2
	;; [unrolled: 1-line block ×23, first 2 shown]
	s_and_saveexec_b32 s1, s0
	s_cbranch_execnz .LBB92_42
; %bb.31:                               ;   in Loop: Header=BB92_3 Depth=1
	s_or_b32 exec_lo, exec_lo, s1
	s_and_saveexec_b32 s1, s0
	s_cbranch_execnz .LBB92_43
.LBB92_32:                              ;   in Loop: Header=BB92_3 Depth=1
	s_or_b32 exec_lo, exec_lo, s1
	s_and_saveexec_b32 s1, s0
	s_cbranch_execnz .LBB92_44
.LBB92_33:                              ;   in Loop: Header=BB92_3 Depth=1
	s_or_b32 exec_lo, exec_lo, s1
	s_and_saveexec_b32 s1, s0
	s_cbranch_execnz .LBB92_45
.LBB92_34:                              ;   in Loop: Header=BB92_3 Depth=1
	s_or_b32 exec_lo, exec_lo, s1
	s_and_saveexec_b32 s1, s0
	s_cbranch_execnz .LBB92_46
.LBB92_35:                              ;   in Loop: Header=BB92_3 Depth=1
	s_or_b32 exec_lo, exec_lo, s1
	s_and_saveexec_b32 s1, s0
	s_cbranch_execnz .LBB92_47
.LBB92_36:                              ;   in Loop: Header=BB92_3 Depth=1
	s_or_b32 exec_lo, exec_lo, s1
	s_and_saveexec_b32 s1, s0
	s_cbranch_execnz .LBB92_48
.LBB92_37:                              ;   in Loop: Header=BB92_3 Depth=1
	s_or_b32 exec_lo, exec_lo, s1
	s_and_saveexec_b32 s1, s0
	s_cbranch_execz .LBB92_39
.LBB92_38:                              ;   in Loop: Header=BB92_3 Depth=1
	v_add_co_u32 v55, vcc_lo, v26, v19
	v_add_co_ci_u32_e64 v56, null, v27, v20, vcc_lo
	v_add_co_u32 v59, vcc_lo, v28, v19
	v_add_co_ci_u32_e64 v60, null, v29, v20, vcc_lo
	global_load_ushort v10, v[55:56], off
	global_load_ushort v18, v[59:60], off
	s_waitcnt vmcnt(1)
	v_cvt_f32_f16_e32 v10, v10
	s_waitcnt vmcnt(0)
	v_cvt_f32_f16_e32 v18, v18
.LBB92_39:                              ;   in Loop: Header=BB92_3 Depth=1
	s_or_b32 exec_lo, exec_lo, s1
	s_waitcnt vmcnt(1)
	ds_bpermute_b32 v55, v2, v57
	ds_bpermute_b32 v56, v2, v57 offset:4
	ds_bpermute_b32 v59, v2, v57 offset:8
	s_waitcnt vmcnt(0)
	ds_bpermute_b32 v60, v2, v58
	ds_bpermute_b32 v61, v2, v57 offset:12
	ds_bpermute_b32 v63, v2, v58 offset:4
	;; [unrolled: 1-line block ×5, first 2 shown]
	s_waitcnt lgkmcnt(8)
	v_sub_f32_e32 v11, v11, v55
	ds_bpermute_b32 v55, v2, v58 offset:12
	s_waitcnt lgkmcnt(8)
	v_sub_f32_e32 v12, v12, v56
	ds_bpermute_b32 v56, v2, v58 offset:16
	s_waitcnt lgkmcnt(8)
	v_sub_f32_e32 v13, v13, v59
	v_mul_f32_e32 v11, v3, v11
	v_add_f32_e32 v3, v62, v3
	v_mul_f32_e32 v12, v4, v12
	ds_bpermute_b32 v59, v2, v58 offset:20
	s_waitcnt lgkmcnt(7)
	v_sub_f32_e32 v14, v14, v61
	v_fmac_f32_e32 v54, v11, v60
	ds_bpermute_b32 v11, v2, v57 offset:24
	v_mul_f32_e32 v13, v5, v13
	v_add_f32_e32 v3, v4, v3
	s_waitcnt lgkmcnt(6)
	v_sub_f32_e32 v4, v15, v64
	v_fmac_f32_e32 v54, v12, v63
	v_mul_f32_e32 v12, v6, v14
	s_waitcnt lgkmcnt(4)
	v_sub_f32_e32 v14, v16, v66
	v_add_f32_e32 v5, v5, v3
	v_mul_f32_e32 v4, v7, v4
	v_fmac_f32_e32 v54, v13, v65
	ds_bpermute_b32 v13, v2, v58 offset:24
	ds_bpermute_b32 v58, v2, v58 offset:28
	;; [unrolled: 1-line block ×3, first 2 shown]
	v_add_f32_e32 v5, v6, v5
	s_waitcnt lgkmcnt(6)
	v_fmac_f32_e32 v54, v12, v55
	v_mul_f32_e32 v6, v8, v14
	v_add_f32_e32 v5, v7, v5
	s_waitcnt lgkmcnt(5)
	v_fmac_f32_e32 v54, v4, v56
	s_waitcnt lgkmcnt(3)
	v_sub_f32_e32 v4, v17, v11
	v_add_f32_e32 v5, v8, v5
	v_fmac_f32_e32 v54, v6, v59
	v_mul_f32_e32 v4, v9, v4
	s_waitcnt lgkmcnt(2)
	v_fmac_f32_e32 v54, v4, v13
	v_add_f32_e32 v4, v9, v5
	v_mov_b32_e32 v11, v54
.LBB92_40:                              ;   in Loop: Header=BB92_3 Depth=1
	v_add_co_u32 v22, vcc_lo, v22, s22
	v_add_co_ci_u32_e64 v23, null, s23, v23, vcc_lo
	v_add_co_u32 v24, vcc_lo, v24, s22
	v_add_co_ci_u32_e64 v25, null, s23, v25, vcc_lo
	v_add_co_u32 v26, vcc_lo, v26, s22
	v_add_co_ci_u32_e64 v27, null, s23, v27, vcc_lo
	v_add_co_u32 v28, vcc_lo, v28, s22
	v_add_co_ci_u32_e64 v29, null, s23, v29, vcc_lo
	v_add_co_u32 v30, vcc_lo, v30, s22
	v_add_co_ci_u32_e64 v31, null, s23, v31, vcc_lo
	v_add_co_u32 v32, vcc_lo, v32, s22
	v_add_co_ci_u32_e64 v33, null, s23, v33, vcc_lo
	v_add_co_u32 v34, vcc_lo, v34, s22
	v_add_co_ci_u32_e64 v35, null, s23, v35, vcc_lo
	v_add_co_u32 v36, vcc_lo, v36, s22
	v_add_co_ci_u32_e64 v37, null, s23, v37, vcc_lo
	v_add_co_u32 v38, vcc_lo, v38, s22
	v_add_co_ci_u32_e64 v39, null, s23, v39, vcc_lo
	v_add_co_u32 v40, vcc_lo, v40, s22
	v_add_co_ci_u32_e64 v41, null, s23, v41, vcc_lo
	v_add_co_u32 v42, vcc_lo, v42, s22
	s_waitcnt lgkmcnt(0)
	v_sub_f32_e32 v3, v18, v3
	v_add_co_ci_u32_e64 v43, null, s23, v43, vcc_lo
	v_add_co_u32 v44, vcc_lo, v44, s22
	v_add_co_ci_u32_e64 v45, null, s23, v45, vcc_lo
	v_add_co_u32 v46, vcc_lo, v46, s22
	s_add_u32 s26, s26, s29
	v_add_co_ci_u32_e64 v47, null, s23, v47, vcc_lo
	v_add_co_u32 v48, vcc_lo, v48, s22
	v_mul_f32_e32 v3, v10, v3
	s_addc_u32 s27, s27, 0
	v_add_co_ci_u32_e64 v49, null, s23, v49, vcc_lo
	v_add_co_u32 v50, vcc_lo, v50, s22
	v_cmp_lt_i64_e64 s1, s[26:27], s[8:9]
	v_add_co_ci_u32_e64 v51, null, s23, v51, vcc_lo
	v_add_co_u32 v52, vcc_lo, v52, s22
	v_add_f32_e32 v62, v4, v10
	v_fmac_f32_e32 v11, v3, v58
	v_add_co_ci_u32_e64 v53, null, s23, v53, vcc_lo
	s_add_u32 s24, s24, s29
	s_addc_u32 s25, s25, 0
	s_and_b32 vcc_lo, exec_lo, s1
	s_cbranch_vccz .LBB92_50
; %bb.41:                               ;   in Loop: Header=BB92_3 Depth=1
	v_mov_b32_e32 v54, v11
	s_branch .LBB92_3
.LBB92_42:                              ;   in Loop: Header=BB92_3 Depth=1
	v_add_co_u32 v3, vcc_lo, v22, v19
	v_add_co_ci_u32_e64 v4, null, v23, v20, vcc_lo
	v_add_co_u32 v5, vcc_lo, v24, v19
	v_add_co_ci_u32_e64 v6, null, v25, v20, vcc_lo
	global_load_ushort v3, v[3:4], off
	global_load_ushort v11, v[5:6], off
	v_mov_b32_e32 v4, v2
	v_mov_b32_e32 v5, v2
	;; [unrolled: 1-line block ×14, first 2 shown]
	s_waitcnt vmcnt(1)
	v_cvt_f32_f16_e32 v3, v3
	s_waitcnt vmcnt(0)
	v_cvt_f32_f16_e32 v11, v11
	s_or_b32 exec_lo, exec_lo, s1
	s_and_saveexec_b32 s1, s0
	s_cbranch_execz .LBB92_32
.LBB92_43:                              ;   in Loop: Header=BB92_3 Depth=1
	v_add_co_u32 v55, vcc_lo, v50, v19
	v_add_co_ci_u32_e64 v56, null, v51, v20, vcc_lo
	v_add_co_u32 v59, vcc_lo, v52, v19
	v_add_co_ci_u32_e64 v60, null, v53, v20, vcc_lo
	global_load_ushort v4, v[55:56], off
	global_load_ushort v12, v[59:60], off
	s_waitcnt vmcnt(1)
	v_cvt_f32_f16_e32 v4, v4
	s_waitcnt vmcnt(0)
	v_cvt_f32_f16_e32 v12, v12
	s_or_b32 exec_lo, exec_lo, s1
	s_and_saveexec_b32 s1, s0
	s_cbranch_execz .LBB92_33
.LBB92_44:                              ;   in Loop: Header=BB92_3 Depth=1
	v_add_co_u32 v55, vcc_lo, v46, v19
	v_add_co_ci_u32_e64 v56, null, v47, v20, vcc_lo
	v_add_co_u32 v59, vcc_lo, v48, v19
	v_add_co_ci_u32_e64 v60, null, v49, v20, vcc_lo
	global_load_ushort v5, v[55:56], off
	global_load_ushort v13, v[59:60], off
	s_waitcnt vmcnt(1)
	v_cvt_f32_f16_e32 v5, v5
	s_waitcnt vmcnt(0)
	v_cvt_f32_f16_e32 v13, v13
	s_or_b32 exec_lo, exec_lo, s1
	s_and_saveexec_b32 s1, s0
	s_cbranch_execz .LBB92_34
.LBB92_45:                              ;   in Loop: Header=BB92_3 Depth=1
	v_add_co_u32 v55, vcc_lo, v42, v19
	v_add_co_ci_u32_e64 v56, null, v43, v20, vcc_lo
	v_add_co_u32 v59, vcc_lo, v44, v19
	v_add_co_ci_u32_e64 v60, null, v45, v20, vcc_lo
	global_load_ushort v6, v[55:56], off
	global_load_ushort v14, v[59:60], off
	s_waitcnt vmcnt(1)
	v_cvt_f32_f16_e32 v6, v6
	s_waitcnt vmcnt(0)
	v_cvt_f32_f16_e32 v14, v14
	s_or_b32 exec_lo, exec_lo, s1
	s_and_saveexec_b32 s1, s0
	s_cbranch_execz .LBB92_35
.LBB92_46:                              ;   in Loop: Header=BB92_3 Depth=1
	v_add_co_u32 v55, vcc_lo, v38, v19
	v_add_co_ci_u32_e64 v56, null, v39, v20, vcc_lo
	v_add_co_u32 v59, vcc_lo, v40, v19
	v_add_co_ci_u32_e64 v60, null, v41, v20, vcc_lo
	global_load_ushort v7, v[55:56], off
	global_load_ushort v15, v[59:60], off
	s_waitcnt vmcnt(1)
	v_cvt_f32_f16_e32 v7, v7
	s_waitcnt vmcnt(0)
	v_cvt_f32_f16_e32 v15, v15
	s_or_b32 exec_lo, exec_lo, s1
	s_and_saveexec_b32 s1, s0
	s_cbranch_execz .LBB92_36
.LBB92_47:                              ;   in Loop: Header=BB92_3 Depth=1
	v_add_co_u32 v55, vcc_lo, v34, v19
	v_add_co_ci_u32_e64 v56, null, v35, v20, vcc_lo
	v_add_co_u32 v59, vcc_lo, v36, v19
	v_add_co_ci_u32_e64 v60, null, v37, v20, vcc_lo
	global_load_ushort v8, v[55:56], off
	global_load_ushort v16, v[59:60], off
	s_waitcnt vmcnt(1)
	v_cvt_f32_f16_e32 v8, v8
	s_waitcnt vmcnt(0)
	v_cvt_f32_f16_e32 v16, v16
	s_or_b32 exec_lo, exec_lo, s1
	s_and_saveexec_b32 s1, s0
	s_cbranch_execz .LBB92_37
.LBB92_48:                              ;   in Loop: Header=BB92_3 Depth=1
	v_add_co_u32 v55, vcc_lo, v30, v19
	v_add_co_ci_u32_e64 v56, null, v31, v20, vcc_lo
	v_add_co_u32 v59, vcc_lo, v32, v19
	v_add_co_ci_u32_e64 v60, null, v33, v20, vcc_lo
	global_load_ushort v9, v[55:56], off
	global_load_ushort v17, v[59:60], off
	s_waitcnt vmcnt(1)
	v_cvt_f32_f16_e32 v9, v9
	s_waitcnt vmcnt(0)
	v_cvt_f32_f16_e32 v17, v17
	s_or_b32 exec_lo, exec_lo, s1
	s_and_saveexec_b32 s1, s0
	s_cbranch_execnz .LBB92_38
	s_branch .LBB92_39
.LBB92_49:
                                        ; implicit-def: $vgpr11
                                        ; implicit-def: $vgpr62
	s_branch .LBB92_51
.LBB92_50:
	s_cbranch_execnz .LBB92_83
.LBB92_51:
	v_mov_b32_e32 v11, 0
	v_mov_b32_e32 v62, 0
	s_andn2_b32 vcc_lo, exec_lo, s7
	s_cbranch_vccnz .LBB92_83
; %bb.52:
	s_load_dword s0, s[4:5], 0x44
	v_lshlrev_b32_e32 v49, 3, v1
	s_add_u32 s20, s4, 64
	s_addc_u32 s21, s5, 0
	v_lshlrev_b32_e32 v8, 4, v1
	v_mov_b32_e32 v84, 0
	v_add_co_u32 v4, s1, v49, s2
	v_add_co_ci_u32_e64 v5, null, 0, 0, s1
	v_mov_b32_e32 v83, 0
	v_mul_lo_u32 v6, s11, v4
	v_mad_u64_u32 v[2:3], null, s10, v4, 0
	v_mul_lo_u32 v7, s10, v5
	s_waitcnt lgkmcnt(0)
	s_lshl_b32 s1, s0, 8
	v_add3_u32 v3, v3, v7, v6
	s_mul_i32 s0, s11, s1
	s_mul_hi_u32 s7, s10, s1
	s_mul_i32 s22, s10, s1
	s_add_i32 s23, s7, s0
	v_lshlrev_b64 v[6:7], 1, v[2:3]
	s_lshl_b64 s[22:23], s[22:23], 1
	s_add_u32 s24, s2, 0xff
	s_addc_u32 s25, 0, 0
	s_lshl_b64 s[26:27], s[2:3], 1
	v_add_co_u32 v8, s0, v8, s26
	v_add_co_ci_u32_e64 v9, null, 0, s27, s0
	v_add_co_u32 v10, vcc_lo, v8, 2
	v_add_co_ci_u32_e64 v11, null, 0, v9, vcc_lo
	v_add_co_u32 v50, vcc_lo, s12, v6
	v_add_co_ci_u32_e64 v51, null, s13, v7, vcc_lo
	;; [unrolled: 2-line block ×6, first 2 shown]
	v_add_co_u32 v41, vcc_lo, v8, 10
	v_mad_u64_u32 v[21:22], null, s10, v6, s[12:13]
	v_mul_lo_u32 v7, s10, v7
	v_mul_lo_u32 v15, s11, v6
	v_mad_u64_u32 v[35:36], null, s10, v6, s[14:15]
	v_add_co_ci_u32_e64 v29, null, 0, v9, vcc_lo
	v_add_co_u32 v43, vcc_lo, v8, 12
	v_add_co_ci_u32_e64 v31, null, 0, v9, vcc_lo
	v_add_co_u32 v8, vcc_lo, v8, 14
	v_mad_u64_u32 v[19:20], null, s10, v10, s[12:13]
	v_mul_lo_u32 v11, s10, v11
	v_mul_lo_u32 v12, s11, v10
	v_mad_u64_u32 v[33:34], null, s10, v10, s[14:15]
	v_add_co_ci_u32_e64 v9, null, 0, v9, vcc_lo
	v_add_co_u32 v6, vcc_lo, v4, 7
	v_add3_u32 v22, v15, v22, v7
	v_add3_u32 v36, v15, v36, v7
	v_add_co_ci_u32_e64 v7, null, 0, v5, vcc_lo
	v_mul_lo_u32 v57, s10, v9
	v_add_co_u32 v9, vcc_lo, v4, 6
	v_add3_u32 v20, v12, v20, v11
	v_add3_u32 v34, v12, v34, v11
	v_add_co_ci_u32_e64 v12, null, 0, v5, vcc_lo
	v_mul_lo_u32 v10, s11, v6
	v_mul_lo_u32 v11, s10, v7
	v_mad_u64_u32 v[6:7], null, s10, v6, 0
	v_mad_u64_u32 v[23:24], null, s10, v13, s[12:13]
	v_mul_lo_u32 v17, s11, v13
	v_mul_lo_u32 v55, s10, v31
	v_mad_u64_u32 v[31:32], null, s10, v8, s[12:13]
	v_mul_lo_u32 v58, s11, v8
	v_mad_u64_u32 v[37:38], null, s10, v13, s[14:15]
	v_mad_u64_u32 v[45:46], null, s10, v8, s[14:15]
	v_mul_lo_u32 v13, s11, v9
	v_mul_lo_u32 v12, s10, v12
	v_mad_u64_u32 v[8:9], null, s10, v9, 0
	v_add3_u32 v7, v7, v11, v10
	v_add_co_u32 v10, vcc_lo, v4, 5
	v_mad_u64_u32 v[27:28], null, s10, v41, s[12:13]
	v_mul_lo_u32 v48, s10, v29
	v_mul_lo_u32 v54, s11, v41
	v_mad_u64_u32 v[41:42], null, s10, v41, s[14:15]
	v_add3_u32 v9, v9, v12, v13
	v_add_co_ci_u32_e64 v11, null, 0, v5, vcc_lo
	v_mad_u64_u32 v[29:30], null, s10, v43, s[12:13]
	v_mul_lo_u32 v56, s11, v43
	v_mad_u64_u32 v[43:44], null, s10, v43, s[14:15]
	v_lshlrev_b64 v[6:7], 1, v[6:7]
	v_lshlrev_b64 v[8:9], 1, v[8:9]
	v_mul_lo_u32 v12, s11, v10
	v_mul_lo_u32 v13, s10, v11
	v_mad_u64_u32 v[10:11], null, s10, v10, 0
	v_add3_u32 v28, v54, v28, v48
	v_add3_u32 v42, v54, v42, v48
	v_add_co_u32 v54, vcc_lo, s12, v6
	v_add3_u32 v30, v56, v30, v55
	v_add3_u32 v44, v56, v44, v55
	v_add_co_ci_u32_e64 v55, null, s13, v7, vcc_lo
	v_add_co_u32 v56, vcc_lo, s14, v6
	v_add3_u32 v32, v58, v32, v57
	v_add3_u32 v46, v58, v46, v57
	v_add_co_ci_u32_e64 v57, null, s15, v7, vcc_lo
	v_add_co_u32 v58, vcc_lo, s12, v8
	v_add_co_ci_u32_e64 v59, null, s13, v9, vcc_lo
	v_add3_u32 v11, v11, v13, v12
	v_add_co_u32 v12, vcc_lo, v4, 4
	v_add_co_ci_u32_e64 v13, null, 0, v5, vcc_lo
	v_add_co_u32 v60, vcc_lo, s14, v8
	v_mul_lo_u32 v14, s10, v14
	v_add_co_ci_u32_e64 v61, null, s15, v9, vcc_lo
	v_lshlrev_b64 v[6:7], 1, v[10:11]
	v_mul_lo_u32 v10, s11, v12
	v_mul_lo_u32 v11, s10, v13
	v_mad_u64_u32 v[8:9], null, s10, v12, 0
	v_add_co_u32 v12, vcc_lo, v4, 3
	v_add_co_ci_u32_e64 v13, null, 0, v5, vcc_lo
	v_add_co_u32 v63, vcc_lo, s12, v6
	v_add3_u32 v24, v17, v24, v14
	v_add3_u32 v38, v17, v38, v14
	v_add_co_ci_u32_e64 v64, null, s13, v7, vcc_lo
	v_add3_u32 v9, v9, v11, v10
	v_mul_lo_u32 v14, s11, v12
	v_mad_u64_u32 v[10:11], null, s10, v12, 0
	v_add_co_u32 v12, vcc_lo, v4, 2
	v_mul_lo_u32 v13, s10, v13
	v_add_co_ci_u32_e64 v15, null, 0, v5, vcc_lo
	v_add_co_u32 v65, vcc_lo, s14, v6
	v_lshlrev_b64 v[4:5], 1, v[8:9]
	v_add_co_ci_u32_e64 v66, null, s15, v7, vcc_lo
	v_mul_lo_u32 v8, s11, v12
	v_mul_lo_u32 v9, s10, v15
	v_mad_u64_u32 v[6:7], null, s10, v12, 0
	v_add3_u32 v11, v11, v13, v14
	v_add_co_u32 v67, vcc_lo, s12, v4
	v_add_co_ci_u32_e64 v68, null, s13, v5, vcc_lo
	v_add_co_u32 v69, vcc_lo, s14, v4
	v_add_co_ci_u32_e64 v70, null, s15, v5, vcc_lo
	v_lshlrev_b64 v[4:5], 1, v[10:11]
	v_add3_u32 v7, v7, v9, v8
	v_add_co_u32 v2, vcc_lo, v2, s10
	v_add_co_ci_u32_e64 v3, null, s11, v3, vcc_lo
	v_lshlrev_b64 v[6:7], 1, v[6:7]
	v_add_co_u32 v71, vcc_lo, s12, v4
	v_add_co_ci_u32_e64 v72, null, s13, v5, vcc_lo
	v_add_co_u32 v73, vcc_lo, s14, v4
	v_lshlrev_b64 v[3:4], 1, v[2:3]
	v_mov_b32_e32 v2, 0
	v_mad_u64_u32 v[25:26], null, s10, v16, s[12:13]
	v_mul_lo_u32 v18, s10, v18
	v_mul_lo_u32 v47, s11, v16
	v_mad_u64_u32 v[39:40], null, s10, v16, s[14:15]
	v_add_co_ci_u32_e64 v74, null, s15, v5, vcc_lo
	v_add_co_u32 v75, vcc_lo, s12, v6
	v_add_co_ci_u32_e64 v76, null, s13, v7, vcc_lo
	v_add_co_u32 v77, vcc_lo, s14, v6
	v_add_nc_u32_e32 v5, s28, v0
	v_mov_b32_e32 v6, v2
	v_add_co_ci_u32_e64 v78, null, s15, v7, vcc_lo
	v_add_co_u32 v79, vcc_lo, s12, v3
	v_add_co_ci_u32_e64 v80, null, s13, v4, vcc_lo
	v_add_co_u32 v81, vcc_lo, s14, v3
	v_add3_u32 v26, v47, v26, v18
	v_add3_u32 v40, v47, v40, v18
	v_lshlrev_b64 v[47:48], 1, v[5:6]
	v_add_co_ci_u32_e64 v82, null, s15, v4, vcc_lo
.LBB92_53:                              ; =>This Inner Loop Header: Depth=1
	v_cmp_ge_i64_e64 s0, s[24:25], s[8:9]
	v_add_co_u32 v85, s7, v49, s24
	v_add_co_ci_u32_e64 v86, null, 0, s25, s7
                                        ; implicit-def: $vgpr62
                                        ; implicit-def: $vgpr11
	s_and_b32 vcc_lo, exec_lo, s0
	s_mov_b32 s0, -1
	s_cbranch_vccz .LBB92_75
; %bb.54:                               ;   in Loop: Header=BB92_53 Depth=1
	s_load_dword s0, s[20:21], 0xc
	v_mov_b32_e32 v87, 0
	v_mov_b32_e32 v62, 0
	s_waitcnt lgkmcnt(0)
	s_and_b32 s0, s0, 0xffff
	v_mad_u32_u24 v3, v1, s0, v0
	s_mov_b32 s0, exec_lo
	v_and_b32_e32 v3, 31, v3
	v_cmpx_gt_u32_e32 8, v3
	s_cbranch_execz .LBB92_58
; %bb.55:                               ;   in Loop: Header=BB92_53 Depth=1
	v_add_co_u32 v3, vcc_lo, v85, v3
	v_add_co_ci_u32_e64 v4, null, 0, v86, vcc_lo
	v_mov_b32_e32 v62, 0
	v_add_co_u32 v3, vcc_lo, 0xffffff01, v3
	v_add_co_ci_u32_e64 v4, null, -1, v4, vcc_lo
	v_mov_b32_e32 v87, 0
	s_mov_b32 s7, exec_lo
	v_cmpx_gt_i64_e64 s[8:9], v[3:4]
	s_cbranch_execz .LBB92_57
; %bb.56:                               ;   in Loop: Header=BB92_53 Depth=1
	v_lshlrev_b64 v[3:4], 2, v[3:4]
	v_add_co_u32 v5, vcc_lo, s16, v3
	v_add_co_ci_u32_e64 v6, null, s17, v4, vcc_lo
	v_add_co_u32 v3, vcc_lo, s18, v3
	v_add_co_ci_u32_e64 v4, null, s19, v4, vcc_lo
	global_load_dword v62, v[5:6], off
	global_load_dword v87, v[3:4], off
.LBB92_57:                              ;   in Loop: Header=BB92_53 Depth=1
	s_or_b32 exec_lo, exec_lo, s7
.LBB92_58:                              ;   in Loop: Header=BB92_53 Depth=1
	s_or_b32 exec_lo, exec_lo, s0
	v_add_co_u32 v10, vcc_lo, 0xffffff01, v85
	v_add_co_ci_u32_e64 v11, null, -1, v86, vcc_lo
	v_mov_b32_e32 v9, v2
	v_mov_b32_e32 v3, v2
	;; [unrolled: 1-line block ×7, first 2 shown]
	v_cmp_gt_i64_e32 vcc_lo, s[8:9], v[10:11]
	v_mov_b32_e32 v18, v9
	v_mov_b32_e32 v15, v6
	;; [unrolled: 1-line block ×16, first 2 shown]
	s_and_saveexec_b32 s0, vcc_lo
	s_cbranch_execz .LBB92_60
; %bb.59:                               ;   in Loop: Header=BB92_53 Depth=1
	v_add_co_u32 v3, vcc_lo, v50, v47
	v_add_co_ci_u32_e64 v4, null, v51, v48, vcc_lo
	v_add_co_u32 v5, vcc_lo, v52, v47
	v_add_co_ci_u32_e64 v6, null, v53, v48, vcc_lo
	global_load_ushort v3, v[3:4], off
	global_load_ushort v11, v[5:6], off
	v_mov_b32_e32 v4, v2
	v_mov_b32_e32 v5, v2
	;; [unrolled: 1-line block ×14, first 2 shown]
	s_waitcnt vmcnt(1)
	v_cvt_f32_f16_e32 v3, v3
	s_waitcnt vmcnt(0)
	v_cvt_f32_f16_e32 v11, v11
.LBB92_60:                              ;   in Loop: Header=BB92_53 Depth=1
	s_or_b32 exec_lo, exec_lo, s0
	v_add_co_u32 v88, vcc_lo, 0xffffff02, v85
	v_add_co_ci_u32_e64 v89, null, -1, v86, vcc_lo
	s_mov_b32 s0, exec_lo
	v_cmpx_gt_i64_e64 s[8:9], v[88:89]
	s_cbranch_execz .LBB92_62
; %bb.61:                               ;   in Loop: Header=BB92_53 Depth=1
	v_add_co_u32 v88, vcc_lo, v79, v47
	v_add_co_ci_u32_e64 v89, null, v80, v48, vcc_lo
	v_add_co_u32 v90, vcc_lo, v81, v47
	v_add_co_ci_u32_e64 v91, null, v82, v48, vcc_lo
	global_load_ushort v4, v[88:89], off
	global_load_ushort v12, v[90:91], off
	s_waitcnt vmcnt(1)
	v_cvt_f32_f16_e32 v4, v4
	s_waitcnt vmcnt(0)
	v_cvt_f32_f16_e32 v12, v12
.LBB92_62:                              ;   in Loop: Header=BB92_53 Depth=1
	s_or_b32 exec_lo, exec_lo, s0
	v_add_co_u32 v88, vcc_lo, 0xffffff03, v85
	v_add_co_ci_u32_e64 v89, null, -1, v86, vcc_lo
	s_mov_b32 s0, exec_lo
	v_cmpx_gt_i64_e64 s[8:9], v[88:89]
	s_cbranch_execz .LBB92_64
; %bb.63:                               ;   in Loop: Header=BB92_53 Depth=1
	v_add_co_u32 v88, vcc_lo, v75, v47
	v_add_co_ci_u32_e64 v89, null, v76, v48, vcc_lo
	v_add_co_u32 v90, vcc_lo, v77, v47
	v_add_co_ci_u32_e64 v91, null, v78, v48, vcc_lo
	global_load_ushort v5, v[88:89], off
	global_load_ushort v13, v[90:91], off
	s_waitcnt vmcnt(1)
	v_cvt_f32_f16_e32 v5, v5
	s_waitcnt vmcnt(0)
	v_cvt_f32_f16_e32 v13, v13
.LBB92_64:                              ;   in Loop: Header=BB92_53 Depth=1
	;; [unrolled: 18-line block ×7, first 2 shown]
	s_or_b32 exec_lo, exec_lo, s0
	s_waitcnt vmcnt(1)
	ds_bpermute_b32 v89, v2, v62
	s_waitcnt vmcnt(0)
	ds_bpermute_b32 v88, v2, v87
	s_mov_b32 s0, 0
	s_waitcnt lgkmcnt(1)
	v_sub_f32_e32 v11, v11, v89
	ds_bpermute_b32 v89, v2, v62 offset:4
	v_mul_f32_e32 v11, v3, v11
	v_add_f32_e32 v3, v84, v3
	s_waitcnt lgkmcnt(1)
	v_fma_f32 v11, v11, v88, v83
	ds_bpermute_b32 v88, v2, v87 offset:4
	v_add_f32_e32 v3, v4, v3
	v_add_f32_e32 v3, v5, v3
	s_waitcnt lgkmcnt(1)
	v_sub_f32_e32 v12, v12, v89
	v_add_f32_e32 v3, v6, v3
	v_mul_f32_e32 v12, v4, v12
	ds_bpermute_b32 v4, v2, v87 offset:8
	v_add_f32_e32 v3, v7, v3
	s_waitcnt lgkmcnt(1)
	v_fmac_f32_e32 v11, v12, v88
	ds_bpermute_b32 v12, v2, v62 offset:8
	v_add_f32_e32 v3, v8, v3
	v_add_f32_e32 v3, v9, v3
	s_waitcnt lgkmcnt(0)
	v_sub_f32_e32 v12, v13, v12
	v_mul_f32_e32 v12, v5, v12
	ds_bpermute_b32 v5, v2, v62 offset:12
	v_fmac_f32_e32 v11, v12, v4
	ds_bpermute_b32 v4, v2, v87 offset:12
	s_waitcnt lgkmcnt(1)
	v_sub_f32_e32 v5, v14, v5
	v_mul_f32_e32 v5, v6, v5
	s_waitcnt lgkmcnt(0)
	v_fmac_f32_e32 v11, v5, v4
	ds_bpermute_b32 v5, v2, v62 offset:16
	ds_bpermute_b32 v4, v2, v87 offset:16
	s_waitcnt lgkmcnt(1)
	v_sub_f32_e32 v5, v15, v5
	v_mul_f32_e32 v5, v7, v5
	s_waitcnt lgkmcnt(0)
	v_fmac_f32_e32 v11, v5, v4
	ds_bpermute_b32 v5, v2, v62 offset:20
	;; [unrolled: 7-line block ×4, first 2 shown]
	ds_bpermute_b32 v4, v2, v87 offset:28
	v_add_f32_e32 v62, v10, v3
	s_waitcnt lgkmcnt(1)
	v_sub_f32_e32 v5, v18, v5
	v_mul_f32_e32 v5, v10, v5
	s_waitcnt lgkmcnt(0)
	v_fmac_f32_e32 v11, v5, v4
.LBB92_75:                              ;   in Loop: Header=BB92_53 Depth=1
	s_and_b32 vcc_lo, exec_lo, s0
	s_cbranch_vccz .LBB92_81
; %bb.76:                               ;   in Loop: Header=BB92_53 Depth=1
	s_load_dword s0, s[20:21], 0x0
	v_mov_b32_e32 v6, 0
	v_mov_b32_e32 v5, 0
	s_waitcnt lgkmcnt(0)
	s_cmp_lt_u32 s6, s0
	s_cselect_b32 s0, 12, 18
	s_add_u32 s12, s20, s0
	s_addc_u32 s13, s21, 0
	s_mov_b32 s0, exec_lo
	global_load_ushort v3, v2, s[12:13]
	s_waitcnt vmcnt(0)
	v_mad_u32_u24 v3, v1, v3, v0
	v_and_b32_e32 v3, 31, v3
	v_cmpx_gt_u32_e32 8, v3
	s_cbranch_execz .LBB92_80
; %bb.77:                               ;   in Loop: Header=BB92_53 Depth=1
	v_add_co_u32 v3, vcc_lo, v85, v3
	v_add_co_ci_u32_e64 v4, null, 0, v86, vcc_lo
	v_mov_b32_e32 v5, 0
	v_add_co_u32 v3, vcc_lo, 0xffffff01, v3
	v_add_co_ci_u32_e64 v4, null, -1, v4, vcc_lo
	v_mov_b32_e32 v6, 0
	s_mov_b32 s7, exec_lo
	v_cmpx_gt_i64_e64 s[8:9], v[3:4]
	s_cbranch_execz .LBB92_79
; %bb.78:                               ;   in Loop: Header=BB92_53 Depth=1
	v_lshlrev_b64 v[3:4], 2, v[3:4]
	v_add_co_u32 v5, vcc_lo, s16, v3
	v_add_co_ci_u32_e64 v6, null, s17, v4, vcc_lo
	v_add_co_u32 v3, vcc_lo, s18, v3
	v_add_co_ci_u32_e64 v4, null, s19, v4, vcc_lo
	global_load_dword v5, v[5:6], off
	global_load_dword v6, v[3:4], off
.LBB92_79:                              ;   in Loop: Header=BB92_53 Depth=1
	s_or_b32 exec_lo, exec_lo, s7
.LBB92_80:                              ;   in Loop: Header=BB92_53 Depth=1
	s_or_b32 exec_lo, exec_lo, s0
	v_add_co_u32 v3, vcc_lo, v50, v47
	v_add_co_ci_u32_e64 v4, null, v51, v48, vcc_lo
	v_add_co_u32 v7, vcc_lo, v52, v47
	v_add_co_ci_u32_e64 v8, null, v53, v48, vcc_lo
	global_load_ushort v15, v[3:4], off
	v_add_co_u32 v3, vcc_lo, v19, v47
	v_add_co_ci_u32_e64 v4, null, v20, v48, vcc_lo
	v_add_co_u32 v9, vcc_lo, v33, v47
	v_add_co_ci_u32_e64 v10, null, v34, v48, vcc_lo
	;; [unrolled: 2-line block ×4, first 2 shown]
	global_load_ushort v16, v[7:8], off
	global_load_ushort v17, v[3:4], off
	;; [unrolled: 1-line block ×5, first 2 shown]
	v_add_co_u32 v3, vcc_lo, v23, v47
	v_add_co_ci_u32_e64 v4, null, v24, v48, vcc_lo
	v_add_co_u32 v7, vcc_lo, v37, v47
	v_add_co_ci_u32_e64 v8, null, v38, v48, vcc_lo
	;; [unrolled: 2-line block ×5, first 2 shown]
	global_load_ushort v86, v[7:8], off
	global_load_ushort v87, v[3:4], off
	;; [unrolled: 1-line block ×5, first 2 shown]
	v_add_co_u32 v3, vcc_lo, v41, v47
	v_add_co_ci_u32_e64 v4, null, v42, v48, vcc_lo
	v_add_co_u32 v7, vcc_lo, v29, v47
	v_add_co_ci_u32_e64 v8, null, v30, v48, vcc_lo
	;; [unrolled: 2-line block ×3, first 2 shown]
	global_load_ushort v13, v[3:4], off
	global_load_ushort v14, v[7:8], off
	global_load_ushort v9, v[9:10], off
	v_add_co_u32 v7, s0, v45, v47
	v_add_co_u32 v3, vcc_lo, v31, v47
	v_add_co_ci_u32_e64 v8, null, v46, v48, s0
	v_add_co_ci_u32_e64 v4, null, v32, v48, vcc_lo
	global_load_ushort v7, v[7:8], off
	global_load_ushort v3, v[3:4], off
	s_waitcnt vmcnt(17)
	ds_bpermute_b32 v4, v2, v5
	s_waitcnt vmcnt(16)
	ds_bpermute_b32 v8, v2, v6
	ds_bpermute_b32 v89, v2, v5 offset:8
	ds_bpermute_b32 v90, v2, v6 offset:4
	;; [unrolled: 1-line block ×4, first 2 shown]
	s_waitcnt vmcnt(15)
	v_cvt_f32_f16_e32 v15, v15
	s_waitcnt vmcnt(14)
	v_cvt_f32_f16_e32 v10, v16
	ds_bpermute_b32 v16, v2, v5 offset:4
	s_waitcnt vmcnt(12)
	v_cvt_f32_f16_e32 v18, v18
	v_cvt_f32_f16_e32 v17, v17
	s_waitcnt vmcnt(10)
	v_cvt_f32_f16_e32 v85, v85
	s_waitcnt lgkmcnt(6)
	v_sub_f32_e32 v4, v10, v4
	ds_bpermute_b32 v10, v2, v5 offset:12
	v_cvt_f32_f16_e32 v62, v62
	s_waitcnt lgkmcnt(5)
	v_sub_f32_e32 v85, v85, v89
	v_mul_f32_e32 v4, v4, v15
	v_add_f32_e32 v15, v84, v15
	ds_bpermute_b32 v84, v2, v6 offset:20
	ds_bpermute_b32 v89, v2, v6 offset:24
	v_mul_f32_e32 v85, v85, v62
	v_fmac_f32_e32 v83, v4, v8
	ds_bpermute_b32 v8, v2, v5 offset:16
	ds_bpermute_b32 v4, v2, v6 offset:16
	;; [unrolled: 1-line block ×3, first 2 shown]
	s_waitcnt vmcnt(9)
	v_cvt_f32_f16_e32 v86, v86
	s_waitcnt lgkmcnt(6)
	v_sub_f32_e32 v16, v18, v16
	ds_bpermute_b32 v18, v2, v5 offset:20
	s_waitcnt vmcnt(8)
	v_cvt_f32_f16_e32 v87, v87
	s_waitcnt vmcnt(6)
	v_cvt_f32_f16_e32 v11, v11
	s_waitcnt lgkmcnt(6)
	v_sub_f32_e32 v10, v86, v10
	ds_bpermute_b32 v86, v2, v5 offset:24
	v_mul_f32_e32 v16, v16, v17
	ds_bpermute_b32 v5, v2, v5 offset:28
	v_cvt_f32_f16_e32 v88, v88
	v_mul_f32_e32 v10, v10, v87
	s_waitcnt vmcnt(5)
	v_cvt_f32_f16_e32 v12, v12
	v_fmac_f32_e32 v83, v16, v90
	s_waitcnt lgkmcnt(5)
	v_sub_f32_e32 v8, v11, v8
	s_waitcnt vmcnt(4)
	v_cvt_f32_f16_e32 v13, v13
	v_add_f32_e32 v11, v15, v17
	v_fmac_f32_e32 v83, v85, v91
	s_waitcnt vmcnt(2)
	v_cvt_f32_f16_e32 v9, v9
	v_mul_f32_e32 v8, v8, v88
	s_waitcnt lgkmcnt(2)
	v_sub_f32_e32 v13, v13, v18
	v_add_f32_e32 v11, v11, v62
	v_fmac_f32_e32 v83, v10, v92
	v_cvt_f32_f16_e32 v10, v14
	s_waitcnt lgkmcnt(1)
	v_sub_f32_e32 v9, v9, v86
	v_mul_f32_e32 v13, v13, v12
	v_add_f32_e32 v11, v11, v87
	v_fmac_f32_e32 v83, v8, v4
	s_waitcnt vmcnt(1)
	v_cvt_f32_f16_e32 v4, v7
	s_waitcnt vmcnt(0)
	v_cvt_f32_f16_e32 v3, v3
	v_mul_f32_e32 v7, v9, v10
	v_add_f32_e32 v8, v11, v88
	v_fmac_f32_e32 v83, v13, v84
	s_waitcnt lgkmcnt(0)
	v_sub_f32_e32 v4, v4, v5
	v_add_f32_e32 v5, v8, v12
	v_fmac_f32_e32 v83, v7, v89
	v_mul_f32_e32 v4, v4, v3
	v_add_f32_e32 v5, v5, v10
	v_fmac_f32_e32 v83, v4, v6
	v_add_f32_e32 v62, v5, v3
	v_mov_b32_e32 v11, v83
.LBB92_81:                              ;   in Loop: Header=BB92_53 Depth=1
	v_add_co_u32 v50, vcc_lo, v50, s22
	v_add_co_ci_u32_e64 v51, null, s23, v51, vcc_lo
	v_add_co_u32 v52, vcc_lo, v52, s22
	v_add_co_ci_u32_e64 v53, null, s23, v53, vcc_lo
	;; [unrolled: 2-line block ×26, first 2 shown]
	v_add_co_u32 v75, vcc_lo, v75, s22
	s_add_u32 s2, s2, s1
	v_add_co_ci_u32_e64 v76, null, s23, v76, vcc_lo
	v_add_co_u32 v77, vcc_lo, v77, s22
	s_addc_u32 s3, s3, 0
	v_add_co_ci_u32_e64 v78, null, s23, v78, vcc_lo
	v_add_co_u32 v79, vcc_lo, v79, s22
	v_cmp_ge_i64_e64 s0, s[2:3], s[8:9]
	v_add_co_ci_u32_e64 v80, null, s23, v80, vcc_lo
	v_add_co_u32 v81, vcc_lo, v81, s22
	v_add_co_ci_u32_e64 v82, null, s23, v82, vcc_lo
	s_add_u32 s24, s24, s1
	s_addc_u32 s25, s25, 0
	s_and_b32 vcc_lo, exec_lo, s0
	s_cbranch_vccnz .LBB92_83
; %bb.82:                               ;   in Loop: Header=BB92_53 Depth=1
	v_mov_b32_e32 v84, v62
	v_mov_b32_e32 v83, v11
	s_branch .LBB92_53
.LBB92_83:
	v_mad_u32_u24 v2, v1, 33, v0
	v_lshrrev_b32_e32 v3, 5, v0
	s_mov_b32 s7, 0
	s_mov_b32 s0, exec_lo
	v_lshl_add_u32 v2, v2, 2, 0
	v_add_nc_u32_e32 v1, v3, v1
	ds_write_b32 v2, v11
	ds_write_b32 v2, v62 offset:4224
	s_waitcnt lgkmcnt(0)
	s_barrier
	buffer_gl0_inv
	v_cmpx_gt_u32_e32 32, v1
	s_cbranch_execz .LBB92_89
; %bb.84:
	v_and_b32_e32 v2, 31, v0
	v_mbcnt_lo_u32_b32 v3, -1, 0
	s_lshl_b64 s[0:1], s[6:7], 5
	v_mad_u32_u24 v2, v2, 33, v1
	v_xor_b32_e32 v5, 16, v3
	v_xor_b32_e32 v7, 8, v3
	v_or_b32_e32 v1, s0, v1
	v_cmp_eq_u32_e64 s0, 0, v0
	v_lshl_add_u32 v2, v2, 2, 0
	v_cmp_gt_i32_e32 vcc_lo, 32, v5
	ds_read_b32 v4, v2
	ds_read_b32 v2, v2 offset:4224
	v_cndmask_b32_e32 v5, v3, v5, vcc_lo
	v_cmp_gt_i32_e32 vcc_lo, 32, v7
	v_lshlrev_b32_e32 v5, 2, v5
	v_cndmask_b32_e32 v7, v3, v7, vcc_lo
	v_lshlrev_b32_e32 v7, 2, v7
	s_waitcnt lgkmcnt(1)
	ds_bpermute_b32 v6, v5, v4
	s_waitcnt lgkmcnt(1)
	ds_bpermute_b32 v5, v5, v2
	s_waitcnt lgkmcnt(1)
	v_add_f32_e32 v4, v4, v6
	s_waitcnt lgkmcnt(0)
	v_add_f32_e32 v2, v2, v5
	ds_bpermute_b32 v5, v7, v4
	ds_bpermute_b32 v6, v7, v2
	v_xor_b32_e32 v7, 4, v3
	v_cmp_gt_i32_e32 vcc_lo, 32, v7
	v_cndmask_b32_e32 v7, v3, v7, vcc_lo
	v_lshlrev_b32_e32 v7, 2, v7
	s_waitcnt lgkmcnt(1)
	v_add_f32_e32 v4, v4, v5
	s_waitcnt lgkmcnt(0)
	v_add_f32_e32 v2, v2, v6
	ds_bpermute_b32 v5, v7, v4
	ds_bpermute_b32 v6, v7, v2
	v_xor_b32_e32 v7, 2, v3
	v_cmp_gt_i32_e32 vcc_lo, 32, v7
	v_cndmask_b32_e32 v7, v3, v7, vcc_lo
	v_lshlrev_b32_e32 v7, 2, v7
	s_waitcnt lgkmcnt(1)
	v_add_f32_e32 v4, v4, v5
	s_waitcnt lgkmcnt(0)
	v_add_f32_e32 v2, v2, v6
	ds_bpermute_b32 v5, v7, v4
	ds_bpermute_b32 v6, v7, v2
	v_xor_b32_e32 v7, 1, v3
	v_cmp_gt_i32_e32 vcc_lo, 32, v7
	v_cndmask_b32_e32 v3, v3, v7, vcc_lo
	v_lshlrev_b32_e32 v7, 2, v3
	s_waitcnt lgkmcnt(1)
	v_add_f32_e32 v5, v4, v5
	s_waitcnt lgkmcnt(0)
	v_add_f32_e32 v3, v2, v6
	v_mov_b32_e32 v2, s1
	ds_bpermute_b32 v6, v7, v5
	ds_bpermute_b32 v4, v7, v3
	v_cmp_gt_i64_e32 vcc_lo, s[10:11], v[1:2]
	s_and_b32 s0, s0, vcc_lo
	s_and_b32 exec_lo, exec_lo, s0
	s_cbranch_execz .LBB92_89
; %bb.85:
	s_load_dwordx4 s[0:3], s[4:5], 0x30
	v_lshlrev_b64 v[0:1], 1, v[1:2]
	s_waitcnt lgkmcnt(0)
	s_cmp_eq_u64 s[0:1], 0
	s_cbranch_scc1 .LBB92_87
; %bb.86:
	v_add_f32_e32 v2, v5, v6
	v_add_co_u32 v5, vcc_lo, s0, v0
	v_add_co_ci_u32_e64 v6, null, s1, v1, vcc_lo
	v_cvt_f16_f32_e32 v2, v2
	global_store_short v[5:6], v2, off
.LBB92_87:
	s_cmp_eq_u64 s[2:3], 0
	s_cbranch_scc1 .LBB92_89
; %bb.88:
	v_add_f32_e32 v2, v3, v4
	v_add_co_u32 v0, vcc_lo, s2, v0
	v_add_co_ci_u32_e64 v1, null, s3, v1, vcc_lo
	v_cvt_f16_f32_e32 v2, v2
	global_store_short v[0:1], v2, off
.LBB92_89:
	s_endpgm
	.section	.rodata,"a",@progbits
	.p2align	6, 0x0
	.amdhsa_kernel _ZN2at6native12_GLOBAL__N_135GammaBetaBackwardCUDAKernelTemplateIN3c104HalfEfLj32ELj32ELj256ELb0ELb0ELb0EEEvllPKT_S7_PKT0_SA_PS5_SB_
		.amdhsa_group_segment_fixed_size 0
		.amdhsa_private_segment_fixed_size 0
		.amdhsa_kernarg_size 320
		.amdhsa_user_sgpr_count 6
		.amdhsa_user_sgpr_private_segment_buffer 1
		.amdhsa_user_sgpr_dispatch_ptr 0
		.amdhsa_user_sgpr_queue_ptr 0
		.amdhsa_user_sgpr_kernarg_segment_ptr 1
		.amdhsa_user_sgpr_dispatch_id 0
		.amdhsa_user_sgpr_flat_scratch_init 0
		.amdhsa_user_sgpr_private_segment_size 0
		.amdhsa_wavefront_size32 1
		.amdhsa_uses_dynamic_stack 0
		.amdhsa_system_sgpr_private_segment_wavefront_offset 0
		.amdhsa_system_sgpr_workgroup_id_x 1
		.amdhsa_system_sgpr_workgroup_id_y 1
		.amdhsa_system_sgpr_workgroup_id_z 0
		.amdhsa_system_sgpr_workgroup_info 0
		.amdhsa_system_vgpr_workitem_id 1
		.amdhsa_next_free_vgpr 93
		.amdhsa_next_free_sgpr 32
		.amdhsa_reserve_vcc 1
		.amdhsa_reserve_flat_scratch 0
		.amdhsa_float_round_mode_32 0
		.amdhsa_float_round_mode_16_64 0
		.amdhsa_float_denorm_mode_32 3
		.amdhsa_float_denorm_mode_16_64 3
		.amdhsa_dx10_clamp 1
		.amdhsa_ieee_mode 1
		.amdhsa_fp16_overflow 0
		.amdhsa_workgroup_processor_mode 1
		.amdhsa_memory_ordered 1
		.amdhsa_forward_progress 1
		.amdhsa_shared_vgpr_count 0
		.amdhsa_exception_fp_ieee_invalid_op 0
		.amdhsa_exception_fp_denorm_src 0
		.amdhsa_exception_fp_ieee_div_zero 0
		.amdhsa_exception_fp_ieee_overflow 0
		.amdhsa_exception_fp_ieee_underflow 0
		.amdhsa_exception_fp_ieee_inexact 0
		.amdhsa_exception_int_div_zero 0
	.end_amdhsa_kernel
	.section	.text._ZN2at6native12_GLOBAL__N_135GammaBetaBackwardCUDAKernelTemplateIN3c104HalfEfLj32ELj32ELj256ELb0ELb0ELb0EEEvllPKT_S7_PKT0_SA_PS5_SB_,"axG",@progbits,_ZN2at6native12_GLOBAL__N_135GammaBetaBackwardCUDAKernelTemplateIN3c104HalfEfLj32ELj32ELj256ELb0ELb0ELb0EEEvllPKT_S7_PKT0_SA_PS5_SB_,comdat
.Lfunc_end92:
	.size	_ZN2at6native12_GLOBAL__N_135GammaBetaBackwardCUDAKernelTemplateIN3c104HalfEfLj32ELj32ELj256ELb0ELb0ELb0EEEvllPKT_S7_PKT0_SA_PS5_SB_, .Lfunc_end92-_ZN2at6native12_GLOBAL__N_135GammaBetaBackwardCUDAKernelTemplateIN3c104HalfEfLj32ELj32ELj256ELb0ELb0ELb0EEEvllPKT_S7_PKT0_SA_PS5_SB_
                                        ; -- End function
	.set _ZN2at6native12_GLOBAL__N_135GammaBetaBackwardCUDAKernelTemplateIN3c104HalfEfLj32ELj32ELj256ELb0ELb0ELb0EEEvllPKT_S7_PKT0_SA_PS5_SB_.num_vgpr, 93
	.set _ZN2at6native12_GLOBAL__N_135GammaBetaBackwardCUDAKernelTemplateIN3c104HalfEfLj32ELj32ELj256ELb0ELb0ELb0EEEvllPKT_S7_PKT0_SA_PS5_SB_.num_agpr, 0
	.set _ZN2at6native12_GLOBAL__N_135GammaBetaBackwardCUDAKernelTemplateIN3c104HalfEfLj32ELj32ELj256ELb0ELb0ELb0EEEvllPKT_S7_PKT0_SA_PS5_SB_.numbered_sgpr, 32
	.set _ZN2at6native12_GLOBAL__N_135GammaBetaBackwardCUDAKernelTemplateIN3c104HalfEfLj32ELj32ELj256ELb0ELb0ELb0EEEvllPKT_S7_PKT0_SA_PS5_SB_.num_named_barrier, 0
	.set _ZN2at6native12_GLOBAL__N_135GammaBetaBackwardCUDAKernelTemplateIN3c104HalfEfLj32ELj32ELj256ELb0ELb0ELb0EEEvllPKT_S7_PKT0_SA_PS5_SB_.private_seg_size, 0
	.set _ZN2at6native12_GLOBAL__N_135GammaBetaBackwardCUDAKernelTemplateIN3c104HalfEfLj32ELj32ELj256ELb0ELb0ELb0EEEvllPKT_S7_PKT0_SA_PS5_SB_.uses_vcc, 1
	.set _ZN2at6native12_GLOBAL__N_135GammaBetaBackwardCUDAKernelTemplateIN3c104HalfEfLj32ELj32ELj256ELb0ELb0ELb0EEEvllPKT_S7_PKT0_SA_PS5_SB_.uses_flat_scratch, 0
	.set _ZN2at6native12_GLOBAL__N_135GammaBetaBackwardCUDAKernelTemplateIN3c104HalfEfLj32ELj32ELj256ELb0ELb0ELb0EEEvllPKT_S7_PKT0_SA_PS5_SB_.has_dyn_sized_stack, 0
	.set _ZN2at6native12_GLOBAL__N_135GammaBetaBackwardCUDAKernelTemplateIN3c104HalfEfLj32ELj32ELj256ELb0ELb0ELb0EEEvllPKT_S7_PKT0_SA_PS5_SB_.has_recursion, 0
	.set _ZN2at6native12_GLOBAL__N_135GammaBetaBackwardCUDAKernelTemplateIN3c104HalfEfLj32ELj32ELj256ELb0ELb0ELb0EEEvllPKT_S7_PKT0_SA_PS5_SB_.has_indirect_call, 0
	.section	.AMDGPU.csdata,"",@progbits
; Kernel info:
; codeLenInByte = 8808
; TotalNumSgprs: 34
; NumVgprs: 93
; ScratchSize: 0
; MemoryBound: 0
; FloatMode: 240
; IeeeMode: 1
; LDSByteSize: 0 bytes/workgroup (compile time only)
; SGPRBlocks: 0
; VGPRBlocks: 11
; NumSGPRsForWavesPerEU: 34
; NumVGPRsForWavesPerEU: 93
; Occupancy: 10
; WaveLimiterHint : 0
; COMPUTE_PGM_RSRC2:SCRATCH_EN: 0
; COMPUTE_PGM_RSRC2:USER_SGPR: 6
; COMPUTE_PGM_RSRC2:TRAP_HANDLER: 0
; COMPUTE_PGM_RSRC2:TGID_X_EN: 1
; COMPUTE_PGM_RSRC2:TGID_Y_EN: 1
; COMPUTE_PGM_RSRC2:TGID_Z_EN: 0
; COMPUTE_PGM_RSRC2:TIDIG_COMP_CNT: 1
	.section	.text._ZN2at6native12_GLOBAL__N_118cuComputeGradInputIN3c108BFloat16EfLb0EEEvPKT_S7_llPKT0_SA_S7_PS5_,"axG",@progbits,_ZN2at6native12_GLOBAL__N_118cuComputeGradInputIN3c108BFloat16EfLb0EEEvPKT_S7_llPKT0_SA_S7_PS5_,comdat
	.globl	_ZN2at6native12_GLOBAL__N_118cuComputeGradInputIN3c108BFloat16EfLb0EEEvPKT_S7_llPKT0_SA_S7_PS5_ ; -- Begin function _ZN2at6native12_GLOBAL__N_118cuComputeGradInputIN3c108BFloat16EfLb0EEEvPKT_S7_llPKT0_SA_S7_PS5_
	.p2align	8
	.type	_ZN2at6native12_GLOBAL__N_118cuComputeGradInputIN3c108BFloat16EfLb0EEEvPKT_S7_llPKT0_SA_S7_PS5_,@function
_ZN2at6native12_GLOBAL__N_118cuComputeGradInputIN3c108BFloat16EfLb0EEEvPKT_S7_llPKT0_SA_S7_PS5_: ; @_ZN2at6native12_GLOBAL__N_118cuComputeGradInputIN3c108BFloat16EfLb0EEEvPKT_S7_llPKT0_SA_S7_PS5_
; %bb.0:
	s_load_dwordx4 s[16:19], s[4:5], 0x10
	s_mov_b32 s6, s7
	s_ashr_i32 s7, s7, 31
	s_waitcnt lgkmcnt(0)
	v_cmp_le_i64_e64 s0, s[16:17], s[6:7]
	s_and_b32 vcc_lo, exec_lo, s0
	s_cbranch_vccnz .LBB93_49
; %bb.1:
	s_clause 0x1
	s_load_dword s0, s[4:5], 0x4c
	s_load_dwordx8 s[8:15], s[4:5], 0x20
	s_flbit_i32 s1, s19
	s_clause 0x1
	s_load_dword s31, s[4:5], 0x44
	s_load_dwordx4 s[20:23], s[4:5], 0x0
	v_cmp_gt_i64_e64 s33, s[18:19], 0
	v_lshlrev_b32_e32 v9, 3, v0
	v_mbcnt_lo_u32_b32 v14, -1, 0
	v_cndmask_b32_e64 v13, 0, 1, s33
	v_add_nc_u32_e32 v18, 0, v9
	s_waitcnt lgkmcnt(0)
	s_lshr_b32 s26, s0, 16
	s_and_b32 s27, s0, 0xffff
	s_cmp_lg_u64 s[12:13], 0
	s_mul_i32 s34, s26, s27
	s_cselect_b32 s28, -1, 0
	s_cmp_gt_u32 s27, 1
	s_cselect_b32 s29, -1, 0
	s_cmp_gt_u32 s26, 1
	s_cselect_b32 s30, -1, 0
	s_xor_b32 s0, s18, s19
	s_add_i32 s1, s1, -1
	s_ashr_i32 s0, s0, 31
	s_add_i32 s0, s0, 32
	s_min_u32 s2, s1, s0
	s_lshl_b64 s[0:1], s[18:19], s2
	s_min_u32 s0, s0, 1
	s_or_b32 s0, s1, s0
	v_cmp_ne_u32_e64 s1, 0, v1
	v_cvt_f32_i32_e32 v2, s0
	s_sub_i32 s0, 32, s2
	v_ldexp_f32 v12, v2, s0
	v_cmp_eq_u32_e64 s0, 0, v1
	v_div_scale_f32 v3, null, v12, v12, 1.0
	v_div_scale_f32 v7, vcc_lo, 1.0, v12, 1.0
	v_rcp_f32_e32 v6, v3
	v_fma_f32 v2, -v3, v6, 1.0
	v_fmac_f32_e32 v6, v2, v6
	v_mov_b32_e32 v2, 0
	v_mul_f32_e32 v8, v7, v6
	v_mov_b32_e32 v5, v2
	v_fma_f32 v4, -v3, v8, v7
	v_fmac_f32_e32 v8, v4, v6
	v_mad_u32_u24 v4, v1, s27, v0
	v_fma_f32 v3, -v3, v8, v7
	v_lshlrev_b32_e32 v7, 3, v4
	v_cmp_gt_i64_e64 s2, s[18:19], v[4:5]
	v_add_nc_u32_e32 v15, s34, v4
	v_div_fmas_f32 v3, v3, v6, v8
	v_add_nc_u32_e32 v16, 0, v7
	v_div_fixup_f32 v17, v3, v12, 1.0
	s_branch .LBB93_4
.LBB93_2:                               ;   in Loop: Header=BB93_4 Depth=1
	s_or_b32 exec_lo, exec_lo, s24
.LBB93_3:                               ;   in Loop: Header=BB93_4 Depth=1
	s_add_i32 s6, s31, s6
	s_waitcnt_vscnt null, 0x0
	s_ashr_i32 s7, s6, 31
	s_barrier
	v_cmp_le_i64_e64 s3, s[16:17], s[6:7]
	buffer_gl0_inv
	s_and_b32 vcc_lo, exec_lo, s3
	s_cbranch_vccnz .LBB93_49
.LBB93_4:                               ; =>This Loop Header: Depth=1
                                        ;     Child Loop BB93_8 Depth 2
                                        ;     Child Loop BB93_20 Depth 2
	;; [unrolled: 1-line block ×6, first 2 shown]
	s_mul_i32 s3, s6, s19
	s_mul_hi_u32 s4, s6, s18
	s_mul_i32 s24, s7, s18
	s_add_i32 s3, s4, s3
	s_lshl_b64 s[4:5], s[6:7], 2
	s_add_i32 s25, s3, s24
	s_add_u32 s36, s8, s4
	s_addc_u32 s37, s9, s5
	s_add_u32 s4, s10, s4
	s_addc_u32 s5, s11, s5
	s_load_dword s7, s[36:37], 0x0
	s_load_dword s39, s[4:5], 0x0
	s_mul_i32 s24, s6, s18
	v_cmp_ne_u32_e64 s3, 1, v13
	s_lshl_b64 s[24:25], s[24:25], 1
	s_mov_b32 s4, -1
	s_add_u32 s35, s22, s24
	s_addc_u32 s36, s23, s25
	s_add_u32 s37, s20, s24
	s_addc_u32 s38, s21, s25
	s_andn2_b32 vcc_lo, exec_lo, s28
                                        ; implicit-def: $vgpr6_vgpr7
	s_cbranch_vccnz .LBB93_16
; %bb.5:                                ;   in Loop: Header=BB93_4 Depth=1
	s_and_b32 vcc_lo, exec_lo, s3
	s_cbranch_vccnz .LBB93_14
; %bb.6:                                ;   in Loop: Header=BB93_4 Depth=1
	v_mov_b32_e32 v6, 0
	v_mov_b32_e32 v7, 0
	s_mov_b32 s4, 0
	s_branch .LBB93_8
.LBB93_7:                               ;   in Loop: Header=BB93_8 Depth=2
	s_or_b32 exec_lo, exec_lo, s3
	s_waitcnt lgkmcnt(0)
	v_subrev_f32_e32 v8, s7, v11
	v_mul_f32_e32 v9, v3, v10
	s_add_i32 s4, s4, s34
	v_fmac_f32_e32 v6, v3, v10
	s_ashr_i32 s5, s4, 31
	v_mul_f32_e32 v8, v8, v9
	v_cmp_le_i64_e64 s3, s[18:19], s[4:5]
	v_fmac_f32_e32 v7, s39, v8
	s_and_b32 vcc_lo, exec_lo, s3
	s_cbranch_vccnz .LBB93_15
.LBB93_8:                               ;   Parent Loop BB93_4 Depth=1
                                        ; =>  This Inner Loop Header: Depth=2
	v_add_nc_u32_e32 v8, s4, v4
	v_mov_b32_e32 v3, 0
	v_ashrrev_i32_e32 v9, 31, v8
	v_cmp_gt_i64_e32 vcc_lo, s[18:19], v[8:9]
	v_lshlrev_b64 v[8:9], 1, v[8:9]
	s_and_saveexec_b32 s5, vcc_lo
	s_cbranch_execz .LBB93_10
; %bb.9:                                ;   in Loop: Header=BB93_8 Depth=2
	v_add_co_u32 v10, s3, s12, v8
	v_add_co_ci_u32_e64 v11, null, s13, v9, s3
	global_load_ushort v3, v[10:11], off
	s_waitcnt vmcnt(0)
	v_lshlrev_b32_e32 v3, 16, v3
.LBB93_10:                              ;   in Loop: Header=BB93_8 Depth=2
	s_or_b32 exec_lo, exec_lo, s5
	v_mov_b32_e32 v10, 0
	v_mov_b32_e32 v11, 0
	s_and_saveexec_b32 s5, vcc_lo
	s_cbranch_execz .LBB93_12
; %bb.11:                               ;   in Loop: Header=BB93_8 Depth=2
	v_add_co_u32 v19, s3, s35, v8
	v_add_co_ci_u32_e64 v20, null, s36, v9, s3
	global_load_ushort v11, v[19:20], off
	s_waitcnt vmcnt(0)
	v_lshlrev_b32_e32 v11, 16, v11
.LBB93_12:                              ;   in Loop: Header=BB93_8 Depth=2
	s_or_b32 exec_lo, exec_lo, s5
	s_and_saveexec_b32 s3, vcc_lo
	s_cbranch_execz .LBB93_7
; %bb.13:                               ;   in Loop: Header=BB93_8 Depth=2
	v_add_co_u32 v8, vcc_lo, s37, v8
	v_add_co_ci_u32_e64 v9, null, s38, v9, vcc_lo
	global_load_ushort v8, v[8:9], off
	s_waitcnt vmcnt(0)
	v_lshlrev_b32_e32 v10, 16, v8
	s_branch .LBB93_7
.LBB93_14:                              ;   in Loop: Header=BB93_4 Depth=1
	v_mov_b32_e32 v3, v2
	v_mov_b32_e32 v7, v3
	;; [unrolled: 1-line block ×3, first 2 shown]
.LBB93_15:                              ;   in Loop: Header=BB93_4 Depth=1
	s_mov_b32 s4, 0
.LBB93_16:                              ;   in Loop: Header=BB93_4 Depth=1
	s_andn2_b32 vcc_lo, exec_lo, s4
	s_cbranch_vccnz .LBB93_25
; %bb.17:                               ;   in Loop: Header=BB93_4 Depth=1
	s_andn2_b32 vcc_lo, exec_lo, s33
	s_cbranch_vccnz .LBB93_24
; %bb.18:                               ;   in Loop: Header=BB93_4 Depth=1
	v_mov_b32_e32 v6, 0
	v_mov_b32_e32 v7, 0
	s_mov_b32 s4, 0
	s_inst_prefetch 0x1
	s_branch .LBB93_20
	.p2align	6
.LBB93_19:                              ;   in Loop: Header=BB93_20 Depth=2
	s_or_b32 exec_lo, exec_lo, s3
	s_waitcnt lgkmcnt(0)
	v_subrev_f32_e32 v3, s7, v3
	s_add_i32 s4, s4, s34
	v_add_f32_e32 v6, v6, v10
	s_ashr_i32 s5, s4, 31
	v_cmp_le_i64_e64 s3, s[18:19], s[4:5]
	v_mul_f32_e32 v3, v3, v10
	v_fmac_f32_e32 v7, s39, v3
	s_and_b32 vcc_lo, exec_lo, s3
	s_cbranch_vccnz .LBB93_25
.LBB93_20:                              ;   Parent Loop BB93_4 Depth=1
                                        ; =>  This Inner Loop Header: Depth=2
	v_add_nc_u32_e32 v8, s4, v4
	v_mov_b32_e32 v3, 0
	v_ashrrev_i32_e32 v9, 31, v8
	v_cmp_gt_i64_e32 vcc_lo, s[18:19], v[8:9]
	v_lshlrev_b64 v[8:9], 1, v[8:9]
	s_and_saveexec_b32 s5, vcc_lo
	s_cbranch_execz .LBB93_22
; %bb.21:                               ;   in Loop: Header=BB93_20 Depth=2
	v_add_co_u32 v10, s3, s35, v8
	v_add_co_ci_u32_e64 v11, null, s36, v9, s3
	global_load_ushort v3, v[10:11], off
	s_waitcnt vmcnt(0)
	v_lshlrev_b32_e32 v3, 16, v3
.LBB93_22:                              ;   in Loop: Header=BB93_20 Depth=2
	s_or_b32 exec_lo, exec_lo, s5
	v_mov_b32_e32 v10, 0
	s_and_saveexec_b32 s3, vcc_lo
	s_cbranch_execz .LBB93_19
; %bb.23:                               ;   in Loop: Header=BB93_20 Depth=2
	v_add_co_u32 v8, vcc_lo, s37, v8
	v_add_co_ci_u32_e64 v9, null, s38, v9, vcc_lo
	global_load_ushort v8, v[8:9], off
	s_waitcnt vmcnt(0)
	v_lshlrev_b32_e32 v10, 16, v8
	s_branch .LBB93_19
.LBB93_24:                              ;   in Loop: Header=BB93_4 Depth=1
	v_mov_b32_e32 v3, v2
	v_mov_b32_e32 v7, v3
	;; [unrolled: 1-line block ×3, first 2 shown]
.LBB93_25:                              ;   in Loop: Header=BB93_4 Depth=1
	s_inst_prefetch 0x2
	s_andn2_b32 vcc_lo, exec_lo, s29
	s_cbranch_vccnz .LBB93_28
; %bb.26:                               ;   in Loop: Header=BB93_4 Depth=1
	s_mov_b32 s3, s27
.LBB93_27:                              ;   Parent Loop BB93_4 Depth=1
                                        ; =>  This Inner Loop Header: Depth=2
	s_lshr_b32 s4, s3, 1
	s_cmp_lt_u32 s3, 4
	v_xor_b32_e32 v3, s4, v14
	s_mov_b32 s3, s4
	v_cmp_gt_i32_e32 vcc_lo, 32, v3
	v_cndmask_b32_e32 v3, v14, v3, vcc_lo
	v_lshlrev_b32_e32 v3, 2, v3
	ds_bpermute_b32 v8, v3, v7
	ds_bpermute_b32 v3, v3, v6
	s_waitcnt lgkmcnt(0)
	v_add_f32_e32 v7, v7, v8
	v_add_f32_e32 v6, v6, v3
	s_cbranch_scc0 .LBB93_27
.LBB93_28:                              ;   in Loop: Header=BB93_4 Depth=1
	s_andn2_b32 vcc_lo, exec_lo, s30
	s_mov_b32 s5, s26
	s_cbranch_vccnz .LBB93_40
	.p2align	6
.LBB93_29:                              ;   Parent Loop BB93_4 Depth=1
                                        ; =>  This Inner Loop Header: Depth=2
	s_lshr_b32 s40, s5, 1
	s_and_b32 s4, s5, 0xfffe
	v_cmp_le_u32_e64 s3, s40, v1
	v_cmp_gt_u32_e64 s4, s4, v1
	v_cmp_gt_u32_e32 vcc_lo, s40, v1
	s_and_b32 s4, s3, s4
	s_and_saveexec_b32 s3, s4
	s_cbranch_execz .LBB93_31
; %bb.30:                               ;   in Loop: Header=BB93_29 Depth=2
	v_subrev_nc_u32_e32 v3, s40, v1
	v_mad_u32_u24 v3, v3, s27, v0
	v_lshl_add_u32 v3, v3, 3, 0
	ds_write_b64 v3, v[6:7]
.LBB93_31:                              ;   in Loop: Header=BB93_29 Depth=2
	s_or_b32 exec_lo, exec_lo, s3
	s_waitcnt lgkmcnt(0)
	s_barrier
	buffer_gl0_inv
	s_and_saveexec_b32 s3, vcc_lo
	s_cbranch_execz .LBB93_33
; %bb.32:                               ;   in Loop: Header=BB93_29 Depth=2
	ds_read_b64 v[8:9], v16
	s_waitcnt lgkmcnt(0)
	v_add_f32_e32 v7, v7, v9
	v_add_f32_e32 v6, v6, v8
.LBB93_33:                              ;   in Loop: Header=BB93_29 Depth=2
	s_or_b32 exec_lo, exec_lo, s3
	s_cmp_lt_u32 s5, 4
	s_barrier
	buffer_gl0_inv
	s_cbranch_scc1 .LBB93_35
; %bb.34:                               ;   in Loop: Header=BB93_29 Depth=2
	s_mov_b32 s5, s40
	s_branch .LBB93_29
.LBB93_35:                              ;   in Loop: Header=BB93_4 Depth=1
	s_and_saveexec_b32 s3, s0
; %bb.36:                               ;   in Loop: Header=BB93_4 Depth=1
	ds_write_b64 v18, v[6:7]
; %bb.37:                               ;   in Loop: Header=BB93_4 Depth=1
	s_or_b32 exec_lo, exec_lo, s3
	s_waitcnt lgkmcnt(0)
	s_barrier
	buffer_gl0_inv
	s_and_saveexec_b32 s3, s1
; %bb.38:                               ;   in Loop: Header=BB93_4 Depth=1
	ds_read_b64 v[6:7], v18
; %bb.39:                               ;   in Loop: Header=BB93_4 Depth=1
	s_or_b32 exec_lo, exec_lo, s3
.LBB93_40:                              ;   in Loop: Header=BB93_4 Depth=1
	s_waitcnt lgkmcnt(0)
	v_mul_f32_e32 v3, s39, v17
	s_add_u32 s4, s14, s24
	s_addc_u32 s5, s15, s25
	s_andn2_b32 vcc_lo, exec_lo, s28
	s_cbranch_vccnz .LBB93_45
; %bb.41:                               ;   in Loop: Header=BB93_4 Depth=1
	s_and_saveexec_b32 s24, s2
	s_cbranch_execz .LBB93_44
; %bb.42:                               ;   in Loop: Header=BB93_4 Depth=1
	v_mov_b32_e32 v11, v5
	v_mov_b32_e32 v8, v15
	;; [unrolled: 1-line block ×3, first 2 shown]
	s_mov_b32 s25, 0
.LBB93_43:                              ;   Parent Loop BB93_4 Depth=1
                                        ; =>  This Inner Loop Header: Depth=2
	v_lshlrev_b64 v[19:20], 1, v[10:11]
	v_add_co_u32 v9, vcc_lo, s35, v19
	v_add_co_ci_u32_e64 v10, null, s36, v20, vcc_lo
	v_add_co_u32 v21, vcc_lo, s37, v19
	v_add_co_ci_u32_e64 v22, null, s38, v20, vcc_lo
	;; [unrolled: 2-line block ×3, first 2 shown]
	global_load_ushort v11, v[21:22], off
	global_load_ushort v9, v[9:10], off
	;; [unrolled: 1-line block ×3, first 2 shown]
	v_add_co_u32 v19, s3, s4, v19
	v_add_co_ci_u32_e64 v20, null, s5, v20, s3
	s_waitcnt vmcnt(2)
	v_lshlrev_b32_e32 v11, 16, v11
	s_waitcnt vmcnt(1)
	v_lshlrev_b32_e32 v9, 16, v9
	;; [unrolled: 2-line block ×3, first 2 shown]
	v_mul_f32_e32 v11, v12, v11
	v_subrev_f32_e32 v9, s7, v9
	v_fma_f32 v10, v11, v10, -v6
	v_mul_f32_e32 v9, s39, v9
	v_fma_f32 v9, -v7, v9, v10
	v_mul_f32_e32 v21, v3, v9
	v_bfe_u32 v9, v21, 16, 1
	v_cmp_o_f32_e64 s3, v21, v21
	v_add3_u32 v22, v21, v9, 0x7fff
	v_ashrrev_i32_e32 v9, 31, v8
	v_mov_b32_e32 v11, v9
	v_mov_b32_e32 v10, v8
	v_cmp_le_i64_e32 vcc_lo, s[18:19], v[8:9]
	v_lshrrev_b32_e32 v9, 16, v22
	v_add_nc_u32_e32 v8, s34, v8
	v_cndmask_b32_e64 v9, 0x7fc0, v9, s3
	s_or_b32 s25, vcc_lo, s25
	global_store_short v[19:20], v9, off
	s_andn2_b32 exec_lo, exec_lo, s25
	s_cbranch_execnz .LBB93_43
.LBB93_44:                              ;   in Loop: Header=BB93_4 Depth=1
	s_or_b32 exec_lo, exec_lo, s24
	s_cbranch_execnz .LBB93_3
	s_branch .LBB93_46
.LBB93_45:                              ;   in Loop: Header=BB93_4 Depth=1
.LBB93_46:                              ;   in Loop: Header=BB93_4 Depth=1
	s_and_saveexec_b32 s24, s2
	s_cbranch_execz .LBB93_2
; %bb.47:                               ;   in Loop: Header=BB93_4 Depth=1
	v_mov_b32_e32 v11, v5
	v_mov_b32_e32 v19, s39
	v_mov_b32_e32 v8, v15
	v_mov_b32_e32 v10, v4
	s_mov_b32 s25, 0
.LBB93_48:                              ;   Parent Loop BB93_4 Depth=1
                                        ; =>  This Inner Loop Header: Depth=2
	v_lshlrev_b64 v[20:21], 1, v[10:11]
	v_add_co_u32 v9, vcc_lo, s35, v20
	v_add_co_ci_u32_e64 v10, null, s36, v21, vcc_lo
	v_add_co_u32 v22, vcc_lo, s37, v20
	v_add_co_ci_u32_e64 v23, null, s38, v21, vcc_lo
	global_load_ushort v9, v[9:10], off
	global_load_ushort v10, v[22:23], off
	v_add_co_u32 v20, s3, s4, v20
	v_add_co_ci_u32_e64 v21, null, s5, v21, s3
	s_waitcnt vmcnt(1)
	v_lshlrev_b32_e32 v9, 16, v9
	s_waitcnt vmcnt(0)
	v_lshlrev_b32_e32 v10, 16, v10
	v_subrev_f32_e32 v9, s7, v9
	v_fma_f32 v10, v12, v10, -v6
	v_mul_f32_e32 v9, v19, v9
	v_fma_f32 v9, -v9, v7, v10
	v_mul_f32_e32 v22, v3, v9
	v_bfe_u32 v9, v22, 16, 1
	v_cmp_o_f32_e64 s3, v22, v22
	v_add3_u32 v23, v22, v9, 0x7fff
	v_ashrrev_i32_e32 v9, 31, v8
	v_mov_b32_e32 v11, v9
	v_mov_b32_e32 v10, v8
	v_cmp_le_i64_e32 vcc_lo, s[18:19], v[8:9]
	v_lshrrev_b32_e32 v9, 16, v23
	v_add_nc_u32_e32 v8, s34, v8
	v_cndmask_b32_e64 v9, 0x7fc0, v9, s3
	s_or_b32 s25, vcc_lo, s25
	global_store_short v[20:21], v9, off
	s_andn2_b32 exec_lo, exec_lo, s25
	s_cbranch_execnz .LBB93_48
	s_branch .LBB93_2
.LBB93_49:
	s_endpgm
	.section	.rodata,"a",@progbits
	.p2align	6, 0x0
	.amdhsa_kernel _ZN2at6native12_GLOBAL__N_118cuComputeGradInputIN3c108BFloat16EfLb0EEEvPKT_S7_llPKT0_SA_S7_PS5_
		.amdhsa_group_segment_fixed_size 0
		.amdhsa_private_segment_fixed_size 0
		.amdhsa_kernarg_size 320
		.amdhsa_user_sgpr_count 6
		.amdhsa_user_sgpr_private_segment_buffer 1
		.amdhsa_user_sgpr_dispatch_ptr 0
		.amdhsa_user_sgpr_queue_ptr 0
		.amdhsa_user_sgpr_kernarg_segment_ptr 1
		.amdhsa_user_sgpr_dispatch_id 0
		.amdhsa_user_sgpr_flat_scratch_init 0
		.amdhsa_user_sgpr_private_segment_size 0
		.amdhsa_wavefront_size32 1
		.amdhsa_uses_dynamic_stack 0
		.amdhsa_system_sgpr_private_segment_wavefront_offset 0
		.amdhsa_system_sgpr_workgroup_id_x 1
		.amdhsa_system_sgpr_workgroup_id_y 1
		.amdhsa_system_sgpr_workgroup_id_z 0
		.amdhsa_system_sgpr_workgroup_info 0
		.amdhsa_system_vgpr_workitem_id 1
		.amdhsa_next_free_vgpr 25
		.amdhsa_next_free_sgpr 41
		.amdhsa_reserve_vcc 1
		.amdhsa_reserve_flat_scratch 0
		.amdhsa_float_round_mode_32 0
		.amdhsa_float_round_mode_16_64 0
		.amdhsa_float_denorm_mode_32 3
		.amdhsa_float_denorm_mode_16_64 3
		.amdhsa_dx10_clamp 1
		.amdhsa_ieee_mode 1
		.amdhsa_fp16_overflow 0
		.amdhsa_workgroup_processor_mode 1
		.amdhsa_memory_ordered 1
		.amdhsa_forward_progress 1
		.amdhsa_shared_vgpr_count 0
		.amdhsa_exception_fp_ieee_invalid_op 0
		.amdhsa_exception_fp_denorm_src 0
		.amdhsa_exception_fp_ieee_div_zero 0
		.amdhsa_exception_fp_ieee_overflow 0
		.amdhsa_exception_fp_ieee_underflow 0
		.amdhsa_exception_fp_ieee_inexact 0
		.amdhsa_exception_int_div_zero 0
	.end_amdhsa_kernel
	.section	.text._ZN2at6native12_GLOBAL__N_118cuComputeGradInputIN3c108BFloat16EfLb0EEEvPKT_S7_llPKT0_SA_S7_PS5_,"axG",@progbits,_ZN2at6native12_GLOBAL__N_118cuComputeGradInputIN3c108BFloat16EfLb0EEEvPKT_S7_llPKT0_SA_S7_PS5_,comdat
.Lfunc_end93:
	.size	_ZN2at6native12_GLOBAL__N_118cuComputeGradInputIN3c108BFloat16EfLb0EEEvPKT_S7_llPKT0_SA_S7_PS5_, .Lfunc_end93-_ZN2at6native12_GLOBAL__N_118cuComputeGradInputIN3c108BFloat16EfLb0EEEvPKT_S7_llPKT0_SA_S7_PS5_
                                        ; -- End function
	.set _ZN2at6native12_GLOBAL__N_118cuComputeGradInputIN3c108BFloat16EfLb0EEEvPKT_S7_llPKT0_SA_S7_PS5_.num_vgpr, 25
	.set _ZN2at6native12_GLOBAL__N_118cuComputeGradInputIN3c108BFloat16EfLb0EEEvPKT_S7_llPKT0_SA_S7_PS5_.num_agpr, 0
	.set _ZN2at6native12_GLOBAL__N_118cuComputeGradInputIN3c108BFloat16EfLb0EEEvPKT_S7_llPKT0_SA_S7_PS5_.numbered_sgpr, 41
	.set _ZN2at6native12_GLOBAL__N_118cuComputeGradInputIN3c108BFloat16EfLb0EEEvPKT_S7_llPKT0_SA_S7_PS5_.num_named_barrier, 0
	.set _ZN2at6native12_GLOBAL__N_118cuComputeGradInputIN3c108BFloat16EfLb0EEEvPKT_S7_llPKT0_SA_S7_PS5_.private_seg_size, 0
	.set _ZN2at6native12_GLOBAL__N_118cuComputeGradInputIN3c108BFloat16EfLb0EEEvPKT_S7_llPKT0_SA_S7_PS5_.uses_vcc, 1
	.set _ZN2at6native12_GLOBAL__N_118cuComputeGradInputIN3c108BFloat16EfLb0EEEvPKT_S7_llPKT0_SA_S7_PS5_.uses_flat_scratch, 0
	.set _ZN2at6native12_GLOBAL__N_118cuComputeGradInputIN3c108BFloat16EfLb0EEEvPKT_S7_llPKT0_SA_S7_PS5_.has_dyn_sized_stack, 0
	.set _ZN2at6native12_GLOBAL__N_118cuComputeGradInputIN3c108BFloat16EfLb0EEEvPKT_S7_llPKT0_SA_S7_PS5_.has_recursion, 0
	.set _ZN2at6native12_GLOBAL__N_118cuComputeGradInputIN3c108BFloat16EfLb0EEEvPKT_S7_llPKT0_SA_S7_PS5_.has_indirect_call, 0
	.section	.AMDGPU.csdata,"",@progbits
; Kernel info:
; codeLenInByte = 1820
; TotalNumSgprs: 43
; NumVgprs: 25
; ScratchSize: 0
; MemoryBound: 0
; FloatMode: 240
; IeeeMode: 1
; LDSByteSize: 0 bytes/workgroup (compile time only)
; SGPRBlocks: 0
; VGPRBlocks: 3
; NumSGPRsForWavesPerEU: 43
; NumVGPRsForWavesPerEU: 25
; Occupancy: 16
; WaveLimiterHint : 0
; COMPUTE_PGM_RSRC2:SCRATCH_EN: 0
; COMPUTE_PGM_RSRC2:USER_SGPR: 6
; COMPUTE_PGM_RSRC2:TRAP_HANDLER: 0
; COMPUTE_PGM_RSRC2:TGID_X_EN: 1
; COMPUTE_PGM_RSRC2:TGID_Y_EN: 1
; COMPUTE_PGM_RSRC2:TGID_Z_EN: 0
; COMPUTE_PGM_RSRC2:TIDIG_COMP_CNT: 1
	.section	.text._ZN2at6native12_GLOBAL__N_128layer_norm_grad_input_kernelIN3c108BFloat16EfLb0EEEvPKT_S7_PKT0_SA_S7_PS5_i,"axG",@progbits,_ZN2at6native12_GLOBAL__N_128layer_norm_grad_input_kernelIN3c108BFloat16EfLb0EEEvPKT_S7_PKT0_SA_S7_PS5_i,comdat
	.globl	_ZN2at6native12_GLOBAL__N_128layer_norm_grad_input_kernelIN3c108BFloat16EfLb0EEEvPKT_S7_PKT0_SA_S7_PS5_i ; -- Begin function _ZN2at6native12_GLOBAL__N_128layer_norm_grad_input_kernelIN3c108BFloat16EfLb0EEEvPKT_S7_PKT0_SA_S7_PS5_i
	.p2align	8
	.type	_ZN2at6native12_GLOBAL__N_128layer_norm_grad_input_kernelIN3c108BFloat16EfLb0EEEvPKT_S7_PKT0_SA_S7_PS5_i,@function
_ZN2at6native12_GLOBAL__N_128layer_norm_grad_input_kernelIN3c108BFloat16EfLb0EEEvPKT_S7_PKT0_SA_S7_PS5_i: ; @_ZN2at6native12_GLOBAL__N_128layer_norm_grad_input_kernelIN3c108BFloat16EfLb0EEEvPKT_S7_PKT0_SA_S7_PS5_i
; %bb.0:
	s_clause 0x2
	s_load_dword s16, s[4:5], 0x30
	s_load_dwordx8 s[8:15], s[4:5], 0x0
	s_load_dwordx2 s[2:3], s[4:5], 0x20
	s_mov_b32 s7, 0
	v_lshlrev_b32_e32 v1, 2, v0
	v_mov_b32_e32 v10, 0
	v_mov_b32_e32 v9, 0
	v_or_b32_e32 v2, 3, v1
	s_waitcnt lgkmcnt(0)
	s_ashr_i32 s0, s16, 31
	s_mul_hi_u32 s17, s16, s6
	s_mul_i32 s18, s0, s6
	s_lshl_b64 s[0:1], s[6:7], 2
	s_add_i32 s19, s17, s18
	s_add_u32 s12, s12, s0
	s_addc_u32 s13, s13, s1
	s_add_u32 s0, s14, s0
	s_addc_u32 s1, s15, s1
	s_load_dword s14, s[12:13], 0x0
	s_load_dword s15, s[0:1], 0x0
	s_mul_i32 s18, s16, s6
	s_mov_b32 s0, exec_lo
	s_lshl_b64 s[12:13], s[18:19], 1
	s_add_u32 s6, s10, s12
	s_addc_u32 s17, s11, s13
	s_add_u32 s18, s8, s12
	s_addc_u32 s19, s9, s13
	v_cmpx_gt_u32_e64 s16, v2
	s_cbranch_execz .LBB94_12
; %bb.1:
	s_load_dword s20, s[4:5], 0x44
	s_cmp_lg_u64 s[2:3], 0
	v_mov_b32_e32 v2, 0
	v_mov_b32_e32 v10, 0
	;; [unrolled: 1-line block ×3, first 2 shown]
	s_cselect_b32 s1, -1, 0
	s_waitcnt lgkmcnt(0)
	s_and_b32 s20, s20, 0xffff
	s_lshl_b32 s20, s20, 2
	s_branch .LBB94_3
.LBB94_2:                               ;   in Loop: Header=BB94_3 Depth=1
	global_load_ushort v5, v[5:6], off offset:6
	global_load_ushort v3, v[3:4], off offset:6
	s_waitcnt vmcnt(6)
	v_lshlrev_b32_e32 v4, 16, v16
	v_lshlrev_b32_e32 v6, 16, v15
	s_waitcnt vmcnt(5)
	v_lshlrev_b32_e32 v7, 16, v17
	s_waitcnt vmcnt(4)
	;; [unrolled: 2-line block ×3, first 2 shown]
	v_lshlrev_b32_e32 v15, 16, v20
	v_mul_f32_e32 v16, v12, v4
	v_subrev_f32_e32 v6, s14, v6
	s_waitcnt vmcnt(2)
	v_lshlrev_b32_e32 v17, 16, v19
	v_mul_f32_e32 v18, v11, v8
	v_subrev_f32_e32 v7, s14, v7
	v_fmac_f32_e32 v10, v12, v4
	v_mul_f32_e32 v6, v6, v16
	v_mul_f32_e32 v4, v14, v17
	v_subrev_f32_e32 v12, s14, v15
	v_mul_f32_e32 v7, v7, v18
	v_add_nc_u32_e32 v1, s20, v1
	v_fmac_f32_e32 v9, s15, v6
	v_fmac_f32_e32 v10, v11, v8
	v_mul_f32_e32 v4, v12, v4
	v_fmac_f32_e32 v9, s15, v7
	v_add_nc_u32_e32 v7, 3, v1
	v_fmac_f32_e32 v10, v14, v17
	v_fmac_f32_e32 v9, s15, v4
	v_cmp_le_u32_e32 vcc_lo, s16, v7
	s_or_b32 s7, vcc_lo, s7
	s_waitcnt vmcnt(1)
	v_lshlrev_b32_e32 v5, 16, v5
	s_waitcnt vmcnt(0)
	v_lshlrev_b32_e32 v3, 16, v3
	v_mul_f32_e32 v6, v13, v5
	v_subrev_f32_e32 v3, s14, v3
	v_fmac_f32_e32 v10, v13, v5
	v_mul_f32_e32 v3, v3, v6
	v_fmac_f32_e32 v9, s15, v3
	s_andn2_b32 exec_lo, exec_lo, s7
	s_cbranch_execz .LBB94_11
.LBB94_3:                               ; =>This Inner Loop Header: Depth=1
	v_lshlrev_b64 v[7:8], 1, v[1:2]
	v_mov_b32_e32 v11, 1.0
	v_mov_b32_e32 v12, 1.0
	s_and_b32 vcc_lo, exec_lo, s1
	s_cbranch_vccz .LBB94_5
; %bb.4:                                ;   in Loop: Header=BB94_3 Depth=1
	v_add_co_u32 v3, vcc_lo, s2, v7
	v_add_co_ci_u32_e64 v4, null, s3, v8, vcc_lo
	global_load_ushort v3, v[3:4], off
	s_waitcnt vmcnt(0)
	v_lshlrev_b32_e32 v12, 16, v3
.LBB94_5:                               ;   in Loop: Header=BB94_3 Depth=1
	v_add_co_u32 v3, vcc_lo, s6, v7
	v_add_co_ci_u32_e64 v4, null, s17, v8, vcc_lo
	v_add_co_u32 v5, vcc_lo, s18, v7
	v_add_co_ci_u32_e64 v6, null, s19, v8, vcc_lo
	global_load_ushort v15, v[3:4], off
	global_load_ushort v16, v[5:6], off
	s_andn2_b32 vcc_lo, exec_lo, s1
	s_cbranch_vccnz .LBB94_7
; %bb.6:                                ;   in Loop: Header=BB94_3 Depth=1
	v_add_co_u32 v13, vcc_lo, s2, v7
	v_add_co_ci_u32_e64 v14, null, s3, v8, vcc_lo
	global_load_ushort v11, v[13:14], off offset:2
	s_waitcnt vmcnt(0)
	v_lshlrev_b32_e32 v11, 16, v11
.LBB94_7:                               ;   in Loop: Header=BB94_3 Depth=1
	global_load_ushort v17, v[3:4], off offset:2
	global_load_ushort v18, v[5:6], off offset:2
	v_mov_b32_e32 v13, 1.0
	v_mov_b32_e32 v14, 1.0
	s_andn2_b32 vcc_lo, exec_lo, s1
	s_cbranch_vccnz .LBB94_9
; %bb.8:                                ;   in Loop: Header=BB94_3 Depth=1
	v_add_co_u32 v19, vcc_lo, s2, v7
	v_add_co_ci_u32_e64 v20, null, s3, v8, vcc_lo
	global_load_ushort v14, v[19:20], off offset:4
	s_waitcnt vmcnt(0)
	v_lshlrev_b32_e32 v14, 16, v14
.LBB94_9:                               ;   in Loop: Header=BB94_3 Depth=1
	global_load_ushort v20, v[3:4], off offset:4
	global_load_ushort v19, v[5:6], off offset:4
	s_andn2_b32 vcc_lo, exec_lo, s1
	s_cbranch_vccnz .LBB94_2
; %bb.10:                               ;   in Loop: Header=BB94_3 Depth=1
	v_add_co_u32 v7, vcc_lo, s2, v7
	v_add_co_ci_u32_e64 v8, null, s3, v8, vcc_lo
	global_load_ushort v7, v[7:8], off offset:6
	s_waitcnt vmcnt(0)
	v_lshlrev_b32_e32 v13, 16, v7
	s_branch .LBB94_2
.LBB94_11:
	s_or_b32 exec_lo, exec_lo, s7
.LBB94_12:
	s_or_b32 exec_lo, exec_lo, s0
	s_mov_b32 s1, exec_lo
	v_cmpx_gt_u32_e64 s16, v1
	s_cbranch_execz .LBB94_19
; %bb.13:
	v_mov_b32_e32 v2, 0
	s_cmp_lg_u64 s[2:3], 0
	s_cselect_b32 s7, -1, 0
	v_lshlrev_b64 v[2:3], 1, v[1:2]
	v_add_co_u32 v6, vcc_lo, s12, v2
	v_add_co_ci_u32_e64 v7, null, s13, v3, vcc_lo
	v_add_co_u32 v2, vcc_lo, s2, v2
	v_add_co_ci_u32_e64 v3, null, s3, v3, vcc_lo
	;; [unrolled: 2-line block ×4, first 2 shown]
	s_mov_b32 s8, 0
	s_inst_prefetch 0x1
	s_branch .LBB94_16
	.p2align	6
.LBB94_14:                              ;   in Loop: Header=BB94_16 Depth=1
	global_load_ushort v8, v[2:3], off
	s_waitcnt vmcnt(0)
	v_lshlrev_b32_e32 v8, 16, v8
.LBB94_15:                              ;   in Loop: Header=BB94_16 Depth=1
	global_load_ushort v11, v[6:7], off
	global_load_ushort v12, v[4:5], off
	v_add_nc_u32_e32 v1, 1, v1
	v_add_co_u32 v2, vcc_lo, v2, 2
	v_add_co_ci_u32_e64 v3, null, 0, v3, vcc_lo
	v_add_co_u32 v4, vcc_lo, v4, 2
	v_add_co_ci_u32_e64 v5, null, 0, v5, vcc_lo
	v_cmp_le_u32_e32 vcc_lo, s16, v1
	v_add_co_u32 v6, s0, v6, 2
	v_add_co_ci_u32_e64 v7, null, 0, v7, s0
	s_or_b32 s8, vcc_lo, s8
	s_waitcnt vmcnt(1)
	v_lshlrev_b32_e32 v11, 16, v11
	s_waitcnt vmcnt(0)
	v_lshlrev_b32_e32 v12, 16, v12
	v_mul_f32_e32 v13, v8, v11
	s_waitcnt lgkmcnt(0)
	v_subrev_f32_e32 v12, s14, v12
	v_fmac_f32_e32 v10, v8, v11
	v_mul_f32_e32 v12, v12, v13
	v_fmac_f32_e32 v9, s15, v12
	s_andn2_b32 exec_lo, exec_lo, s8
	s_cbranch_execz .LBB94_18
.LBB94_16:                              ; =>This Inner Loop Header: Depth=1
	s_andn2_b32 vcc_lo, exec_lo, s7
	s_cbranch_vccz .LBB94_14
; %bb.17:                               ;   in Loop: Header=BB94_16 Depth=1
	v_mov_b32_e32 v8, 1.0
	s_branch .LBB94_15
.LBB94_18:
	s_inst_prefetch 0x2
	s_or_b32 exec_lo, exec_lo, s8
.LBB94_19:
	s_or_b32 exec_lo, exec_lo, s1
	v_mbcnt_lo_u32_b32 v1, -1, 0
	s_waitcnt lgkmcnt(0)
	s_barrier
	buffer_gl0_inv
	v_lshl_or_b32 v3, v1, 2, 64
	v_cmp_gt_u32_e32 vcc_lo, 24, v1
	ds_bpermute_b32 v2, v3, v10
	v_cndmask_b32_e64 v4, 0, 8, vcc_lo
	v_cmp_gt_u32_e32 vcc_lo, 28, v1
	v_add_lshl_u32 v4, v4, v1, 2
	v_cndmask_b32_e64 v5, 0, 4, vcc_lo
	v_cmp_gt_u32_e32 vcc_lo, 30, v1
	v_add_lshl_u32 v5, v5, v1, 2
	s_waitcnt lgkmcnt(0)
	v_add_f32_e32 v2, v10, v2
	ds_bpermute_b32 v6, v4, v2
	s_waitcnt lgkmcnt(0)
	v_add_f32_e32 v2, v2, v6
	v_cndmask_b32_e64 v6, 0, 2, vcc_lo
	v_cmp_ne_u32_e32 vcc_lo, 31, v1
	ds_bpermute_b32 v7, v5, v2
	v_add_lshl_u32 v6, v6, v1, 2
	v_add_co_ci_u32_e64 v8, null, 0, v1, vcc_lo
	s_waitcnt lgkmcnt(0)
	v_add_f32_e32 v2, v2, v7
	ds_bpermute_b32 v7, v6, v2
	s_waitcnt lgkmcnt(0)
	v_add_f32_e32 v1, v2, v7
	v_lshlrev_b32_e32 v7, 2, v8
	v_and_b32_e32 v8, 31, v0
	v_lshrrev_b32_e32 v2, 3, v0
	ds_bpermute_b32 v10, v7, v1
	v_cmp_eq_u32_e32 vcc_lo, 0, v8
	s_and_saveexec_b32 s0, vcc_lo
	s_cbranch_execz .LBB94_21
; %bb.20:
	v_add_nc_u32_e32 v11, 0, v2
	s_waitcnt lgkmcnt(0)
	v_add_f32_e32 v1, v1, v10
	ds_write_b32 v11, v1
.LBB94_21:
	s_or_b32 exec_lo, exec_lo, s0
	s_waitcnt lgkmcnt(0)
	s_barrier
	buffer_gl0_inv
	s_load_dword s7, s[4:5], 0x44
	v_mov_b32_e32 v1, 0
	v_lshl_add_u32 v8, v8, 2, 0
	s_waitcnt lgkmcnt(0)
	s_bfe_u32 s0, s7, 0xb0005
	v_cmp_gt_u32_e64 s0, s0, v0
	s_and_saveexec_b32 s1, s0
; %bb.22:
	ds_read_b32 v1, v8
; %bb.23:
	s_or_b32 exec_lo, exec_lo, s1
	v_cmp_gt_u32_e64 s1, 32, v0
	s_and_saveexec_b32 s8, s1
	s_cbranch_execz .LBB94_25
; %bb.24:
	s_waitcnt lgkmcnt(0)
	ds_bpermute_b32 v10, v3, v1
	s_waitcnt lgkmcnt(0)
	v_add_f32_e32 v1, v1, v10
	ds_bpermute_b32 v10, v4, v1
	s_waitcnt lgkmcnt(0)
	v_add_f32_e32 v1, v1, v10
	;; [unrolled: 3-line block ×5, first 2 shown]
.LBB94_25:
	s_or_b32 exec_lo, exec_lo, s8
	ds_bpermute_b32 v10, v3, v9
	s_waitcnt lgkmcnt(0)
	s_barrier
	buffer_gl0_inv
	v_add_f32_e32 v9, v9, v10
	ds_bpermute_b32 v10, v4, v9
	s_waitcnt lgkmcnt(0)
	v_add_f32_e32 v9, v9, v10
	ds_bpermute_b32 v10, v5, v9
	s_waitcnt lgkmcnt(0)
	;; [unrolled: 3-line block ×3, first 2 shown]
	v_add_f32_e32 v9, v9, v10
	ds_bpermute_b32 v10, v7, v9
	s_and_saveexec_b32 s8, vcc_lo
	s_cbranch_execz .LBB94_27
; %bb.26:
	v_add_nc_u32_e32 v2, 0, v2
	s_waitcnt lgkmcnt(0)
	v_add_f32_e32 v9, v9, v10
	ds_write_b32 v2, v9
.LBB94_27:
	s_or_b32 exec_lo, exec_lo, s8
	v_mov_b32_e32 v2, 0
	s_waitcnt lgkmcnt(0)
	s_barrier
	buffer_gl0_inv
	s_and_saveexec_b32 s8, s0
; %bb.28:
	ds_read_b32 v2, v8
; %bb.29:
	s_or_b32 exec_lo, exec_lo, s8
	s_and_saveexec_b32 s0, s1
	s_cbranch_execz .LBB94_31
; %bb.30:
	s_waitcnt lgkmcnt(0)
	ds_bpermute_b32 v3, v3, v2
	s_waitcnt lgkmcnt(0)
	v_add_f32_e32 v2, v2, v3
	ds_bpermute_b32 v3, v4, v2
	s_waitcnt lgkmcnt(0)
	v_add_f32_e32 v2, v2, v3
	;; [unrolled: 3-line block ×5, first 2 shown]
.LBB94_31:
	s_or_b32 exec_lo, exec_lo, s0
	s_mov_b32 s0, exec_lo
	v_cmpx_eq_u32_e32 0, v0
	s_cbranch_execz .LBB94_33
; %bb.32:
	v_mov_b32_e32 v3, 0
	s_waitcnt lgkmcnt(0)
	ds_write_b64 v3, v[1:2]
.LBB94_33:
	s_or_b32 exec_lo, exec_lo, s0
	s_waitcnt lgkmcnt(0)
	s_barrier
	buffer_gl0_inv
	s_mov_b32 s0, exec_lo
	v_cmpx_gt_i32_e64 s16, v0
	s_cbranch_execz .LBB94_39
; %bb.34:
	v_cvt_f32_i32_e32 v6, s16
	s_load_dwordx2 s[4:5], s[4:5], 0x28
	s_and_b32 s1, 0xffff, s7
	v_mov_b32_e32 v8, 0x7fc0
	s_mov_b32 s8, 0
	v_div_scale_f32 v1, null, v6, v6, 1.0
	v_div_scale_f32 v3, vcc_lo, 1.0, v6, 1.0
	v_rcp_f32_e32 v4, v1
	v_fma_f32 v2, -v1, v4, 1.0
	s_waitcnt lgkmcnt(0)
	s_add_u32 s4, s4, s12
	s_addc_u32 s5, s5, s13
	s_cmp_lg_u64 s[2:3], 0
	s_cselect_b32 s7, -1, 0
	v_fmac_f32_e32 v4, v2, v4
	v_mul_f32_e32 v5, v3, v4
	v_fma_f32 v2, -v1, v5, v3
	v_fmac_f32_e32 v5, v2, v4
	v_mov_b32_e32 v2, 0
	v_fma_f32 v1, -v1, v5, v3
	ds_read_b64 v[2:3], v2
	v_div_fmas_f32 v1, v1, v4, v5
	v_div_fixup_f32 v1, v1, v6, 1.0
	v_mul_f32_e32 v7, s15, v1
	s_branch .LBB94_37
.LBB94_35:                              ;   in Loop: Header=BB94_37 Depth=1
	v_add_co_u32 v10, vcc_lo, s2, v4
	v_add_co_ci_u32_e64 v11, null, s3, v5, vcc_lo
	global_load_ushort v10, v[10:11], off
	s_waitcnt vmcnt(0)
	v_lshlrev_b32_e32 v10, 16, v10
.LBB94_36:                              ;   in Loop: Header=BB94_37 Depth=1
	s_waitcnt vmcnt(1)
	v_lshlrev_b32_e32 v9, 16, v9
	v_mul_f32_e32 v10, v10, v6
	s_waitcnt vmcnt(0)
	v_lshlrev_b32_e32 v1, 16, v1
	v_add_nc_u32_e32 v0, s1, v0
	v_subrev_f32_e32 v9, s14, v9
	v_cmp_le_i32_e64 s0, s16, v0
	v_mul_f32_e32 v9, s15, v9
	s_or_b32 s8, s0, s8
	s_waitcnt lgkmcnt(0)
	v_mul_f32_e32 v9, v3, v9
	v_fma_f32 v1, v10, v1, -v9
	v_sub_f32_e32 v1, v1, v2
	v_mul_f32_e32 v1, v7, v1
	v_bfe_u32 v9, v1, 16, 1
	v_cmp_o_f32_e32 vcc_lo, v1, v1
	v_add3_u32 v1, v1, v9, 0x7fff
	v_cndmask_b32_sdwa v1, v8, v1, vcc_lo dst_sel:DWORD dst_unused:UNUSED_PAD src0_sel:DWORD src1_sel:WORD_1
	v_add_co_u32 v4, vcc_lo, s4, v4
	v_add_co_ci_u32_e64 v5, null, s5, v5, vcc_lo
	global_store_short v[4:5], v1, off
	s_andn2_b32 exec_lo, exec_lo, s8
	s_cbranch_execz .LBB94_39
.LBB94_37:                              ; =>This Inner Loop Header: Depth=1
	v_ashrrev_i32_e32 v1, 31, v0
	v_lshlrev_b64 v[4:5], 1, v[0:1]
	v_add_co_u32 v9, vcc_lo, s6, v4
	v_add_co_ci_u32_e64 v10, null, s17, v5, vcc_lo
	v_add_co_u32 v11, vcc_lo, s18, v4
	v_add_co_ci_u32_e64 v12, null, s19, v5, vcc_lo
	global_load_ushort v9, v[9:10], off
	global_load_ushort v1, v[11:12], off
	s_andn2_b32 vcc_lo, exec_lo, s7
	s_cbranch_vccz .LBB94_35
; %bb.38:                               ;   in Loop: Header=BB94_37 Depth=1
	v_mov_b32_e32 v10, 1.0
	s_branch .LBB94_36
.LBB94_39:
	s_endpgm
	.section	.rodata,"a",@progbits
	.p2align	6, 0x0
	.amdhsa_kernel _ZN2at6native12_GLOBAL__N_128layer_norm_grad_input_kernelIN3c108BFloat16EfLb0EEEvPKT_S7_PKT0_SA_S7_PS5_i
		.amdhsa_group_segment_fixed_size 0
		.amdhsa_private_segment_fixed_size 0
		.amdhsa_kernarg_size 312
		.amdhsa_user_sgpr_count 6
		.amdhsa_user_sgpr_private_segment_buffer 1
		.amdhsa_user_sgpr_dispatch_ptr 0
		.amdhsa_user_sgpr_queue_ptr 0
		.amdhsa_user_sgpr_kernarg_segment_ptr 1
		.amdhsa_user_sgpr_dispatch_id 0
		.amdhsa_user_sgpr_flat_scratch_init 0
		.amdhsa_user_sgpr_private_segment_size 0
		.amdhsa_wavefront_size32 1
		.amdhsa_uses_dynamic_stack 0
		.amdhsa_system_sgpr_private_segment_wavefront_offset 0
		.amdhsa_system_sgpr_workgroup_id_x 1
		.amdhsa_system_sgpr_workgroup_id_y 0
		.amdhsa_system_sgpr_workgroup_id_z 0
		.amdhsa_system_sgpr_workgroup_info 0
		.amdhsa_system_vgpr_workitem_id 0
		.amdhsa_next_free_vgpr 21
		.amdhsa_next_free_sgpr 21
		.amdhsa_reserve_vcc 1
		.amdhsa_reserve_flat_scratch 0
		.amdhsa_float_round_mode_32 0
		.amdhsa_float_round_mode_16_64 0
		.amdhsa_float_denorm_mode_32 3
		.amdhsa_float_denorm_mode_16_64 3
		.amdhsa_dx10_clamp 1
		.amdhsa_ieee_mode 1
		.amdhsa_fp16_overflow 0
		.amdhsa_workgroup_processor_mode 1
		.amdhsa_memory_ordered 1
		.amdhsa_forward_progress 1
		.amdhsa_shared_vgpr_count 0
		.amdhsa_exception_fp_ieee_invalid_op 0
		.amdhsa_exception_fp_denorm_src 0
		.amdhsa_exception_fp_ieee_div_zero 0
		.amdhsa_exception_fp_ieee_overflow 0
		.amdhsa_exception_fp_ieee_underflow 0
		.amdhsa_exception_fp_ieee_inexact 0
		.amdhsa_exception_int_div_zero 0
	.end_amdhsa_kernel
	.section	.text._ZN2at6native12_GLOBAL__N_128layer_norm_grad_input_kernelIN3c108BFloat16EfLb0EEEvPKT_S7_PKT0_SA_S7_PS5_i,"axG",@progbits,_ZN2at6native12_GLOBAL__N_128layer_norm_grad_input_kernelIN3c108BFloat16EfLb0EEEvPKT_S7_PKT0_SA_S7_PS5_i,comdat
.Lfunc_end94:
	.size	_ZN2at6native12_GLOBAL__N_128layer_norm_grad_input_kernelIN3c108BFloat16EfLb0EEEvPKT_S7_PKT0_SA_S7_PS5_i, .Lfunc_end94-_ZN2at6native12_GLOBAL__N_128layer_norm_grad_input_kernelIN3c108BFloat16EfLb0EEEvPKT_S7_PKT0_SA_S7_PS5_i
                                        ; -- End function
	.set _ZN2at6native12_GLOBAL__N_128layer_norm_grad_input_kernelIN3c108BFloat16EfLb0EEEvPKT_S7_PKT0_SA_S7_PS5_i.num_vgpr, 21
	.set _ZN2at6native12_GLOBAL__N_128layer_norm_grad_input_kernelIN3c108BFloat16EfLb0EEEvPKT_S7_PKT0_SA_S7_PS5_i.num_agpr, 0
	.set _ZN2at6native12_GLOBAL__N_128layer_norm_grad_input_kernelIN3c108BFloat16EfLb0EEEvPKT_S7_PKT0_SA_S7_PS5_i.numbered_sgpr, 21
	.set _ZN2at6native12_GLOBAL__N_128layer_norm_grad_input_kernelIN3c108BFloat16EfLb0EEEvPKT_S7_PKT0_SA_S7_PS5_i.num_named_barrier, 0
	.set _ZN2at6native12_GLOBAL__N_128layer_norm_grad_input_kernelIN3c108BFloat16EfLb0EEEvPKT_S7_PKT0_SA_S7_PS5_i.private_seg_size, 0
	.set _ZN2at6native12_GLOBAL__N_128layer_norm_grad_input_kernelIN3c108BFloat16EfLb0EEEvPKT_S7_PKT0_SA_S7_PS5_i.uses_vcc, 1
	.set _ZN2at6native12_GLOBAL__N_128layer_norm_grad_input_kernelIN3c108BFloat16EfLb0EEEvPKT_S7_PKT0_SA_S7_PS5_i.uses_flat_scratch, 0
	.set _ZN2at6native12_GLOBAL__N_128layer_norm_grad_input_kernelIN3c108BFloat16EfLb0EEEvPKT_S7_PKT0_SA_S7_PS5_i.has_dyn_sized_stack, 0
	.set _ZN2at6native12_GLOBAL__N_128layer_norm_grad_input_kernelIN3c108BFloat16EfLb0EEEvPKT_S7_PKT0_SA_S7_PS5_i.has_recursion, 0
	.set _ZN2at6native12_GLOBAL__N_128layer_norm_grad_input_kernelIN3c108BFloat16EfLb0EEEvPKT_S7_PKT0_SA_S7_PS5_i.has_indirect_call, 0
	.section	.AMDGPU.csdata,"",@progbits
; Kernel info:
; codeLenInByte = 2036
; TotalNumSgprs: 23
; NumVgprs: 21
; ScratchSize: 0
; MemoryBound: 0
; FloatMode: 240
; IeeeMode: 1
; LDSByteSize: 0 bytes/workgroup (compile time only)
; SGPRBlocks: 0
; VGPRBlocks: 2
; NumSGPRsForWavesPerEU: 23
; NumVGPRsForWavesPerEU: 21
; Occupancy: 16
; WaveLimiterHint : 0
; COMPUTE_PGM_RSRC2:SCRATCH_EN: 0
; COMPUTE_PGM_RSRC2:USER_SGPR: 6
; COMPUTE_PGM_RSRC2:TRAP_HANDLER: 0
; COMPUTE_PGM_RSRC2:TGID_X_EN: 1
; COMPUTE_PGM_RSRC2:TGID_Y_EN: 0
; COMPUTE_PGM_RSRC2:TGID_Z_EN: 0
; COMPUTE_PGM_RSRC2:TIDIG_COMP_CNT: 0
	.section	.text._ZN2at6native12_GLOBAL__N_133GammaBetaBackwardSimpleCUDAKernelIN3c108BFloat16EfLb0EEEvllPKT_S7_PKT0_SA_PS5_SB_,"axG",@progbits,_ZN2at6native12_GLOBAL__N_133GammaBetaBackwardSimpleCUDAKernelIN3c108BFloat16EfLb0EEEvllPKT_S7_PKT0_SA_PS5_SB_,comdat
	.globl	_ZN2at6native12_GLOBAL__N_133GammaBetaBackwardSimpleCUDAKernelIN3c108BFloat16EfLb0EEEvllPKT_S7_PKT0_SA_PS5_SB_ ; -- Begin function _ZN2at6native12_GLOBAL__N_133GammaBetaBackwardSimpleCUDAKernelIN3c108BFloat16EfLb0EEEvllPKT_S7_PKT0_SA_PS5_SB_
	.p2align	8
	.type	_ZN2at6native12_GLOBAL__N_133GammaBetaBackwardSimpleCUDAKernelIN3c108BFloat16EfLb0EEEvllPKT_S7_PKT0_SA_PS5_SB_,@function
_ZN2at6native12_GLOBAL__N_133GammaBetaBackwardSimpleCUDAKernelIN3c108BFloat16EfLb0EEEvllPKT_S7_PKT0_SA_PS5_SB_: ; @_ZN2at6native12_GLOBAL__N_133GammaBetaBackwardSimpleCUDAKernelIN3c108BFloat16EfLb0EEEvllPKT_S7_PKT0_SA_PS5_SB_
; %bb.0:
	s_clause 0x1
	s_load_dword s0, s[4:5], 0x4c
	s_load_dwordx16 s[8:23], s[4:5], 0x0
	v_mov_b32_e32 v1, 0
	s_waitcnt lgkmcnt(0)
	s_and_b32 s0, s0, 0xffff
	v_mad_u64_u32 v[2:3], null, s0, s6, v[0:1]
	s_mov_b32 s0, exec_lo
	v_cmpx_gt_i64_e64 s[10:11], v[2:3]
	s_cbranch_execz .LBB95_13
; %bb.1:
	v_cmp_lt_i64_e64 s0, s[8:9], 1
	v_lshlrev_b64 v[2:3], 1, v[2:3]
	v_mov_b32_e32 v0, 0
	s_and_b32 vcc_lo, exec_lo, s0
	s_cbranch_vccnz .LBB95_9
; %bb.2:
	s_cmp_lg_u64 s[20:21], 0
	v_mov_b32_e32 v5, v3
	v_mov_b32_e32 v1, 0
	;; [unrolled: 1-line block ×4, first 2 shown]
	s_cselect_b32 s2, -1, 0
	s_cmp_lg_u64 s[22:23], 0
	s_cselect_b32 s3, -1, 0
	s_lshl_b64 s[0:1], s[10:11], 1
	s_branch .LBB95_5
.LBB95_3:                               ;   in Loop: Header=BB95_5 Depth=1
	v_add_co_u32 v7, vcc_lo, s12, v4
	v_add_co_ci_u32_e64 v8, null, s13, v5, vcc_lo
	global_load_ushort v7, v[7:8], off
	s_waitcnt vmcnt(0)
	v_lshlrev_b32_e32 v7, 16, v7
.LBB95_4:                               ;   in Loop: Header=BB95_5 Depth=1
	s_add_u32 s8, s8, -1
	s_addc_u32 s9, s9, -1
	v_add_co_u32 v4, vcc_lo, v4, s0
	s_add_u32 s18, s18, 4
	v_add_f32_e32 v1, v1, v6
	v_add_f32_e32 v0, v0, v7
	v_add_co_ci_u32_e64 v5, null, s1, v5, vcc_lo
	s_addc_u32 s19, s19, 0
	s_add_u32 s16, s16, 4
	s_addc_u32 s17, s17, 0
	s_cmp_eq_u64 s[8:9], 0
	s_cbranch_scc1 .LBB95_9
.LBB95_5:                               ; =>This Inner Loop Header: Depth=1
	v_mov_b32_e32 v6, 0
	s_andn2_b32 vcc_lo, exec_lo, s2
	s_cbranch_vccnz .LBB95_7
; %bb.6:                                ;   in Loop: Header=BB95_5 Depth=1
	v_add_co_u32 v6, vcc_lo, s14, v4
	v_add_co_ci_u32_e64 v7, null, s15, v5, vcc_lo
	v_add_co_u32 v8, vcc_lo, s12, v4
	v_add_co_ci_u32_e64 v9, null, s13, v5, vcc_lo
	global_load_ushort v6, v[6:7], off
	global_load_ushort v7, v[8:9], off
	s_load_dword s4, s[16:17], 0x0
	s_load_dword s5, s[18:19], 0x0
	s_waitcnt vmcnt(1)
	v_lshlrev_b32_e32 v6, 16, v6
	s_waitcnt vmcnt(0)
	v_lshlrev_b32_e32 v7, 16, v7
	s_waitcnt lgkmcnt(0)
	v_subrev_f32_e32 v6, s4, v6
	v_mul_f32_e32 v6, v6, v7
	v_mul_f32_e32 v6, s5, v6
.LBB95_7:                               ;   in Loop: Header=BB95_5 Depth=1
	s_andn2_b32 vcc_lo, exec_lo, s3
	s_cbranch_vccz .LBB95_3
; %bb.8:                                ;   in Loop: Header=BB95_5 Depth=1
	v_mov_b32_e32 v7, 0
	s_branch .LBB95_4
.LBB95_9:
	s_cmp_lg_u64 s[20:21], 0
	s_cbranch_scc0 .LBB95_11
; %bb.10:
	v_bfe_u32 v4, v1, 16, 1
	v_cmp_o_f32_e32 vcc_lo, v1, v1
	v_mov_b32_e32 v5, 0x7fc0
	v_add3_u32 v1, v1, v4, 0x7fff
	v_cndmask_b32_sdwa v1, v5, v1, vcc_lo dst_sel:DWORD dst_unused:UNUSED_PAD src0_sel:DWORD src1_sel:WORD_1
	v_add_co_u32 v4, vcc_lo, s20, v2
	v_add_co_ci_u32_e64 v5, null, s21, v3, vcc_lo
	global_store_short v[4:5], v1, off
.LBB95_11:
	s_cmp_eq_u64 s[22:23], 0
	s_cbranch_scc1 .LBB95_13
; %bb.12:
	v_bfe_u32 v1, v0, 16, 1
	v_cmp_o_f32_e32 vcc_lo, v0, v0
	v_mov_b32_e32 v4, 0x7fc0
	v_add3_u32 v0, v0, v1, 0x7fff
	v_cndmask_b32_sdwa v4, v4, v0, vcc_lo dst_sel:DWORD dst_unused:UNUSED_PAD src0_sel:DWORD src1_sel:WORD_1
	v_add_co_u32 v0, vcc_lo, s22, v2
	v_add_co_ci_u32_e64 v1, null, s23, v3, vcc_lo
	global_store_short v[0:1], v4, off
.LBB95_13:
	s_endpgm
	.section	.rodata,"a",@progbits
	.p2align	6, 0x0
	.amdhsa_kernel _ZN2at6native12_GLOBAL__N_133GammaBetaBackwardSimpleCUDAKernelIN3c108BFloat16EfLb0EEEvllPKT_S7_PKT0_SA_PS5_SB_
		.amdhsa_group_segment_fixed_size 0
		.amdhsa_private_segment_fixed_size 0
		.amdhsa_kernarg_size 320
		.amdhsa_user_sgpr_count 6
		.amdhsa_user_sgpr_private_segment_buffer 1
		.amdhsa_user_sgpr_dispatch_ptr 0
		.amdhsa_user_sgpr_queue_ptr 0
		.amdhsa_user_sgpr_kernarg_segment_ptr 1
		.amdhsa_user_sgpr_dispatch_id 0
		.amdhsa_user_sgpr_flat_scratch_init 0
		.amdhsa_user_sgpr_private_segment_size 0
		.amdhsa_wavefront_size32 1
		.amdhsa_uses_dynamic_stack 0
		.amdhsa_system_sgpr_private_segment_wavefront_offset 0
		.amdhsa_system_sgpr_workgroup_id_x 1
		.amdhsa_system_sgpr_workgroup_id_y 0
		.amdhsa_system_sgpr_workgroup_id_z 0
		.amdhsa_system_sgpr_workgroup_info 0
		.amdhsa_system_vgpr_workitem_id 0
		.amdhsa_next_free_vgpr 10
		.amdhsa_next_free_sgpr 24
		.amdhsa_reserve_vcc 1
		.amdhsa_reserve_flat_scratch 0
		.amdhsa_float_round_mode_32 0
		.amdhsa_float_round_mode_16_64 0
		.amdhsa_float_denorm_mode_32 3
		.amdhsa_float_denorm_mode_16_64 3
		.amdhsa_dx10_clamp 1
		.amdhsa_ieee_mode 1
		.amdhsa_fp16_overflow 0
		.amdhsa_workgroup_processor_mode 1
		.amdhsa_memory_ordered 1
		.amdhsa_forward_progress 1
		.amdhsa_shared_vgpr_count 0
		.amdhsa_exception_fp_ieee_invalid_op 0
		.amdhsa_exception_fp_denorm_src 0
		.amdhsa_exception_fp_ieee_div_zero 0
		.amdhsa_exception_fp_ieee_overflow 0
		.amdhsa_exception_fp_ieee_underflow 0
		.amdhsa_exception_fp_ieee_inexact 0
		.amdhsa_exception_int_div_zero 0
	.end_amdhsa_kernel
	.section	.text._ZN2at6native12_GLOBAL__N_133GammaBetaBackwardSimpleCUDAKernelIN3c108BFloat16EfLb0EEEvllPKT_S7_PKT0_SA_PS5_SB_,"axG",@progbits,_ZN2at6native12_GLOBAL__N_133GammaBetaBackwardSimpleCUDAKernelIN3c108BFloat16EfLb0EEEvllPKT_S7_PKT0_SA_PS5_SB_,comdat
.Lfunc_end95:
	.size	_ZN2at6native12_GLOBAL__N_133GammaBetaBackwardSimpleCUDAKernelIN3c108BFloat16EfLb0EEEvllPKT_S7_PKT0_SA_PS5_SB_, .Lfunc_end95-_ZN2at6native12_GLOBAL__N_133GammaBetaBackwardSimpleCUDAKernelIN3c108BFloat16EfLb0EEEvllPKT_S7_PKT0_SA_PS5_SB_
                                        ; -- End function
	.set _ZN2at6native12_GLOBAL__N_133GammaBetaBackwardSimpleCUDAKernelIN3c108BFloat16EfLb0EEEvllPKT_S7_PKT0_SA_PS5_SB_.num_vgpr, 10
	.set _ZN2at6native12_GLOBAL__N_133GammaBetaBackwardSimpleCUDAKernelIN3c108BFloat16EfLb0EEEvllPKT_S7_PKT0_SA_PS5_SB_.num_agpr, 0
	.set _ZN2at6native12_GLOBAL__N_133GammaBetaBackwardSimpleCUDAKernelIN3c108BFloat16EfLb0EEEvllPKT_S7_PKT0_SA_PS5_SB_.numbered_sgpr, 24
	.set _ZN2at6native12_GLOBAL__N_133GammaBetaBackwardSimpleCUDAKernelIN3c108BFloat16EfLb0EEEvllPKT_S7_PKT0_SA_PS5_SB_.num_named_barrier, 0
	.set _ZN2at6native12_GLOBAL__N_133GammaBetaBackwardSimpleCUDAKernelIN3c108BFloat16EfLb0EEEvllPKT_S7_PKT0_SA_PS5_SB_.private_seg_size, 0
	.set _ZN2at6native12_GLOBAL__N_133GammaBetaBackwardSimpleCUDAKernelIN3c108BFloat16EfLb0EEEvllPKT_S7_PKT0_SA_PS5_SB_.uses_vcc, 1
	.set _ZN2at6native12_GLOBAL__N_133GammaBetaBackwardSimpleCUDAKernelIN3c108BFloat16EfLb0EEEvllPKT_S7_PKT0_SA_PS5_SB_.uses_flat_scratch, 0
	.set _ZN2at6native12_GLOBAL__N_133GammaBetaBackwardSimpleCUDAKernelIN3c108BFloat16EfLb0EEEvllPKT_S7_PKT0_SA_PS5_SB_.has_dyn_sized_stack, 0
	.set _ZN2at6native12_GLOBAL__N_133GammaBetaBackwardSimpleCUDAKernelIN3c108BFloat16EfLb0EEEvllPKT_S7_PKT0_SA_PS5_SB_.has_recursion, 0
	.set _ZN2at6native12_GLOBAL__N_133GammaBetaBackwardSimpleCUDAKernelIN3c108BFloat16EfLb0EEEvllPKT_S7_PKT0_SA_PS5_SB_.has_indirect_call, 0
	.section	.AMDGPU.csdata,"",@progbits
; Kernel info:
; codeLenInByte = 488
; TotalNumSgprs: 26
; NumVgprs: 10
; ScratchSize: 0
; MemoryBound: 0
; FloatMode: 240
; IeeeMode: 1
; LDSByteSize: 0 bytes/workgroup (compile time only)
; SGPRBlocks: 0
; VGPRBlocks: 1
; NumSGPRsForWavesPerEU: 26
; NumVGPRsForWavesPerEU: 10
; Occupancy: 16
; WaveLimiterHint : 0
; COMPUTE_PGM_RSRC2:SCRATCH_EN: 0
; COMPUTE_PGM_RSRC2:USER_SGPR: 6
; COMPUTE_PGM_RSRC2:TRAP_HANDLER: 0
; COMPUTE_PGM_RSRC2:TGID_X_EN: 1
; COMPUTE_PGM_RSRC2:TGID_Y_EN: 0
; COMPUTE_PGM_RSRC2:TGID_Z_EN: 0
; COMPUTE_PGM_RSRC2:TIDIG_COMP_CNT: 0
	.section	.text._ZN2at6native12_GLOBAL__N_135GammaBetaBackwardCUDAKernelTemplateIN3c108BFloat16EfLj64ELj1ELj32ELb1ELb1ELb0EEEvllPKT_S7_PKT0_SA_PS5_SB_,"axG",@progbits,_ZN2at6native12_GLOBAL__N_135GammaBetaBackwardCUDAKernelTemplateIN3c108BFloat16EfLj64ELj1ELj32ELb1ELb1ELb0EEEvllPKT_S7_PKT0_SA_PS5_SB_,comdat
	.globl	_ZN2at6native12_GLOBAL__N_135GammaBetaBackwardCUDAKernelTemplateIN3c108BFloat16EfLj64ELj1ELj32ELb1ELb1ELb0EEEvllPKT_S7_PKT0_SA_PS5_SB_ ; -- Begin function _ZN2at6native12_GLOBAL__N_135GammaBetaBackwardCUDAKernelTemplateIN3c108BFloat16EfLj64ELj1ELj32ELb1ELb1ELb0EEEvllPKT_S7_PKT0_SA_PS5_SB_
	.p2align	8
	.type	_ZN2at6native12_GLOBAL__N_135GammaBetaBackwardCUDAKernelTemplateIN3c108BFloat16EfLj64ELj1ELj32ELb1ELb1ELb0EEEvllPKT_S7_PKT0_SA_PS5_SB_,@function
_ZN2at6native12_GLOBAL__N_135GammaBetaBackwardCUDAKernelTemplateIN3c108BFloat16EfLj64ELj1ELj32ELb1ELb1ELb0EEEvllPKT_S7_PKT0_SA_PS5_SB_: ; @_ZN2at6native12_GLOBAL__N_135GammaBetaBackwardCUDAKernelTemplateIN3c108BFloat16EfLj64ELj1ELj32ELb1ELb1ELb0EEEvllPKT_S7_PKT0_SA_PS5_SB_
; %bb.0:
	s_load_dwordx4 s[16:19], s[4:5], 0x0
	s_lshl_b32 s2, s7, 5
	s_mov_b32 s3, 0
	s_waitcnt lgkmcnt(0)
	v_cmp_gt_i64_e64 s0, s[16:17], s[2:3]
	s_and_b32 vcc_lo, exec_lo, s0
	s_cbranch_vccnz .LBB96_2
; %bb.1:
	s_add_u32 s24, s4, 64
	s_addc_u32 s25, s5, 0
	s_mov_b32 s0, s3
	s_branch .LBB96_3
.LBB96_2:
	s_mov_b32 s0, -1
                                        ; implicit-def: $sgpr24_sgpr25
.LBB96_3:
	s_load_dwordx4 s[20:23], s[4:5], 0x30
	v_mov_b32_e32 v26, 0
	v_mov_b32_e32 v43, 0
	s_andn2_b32 vcc_lo, exec_lo, s0
	s_cbranch_vccnz .LBB96_8
; %bb.4:
	s_clause 0x2
	s_load_dword s0, s[4:5], 0x4c
	s_load_dword s1, s[4:5], 0x44
	s_load_dwordx8 s[8:15], s[4:5], 0x10
	v_lshlrev_b32_e32 v4, 5, v1
	s_add_u32 s24, s4, 64
	s_addc_u32 s25, s5, 0
	v_mov_b32_e32 v3, 0
	v_lshl_or_b32 v2, s6, 6, v0
	v_mov_b32_e32 v8, 4
	v_mov_b32_e32 v9, 8
	v_mov_b32_e32 v10, 12
	v_mov_b32_e32 v11, 16
	v_lshlrev_b64 v[40:41], 1, v[2:3]
	v_mov_b32_e32 v12, 20
	v_mov_b32_e32 v13, 24
	;; [unrolled: 1-line block ×7, first 2 shown]
	s_waitcnt lgkmcnt(0)
	s_and_b32 s0, s0, 0xffff
	s_lshl_b32 s26, s1, 5
	v_mad_u32_u24 v5, v1, s0, v0
	v_add_co_u32 v42, s0, v4, s2
	v_add_co_ci_u32_e64 v43, null, 0, 0, s0
	v_and_b32_e32 v26, 31, v5
	v_mul_lo_u32 v6, s19, v42
	v_mad_u64_u32 v[4:5], null, s18, v42, 0
	v_mul_lo_u32 v7, s18, v43
	s_mul_i32 s0, s19, s26
	s_mul_hi_u32 s1, s18, s26
	v_mov_b32_e32 v19, 48
	v_mov_b32_e32 v20, 52
	v_mov_b32_e32 v21, 56
	v_mov_b32_e32 v22, 60
	v_mov_b32_e32 v23, 64
	v_add3_u32 v5, v5, v7, v6
	v_mov_b32_e32 v24, 0x44
	v_mov_b32_e32 v25, 0x48
	;; [unrolled: 1-line block ×4, first 2 shown]
	v_lshlrev_b64 v[6:7], 1, v[4:5]
	v_add_co_u32 v4, vcc_lo, v42, v26
	v_add_co_ci_u32_e64 v5, null, 0, v43, vcc_lo
	v_mov_b32_e32 v29, 0x54
	v_add_co_u32 v2, vcc_lo, v6, v40
	v_add_co_ci_u32_e64 v40, null, v7, v41, vcc_lo
	v_lshlrev_b64 v[6:7], 2, v[4:5]
	v_mov_b32_e32 v30, 0x58
	v_mov_b32_e32 v31, 0x5c
	;; [unrolled: 1-line block ×12, first 2 shown]
	s_mov_b32 s27, 0
	s_add_i32 s1, s1, s0
	s_mul_i32 s0, s18, s26
	s_lshl_b64 s[28:29], s[26:27], 2
	s_lshl_b64 s[4:5], s[0:1], 1
	;; [unrolled: 1-line block ×3, first 2 shown]
	s_branch .LBB96_6
.LBB96_5:                               ;   in Loop: Header=BB96_6 Depth=1
	s_or_b32 exec_lo, exec_lo, s0
	v_add_co_u32 v45, vcc_lo, s10, v2
	v_add_co_ci_u32_e64 v46, null, s11, v40, vcc_lo
	v_add_co_u32 v47, vcc_lo, s8, v2
	v_add_co_ci_u32_e64 v48, null, s9, v40, vcc_lo
	v_add_co_u32 v49, vcc_lo, v45, s30
	global_load_ushort v55, v[45:46], off
	v_add_co_ci_u32_e64 v50, null, s31, v46, vcc_lo
	v_add_co_u32 v46, vcc_lo, v47, s30
	global_load_ushort v44, v[47:48], off
	global_load_ushort v54, v[49:50], off
	v_add_co_ci_u32_e64 v47, null, s31, v48, vcc_lo
	v_add_co_u32 v48, vcc_lo, v49, s30
	v_add_co_ci_u32_e64 v49, null, s31, v50, vcc_lo
	global_load_ushort v45, v[46:47], off
	v_add_co_u32 v50, vcc_lo, v46, s30
	global_load_ushort v52, v[48:49], off
	v_add_co_ci_u32_e64 v51, null, s31, v47, vcc_lo
	v_add_co_u32 v48, vcc_lo, v48, s30
	v_add_co_ci_u32_e64 v49, null, s31, v49, vcc_lo
	global_load_ushort v46, v[50:51], off
	v_add_co_u32 v56, vcc_lo, v50, s30
	;; [unrolled: 6-line block ×4, first 2 shown]
	global_load_ushort v49, v[58:59], off
	v_add_co_ci_u32_e64 v57, null, s31, v57, vcc_lo
	v_add_co_u32 v58, s0, v58, s30
	v_add_co_ci_u32_e64 v59, null, s31, v59, s0
	global_load_ushort v53, v[56:57], off
	v_add_co_u32 v56, vcc_lo, v56, s30
	v_add_co_ci_u32_e64 v57, null, s31, v57, vcc_lo
	global_load_ushort v65, v[58:59], off
	v_add_co_u32 v62, s0, v58, s30
	global_load_ushort v64, v[56:57], off
	v_add_co_ci_u32_e64 v63, null, s31, v59, s0
	v_add_co_u32 v60, vcc_lo, v56, s30
	v_add_co_ci_u32_e64 v61, null, s31, v57, vcc_lo
	global_load_ushort v66, v[62:63], off
	v_add_co_u32 v56, vcc_lo, v62, s30
	global_load_ushort v67, v[60:61], off
	v_add_co_ci_u32_e64 v57, null, s31, v63, vcc_lo
	s_add_u32 s2, s2, s26
	s_addc_u32 s3, s3, 0
	global_load_ushort v69, v[56:57], off
	v_add_co_u32 v58, s0, v60, s30
	v_add_co_ci_u32_e64 v59, null, s31, v61, s0
	v_add_co_u32 v62, s0, v56, s30
	v_add_co_ci_u32_e64 v63, null, s31, v57, s0
	global_load_ushort v68, v[58:59], off
	v_add_co_u32 v60, vcc_lo, v58, s30
	v_add_co_ci_u32_e64 v61, null, s31, v59, vcc_lo
	v_add_co_u32 v56, vcc_lo, v62, s30
	global_load_ushort v62, v[62:63], off
	v_add_co_ci_u32_e64 v57, null, s31, v63, vcc_lo
	global_load_ushort v63, v[60:61], off
	v_add_co_u32 v58, s0, v60, s30
	v_add_co_u32 v60, vcc_lo, v56, s30
	global_load_ushort v70, v[56:57], off
	s_waitcnt vmcnt(22)
	ds_bpermute_b32 v56, v3, v42
	v_add_co_ci_u32_e64 v59, null, s31, v61, s0
	v_add_co_ci_u32_e64 v61, null, s31, v57, vcc_lo
	ds_bpermute_b32 v57, v8, v42
	global_load_ushort v71, v[58:59], off
	v_cmp_lt_i64_e64 s0, s[2:3], s[16:17]
	global_load_ushort v72, v[60:61], off
	s_waitcnt vmcnt(22)
	v_lshlrev_b32_e32 v55, 16, v55
	s_waitcnt vmcnt(21)
	v_lshlrev_b32_e32 v44, 16, v44
	s_waitcnt lgkmcnt(1)
	v_sub_f32_e32 v55, v55, v56
	ds_bpermute_b32 v56, v3, v41
	s_waitcnt vmcnt(20)
	v_lshlrev_b32_e32 v54, 16, v54
	v_add_f32_e32 v43, v43, v44
	v_mul_f32_e32 v55, v55, v44
	ds_bpermute_b32 v44, v32, v42
	s_waitcnt lgkmcnt(2)
	v_sub_f32_e32 v54, v54, v57
	ds_bpermute_b32 v57, v8, v41
	s_waitcnt vmcnt(19)
	v_lshlrev_b32_e32 v45, 16, v45
	s_waitcnt vmcnt(18)
	v_lshlrev_b32_e32 v52, 16, v52
	v_mul_f32_e32 v54, v54, v45
	v_add_f32_e32 v43, v43, v45
	ds_bpermute_b32 v45, v33, v42
	s_waitcnt vmcnt(17)
	v_lshlrev_b32_e32 v46, 16, v46
	s_waitcnt vmcnt(16)
	v_lshlrev_b32_e32 v47, 16, v47
	s_waitcnt lgkmcnt(3)
	v_fmac_f32_e32 v26, v55, v56
	v_add_co_u32 v55, vcc_lo, v58, s30
	v_add_co_ci_u32_e64 v56, null, s31, v59, vcc_lo
	v_add_f32_e32 v43, v43, v46
	s_waitcnt lgkmcnt(1)
	v_fmac_f32_e32 v26, v54, v57
	ds_bpermute_b32 v54, v9, v42
	v_add_co_u32 v57, vcc_lo, v60, s30
	v_add_co_ci_u32_e64 v58, null, s31, v61, vcc_lo
	v_add_co_u32 v59, vcc_lo, v55, s30
	global_load_ushort v73, v[55:56], off
	ds_bpermute_b32 v55, v11, v41
	s_waitcnt vmcnt(15)
	v_lshlrev_b32_e32 v48, 16, v48
	v_add_co_ci_u32_e64 v60, null, s31, v56, vcc_lo
	ds_bpermute_b32 v56, v12, v41
	s_waitcnt vmcnt(13)
	v_lshlrev_b32_e32 v49, 16, v49
	global_load_ushort v74, v[57:58], off
	global_load_ushort v75, v[59:60], off
	s_waitcnt lgkmcnt(2)
	v_sub_f32_e32 v52, v52, v54
	ds_bpermute_b32 v54, v9, v41
	v_mul_f32_e32 v52, v52, v46
	s_waitcnt lgkmcnt(0)
	v_fmac_f32_e32 v26, v52, v54
	ds_bpermute_b32 v52, v10, v42
	ds_bpermute_b32 v54, v10, v41
	s_waitcnt lgkmcnt(1)
	v_sub_f32_e32 v52, v47, v52
	v_lshlrev_b32_e32 v47, 16, v51
	v_mul_f32_e32 v51, v52, v47
	v_add_f32_e32 v43, v43, v47
	ds_bpermute_b32 v47, v32, v41
	s_waitcnt lgkmcnt(1)
	v_fmac_f32_e32 v26, v51, v54
	ds_bpermute_b32 v54, v11, v42
	v_add_co_u32 v51, vcc_lo, v57, s30
	v_add_co_ci_u32_e64 v52, null, s31, v58, vcc_lo
	global_load_ushort v76, v[51:52], off
	s_waitcnt lgkmcnt(0)
	v_sub_f32_e32 v54, v48, v54
	v_lshlrev_b32_e32 v48, 16, v50
	v_mul_f32_e32 v50, v54, v48
	v_add_co_u32 v54, vcc_lo, v59, s30
	v_add_f32_e32 v43, v43, v48
	ds_bpermute_b32 v48, v34, v42
	v_fmac_f32_e32 v26, v50, v55
	ds_bpermute_b32 v50, v12, v42
	v_add_co_ci_u32_e64 v55, null, s31, v60, vcc_lo
	ds_bpermute_b32 v60, v17, v41
	s_waitcnt lgkmcnt(1)
	v_sub_f32_e32 v50, v49, v50
	s_waitcnt vmcnt(15)
	v_lshlrev_b32_e32 v49, 16, v53
	ds_bpermute_b32 v53, v14, v41
	v_mul_f32_e32 v50, v50, v49
	v_add_f32_e32 v43, v43, v49
	ds_bpermute_b32 v49, v33, v41
	v_fmac_f32_e32 v26, v50, v56
	ds_bpermute_b32 v50, v13, v42
	v_add_co_u32 v56, vcc_lo, v51, s30
	v_add_co_ci_u32_e64 v57, null, s31, v52, vcc_lo
	ds_bpermute_b32 v52, v13, v41
	s_waitcnt vmcnt(14)
	v_lshlrev_b32_e32 v51, 16, v65
	v_add_co_u32 v58, vcc_lo, v54, s30
	global_load_ushort v65, v[56:57], off
	v_add_co_ci_u32_e64 v59, null, s31, v55, vcc_lo
	s_waitcnt lgkmcnt(1)
	v_sub_f32_e32 v51, v51, v50
	s_waitcnt vmcnt(14)
	v_lshlrev_b32_e32 v50, 16, v64
	global_load_ushort v64, v[54:55], off
	v_add_co_u32 v54, vcc_lo, v56, s30
	ds_bpermute_b32 v56, v15, v41
	v_mul_f32_e32 v51, v51, v50
	v_add_co_ci_u32_e64 v55, null, s31, v57, vcc_lo
	v_add_f32_e32 v43, v43, v50
	s_waitcnt lgkmcnt(1)
	v_fmac_f32_e32 v26, v51, v52
	ds_bpermute_b32 v51, v14, v42
	s_waitcnt vmcnt(14)
	v_lshlrev_b32_e32 v52, 16, v66
	global_load_ushort v66, v[58:59], off
	s_waitcnt lgkmcnt(0)
	v_sub_f32_e32 v52, v52, v51
	s_waitcnt vmcnt(14)
	v_lshlrev_b32_e32 v51, 16, v67
	v_mul_f32_e32 v52, v52, v51
	v_add_f32_e32 v43, v43, v51
	v_fmac_f32_e32 v26, v52, v53
	ds_bpermute_b32 v52, v15, v42
	s_waitcnt vmcnt(13)
	v_lshlrev_b32_e32 v53, 16, v69
	s_waitcnt lgkmcnt(0)
	v_sub_f32_e32 v53, v53, v52
	s_waitcnt vmcnt(12)
	v_lshlrev_b32_e32 v52, 16, v68
	v_mul_f32_e32 v53, v53, v52
	v_add_f32_e32 v43, v43, v52
	v_fmac_f32_e32 v26, v53, v56
	ds_bpermute_b32 v53, v16, v42
	v_add_co_u32 v56, vcc_lo, v58, s30
	v_add_co_ci_u32_e64 v57, null, s31, v59, vcc_lo
	s_waitcnt vmcnt(11)
	v_lshlrev_b32_e32 v58, 16, v62
	ds_bpermute_b32 v59, v16, v41
	global_load_ushort v62, v[54:55], off
	s_waitcnt lgkmcnt(1)
	v_sub_f32_e32 v58, v58, v53
	s_waitcnt vmcnt(11)
	v_lshlrev_b32_e32 v53, 16, v63
	global_load_ushort v63, v[56:57], off
	v_mul_f32_e32 v58, v58, v53
	v_add_f32_e32 v43, v43, v53
	s_waitcnt lgkmcnt(0)
	v_fmac_f32_e32 v26, v58, v59
	v_add_co_u32 v58, vcc_lo, v54, s30
	v_add_co_ci_u32_e64 v59, null, s31, v55, vcc_lo
	ds_bpermute_b32 v54, v17, v42
	s_waitcnt vmcnt(11)
	v_lshlrev_b32_e32 v55, 16, v70
	global_load_ushort v68, v[58:59], off
	s_waitcnt lgkmcnt(0)
	v_sub_f32_e32 v55, v55, v54
	s_waitcnt vmcnt(11)
	v_lshlrev_b32_e32 v54, 16, v71
	v_mul_f32_e32 v55, v55, v54
	v_add_f32_e32 v43, v43, v54
	v_fmac_f32_e32 v26, v55, v60
	ds_bpermute_b32 v55, v18, v42
	v_add_co_u32 v60, vcc_lo, v56, s30
	s_waitcnt vmcnt(10)
	v_lshlrev_b32_e32 v56, 16, v72
	v_add_co_ci_u32_e64 v61, null, s31, v57, vcc_lo
	ds_bpermute_b32 v57, v19, v42
	s_waitcnt lgkmcnt(1)
	v_sub_f32_e32 v55, v56, v55
	ds_bpermute_b32 v56, v18, v41
	s_waitcnt vmcnt(9)
	v_lshlrev_b32_e32 v67, 16, v73
	v_mul_f32_e32 v55, v55, v67
	v_add_f32_e32 v43, v43, v67
	s_waitcnt vmcnt(7)
	v_lshlrev_b32_e32 v69, 16, v75
	v_add_f32_e32 v43, v43, v69
	s_waitcnt lgkmcnt(0)
	v_fmac_f32_e32 v26, v55, v56
	v_add_co_u32 v55, vcc_lo, v58, s30
	v_lshlrev_b32_e32 v58, 16, v74
	v_add_co_ci_u32_e64 v56, null, s31, v59, vcc_lo
	ds_bpermute_b32 v59, v20, v42
	v_sub_f32_e32 v57, v58, v57
	ds_bpermute_b32 v58, v19, v41
	global_load_ushort v70, v[55:56], off
	v_mul_f32_e32 v57, v57, v69
	s_waitcnt lgkmcnt(0)
	v_fmac_f32_e32 v26, v57, v58
	v_add_co_u32 v57, vcc_lo, v60, s30
	v_add_co_ci_u32_e64 v58, null, s31, v61, vcc_lo
	global_load_ushort v61, v[60:61], off
	s_waitcnt vmcnt(8)
	v_lshlrev_b32_e32 v60, 16, v76
	v_sub_f32_e32 v59, v60, v59
	ds_bpermute_b32 v60, v20, v41
	s_waitcnt vmcnt(6)
	v_lshlrev_b32_e32 v64, 16, v64
	v_mul_f32_e32 v59, v59, v64
	v_add_f32_e32 v43, v43, v64
	s_waitcnt lgkmcnt(0)
	v_fmac_f32_e32 v26, v59, v60
	v_add_co_u32 v59, vcc_lo, v55, s30
	ds_bpermute_b32 v55, v21, v42
	v_add_co_ci_u32_e64 v60, null, s31, v56, vcc_lo
	v_lshlrev_b32_e32 v56, 16, v65
	s_waitcnt vmcnt(5)
	v_lshlrev_b32_e32 v65, 16, v66
	global_load_ushort v66, v[57:58], off
	v_add_f32_e32 v43, v43, v65
	s_waitcnt lgkmcnt(0)
	v_sub_f32_e32 v55, v56, v55
	ds_bpermute_b32 v56, v21, v41
	v_mul_f32_e32 v55, v55, v65
	s_waitcnt lgkmcnt(0)
	v_fmac_f32_e32 v26, v55, v56
	v_add_co_u32 v55, vcc_lo, v57, s30
	ds_bpermute_b32 v57, v22, v42
	v_add_co_ci_u32_e64 v56, null, s31, v58, vcc_lo
	s_waitcnt vmcnt(5)
	v_lshlrev_b32_e32 v58, 16, v62
	s_waitcnt lgkmcnt(0)
	v_sub_f32_e32 v57, v58, v57
	ds_bpermute_b32 v58, v22, v41
	s_waitcnt vmcnt(4)
	v_lshlrev_b32_e32 v62, 16, v63
	global_load_ushort v63, v[59:60], off
	v_mul_f32_e32 v57, v57, v62
	v_add_f32_e32 v43, v43, v62
	s_waitcnt lgkmcnt(0)
	v_fmac_f32_e32 v26, v57, v58
	v_add_co_u32 v57, vcc_lo, v59, s30
	v_add_co_ci_u32_e64 v58, null, s31, v60, vcc_lo
	ds_bpermute_b32 v59, v23, v42
	s_waitcnt vmcnt(4)
	v_lshlrev_b32_e32 v60, 16, v68
	global_load_ushort v68, v[55:56], off
	s_waitcnt lgkmcnt(0)
	v_sub_f32_e32 v59, v60, v59
	ds_bpermute_b32 v60, v23, v41
	s_waitcnt vmcnt(3)
	v_lshlrev_b32_e32 v61, 16, v61
	v_mul_f32_e32 v59, v59, v61
	v_add_f32_e32 v43, v43, v61
	s_waitcnt lgkmcnt(0)
	v_fmac_f32_e32 v26, v59, v60
	v_add_co_u32 v59, vcc_lo, v55, s30
	ds_bpermute_b32 v55, v24, v42
	v_add_co_ci_u32_e64 v60, null, s31, v56, vcc_lo
	v_lshlrev_b32_e32 v56, 16, v70
	global_load_ushort v70, v[57:58], off
	s_waitcnt lgkmcnt(0)
	v_sub_f32_e32 v55, v56, v55
	ds_bpermute_b32 v56, v24, v41
	s_waitcnt vmcnt(3)
	v_lshlrev_b32_e32 v66, 16, v66
	v_mul_f32_e32 v55, v55, v66
	v_add_f32_e32 v43, v43, v66
	s_waitcnt lgkmcnt(0)
	v_fmac_f32_e32 v26, v55, v56
	v_add_co_u32 v55, vcc_lo, v57, s30
	ds_bpermute_b32 v57, v25, v42
	v_add_co_ci_u32_e64 v56, null, s31, v58, vcc_lo
	s_waitcnt vmcnt(2)
	v_lshlrev_b32_e32 v58, 16, v63
	s_waitcnt lgkmcnt(0)
	v_sub_f32_e32 v57, v58, v57
	ds_bpermute_b32 v58, v25, v41
	s_waitcnt vmcnt(1)
	v_lshlrev_b32_e32 v63, 16, v68
	v_mul_f32_e32 v57, v57, v63
	v_add_f32_e32 v43, v43, v63
	s_waitcnt lgkmcnt(0)
	v_fmac_f32_e32 v26, v57, v58
	v_add_co_u32 v57, vcc_lo, v59, s30
	global_load_ushort v59, v[59:60], off
	v_add_co_ci_u32_e64 v58, null, s31, v60, vcc_lo
	ds_bpermute_b32 v60, v27, v42
	s_waitcnt vmcnt(1)
	v_lshlrev_b32_e32 v68, 16, v70
	s_waitcnt lgkmcnt(0)
	v_sub_f32_e32 v60, v68, v60
	ds_bpermute_b32 v68, v27, v41
	s_waitcnt vmcnt(0)
	v_lshlrev_b32_e32 v70, 16, v59
	v_mul_f32_e32 v59, v60, v70
	v_add_f32_e32 v43, v43, v70
	s_waitcnt lgkmcnt(0)
	v_fmac_f32_e32 v26, v59, v68
	global_load_ushort v68, v[55:56], off
	v_add_co_u32 v59, vcc_lo, v55, s30
	v_add_co_ci_u32_e64 v60, null, s31, v56, vcc_lo
	v_add_co_u32 v55, vcc_lo, v57, s30
	global_load_ushort v57, v[57:58], off
	v_add_co_ci_u32_e64 v56, null, s31, v58, vcc_lo
	global_load_ushort v71, v[59:60], off
	s_waitcnt vmcnt(2)
	v_lshlrev_b32_e32 v58, 16, v68
	ds_bpermute_b32 v68, v28, v42
	s_waitcnt lgkmcnt(0)
	v_sub_f32_e32 v58, v58, v68
	s_waitcnt vmcnt(1)
	v_lshlrev_b32_e32 v68, 16, v57
	v_mul_f32_e32 v57, v58, v68
	ds_bpermute_b32 v58, v28, v41
	v_add_f32_e32 v43, v43, v68
	s_waitcnt lgkmcnt(0)
	v_fmac_f32_e32 v26, v57, v58
	v_add_co_u32 v57, vcc_lo, v59, s30
	v_add_co_ci_u32_e64 v58, null, s31, v60, vcc_lo
	v_add_co_u32 v59, vcc_lo, v55, s30
	global_load_ushort v55, v[55:56], off
	v_add_co_ci_u32_e64 v60, null, s31, v56, vcc_lo
	s_waitcnt vmcnt(1)
	v_lshlrev_b32_e32 v56, 16, v71
	ds_bpermute_b32 v71, v29, v42
	global_load_ushort v72, v[57:58], off
	s_waitcnt lgkmcnt(0)
	v_sub_f32_e32 v56, v56, v71
	s_waitcnt vmcnt(1)
	v_lshlrev_b32_e32 v71, 16, v55
	v_mul_f32_e32 v55, v56, v71
	ds_bpermute_b32 v56, v29, v41
	v_add_f32_e32 v43, v43, v71
	s_waitcnt lgkmcnt(0)
	v_fmac_f32_e32 v26, v55, v56
	v_add_co_u32 v55, vcc_lo, v57, s30
	v_add_co_ci_u32_e64 v56, null, s31, v58, vcc_lo
	v_add_co_u32 v57, vcc_lo, v59, s30
	global_load_ushort v59, v[59:60], off
	v_add_co_ci_u32_e64 v58, null, s31, v60, vcc_lo
	s_waitcnt vmcnt(1)
	v_lshlrev_b32_e32 v60, 16, v72
	ds_bpermute_b32 v72, v30, v42
	global_load_ushort v73, v[55:56], off
	;; [unrolled: 18-line block ×3, first 2 shown]
	global_load_ushort v75, v[55:56], off
	s_waitcnt lgkmcnt(0)
	v_sub_f32_e32 v58, v58, v73
	s_waitcnt vmcnt(2)
	v_lshlrev_b32_e32 v73, 16, v57
	v_mul_f32_e32 v57, v58, v73
	ds_bpermute_b32 v58, v31, v41
	s_waitcnt vmcnt(1)
	v_lshlrev_b32_e32 v46, 16, v74
	v_add_f32_e32 v43, v43, v73
	v_sub_f32_e32 v44, v46, v44
	s_waitcnt vmcnt(0)
	v_lshlrev_b32_e32 v46, 16, v75
	v_mul_f32_e32 v44, v44, v46
	v_add_f32_e32 v43, v43, v46
	ds_bpermute_b32 v46, v36, v41
	s_waitcnt lgkmcnt(1)
	v_fmac_f32_e32 v26, v57, v58
	v_add_co_u32 v57, vcc_lo, v59, s30
	v_add_co_ci_u32_e64 v58, null, s31, v60, vcc_lo
	v_add_co_u32 v59, vcc_lo, v55, s30
	v_add_co_ci_u32_e64 v60, null, s31, v56, vcc_lo
	global_load_ushort v76, v[57:58], off
	v_add_co_u32 v55, vcc_lo, v57, s30
	v_add_co_ci_u32_e64 v56, null, s31, v58, vcc_lo
	global_load_ushort v77, v[59:60], off
	;; [unrolled: 3-line block ×3, first 2 shown]
	v_add_co_u32 v59, vcc_lo, v55, s30
	global_load_ushort v79, v[57:58], off
	v_add_co_ci_u32_e64 v60, null, s31, v56, vcc_lo
	v_add_co_u32 v55, vcc_lo, v57, s30
	v_add_co_ci_u32_e64 v56, null, s31, v58, vcc_lo
	global_load_ushort v81, v[59:60], off
	v_add_co_u32 v57, vcc_lo, v55, s30
	v_add_co_ci_u32_e64 v58, null, s31, v56, vcc_lo
	global_load_ushort v80, v[55:56], off
	v_add_co_u32 v55, vcc_lo, v59, s30
	v_add_co_ci_u32_e64 v56, null, s31, v60, vcc_lo
	v_add_co_u32 v59, vcc_lo, v57, s30
	v_add_co_ci_u32_e64 v60, null, s31, v58, vcc_lo
	global_load_ushort v82, v[57:58], off
	v_add_co_u32 v57, vcc_lo, v55, s30
	v_add_co_ci_u32_e64 v58, null, s31, v56, vcc_lo
	global_load_ushort v83, v[55:56], off
	;; [unrolled: 3-line block ×6, first 2 shown]
	global_load_ushort v55, v[55:56], off
	global_load_ushort v56, v[57:58], off
	v_fmac_f32_e32 v26, v44, v47
	ds_bpermute_b32 v60, v38, v41
	v_add_co_u32 v2, vcc_lo, v2, s4
	v_add_co_ci_u32_e64 v40, null, s5, v40, vcc_lo
	v_add_co_u32 v6, vcc_lo, v6, s28
	v_add_co_ci_u32_e64 v7, null, s29, v7, vcc_lo
	;; [unrolled: 2-line block ×3, first 2 shown]
	s_and_b32 vcc_lo, exec_lo, s0
	s_waitcnt vmcnt(13)
	v_lshlrev_b32_e32 v50, 16, v76
	v_sub_f32_e32 v45, v50, v45
	ds_bpermute_b32 v50, v34, v41
	s_waitcnt vmcnt(12)
	v_lshlrev_b32_e32 v51, 16, v77
	s_waitcnt vmcnt(11)
	v_lshlrev_b32_e32 v52, 16, v78
	v_mul_f32_e32 v44, v45, v51
	ds_bpermute_b32 v45, v35, v42
	v_add_f32_e32 v43, v43, v51
	v_sub_f32_e32 v47, v52, v48
	s_waitcnt vmcnt(10)
	v_lshlrev_b32_e32 v48, 16, v79
	v_fmac_f32_e32 v26, v44, v49
	ds_bpermute_b32 v51, v37, v41
	s_waitcnt vmcnt(9)
	v_lshlrev_b32_e32 v49, 16, v81
	v_mul_f32_e32 v44, v47, v48
	ds_bpermute_b32 v47, v36, v42
	v_add_f32_e32 v43, v43, v48
	s_waitcnt vmcnt(8)
	v_lshlrev_b32_e32 v52, 16, v80
	s_waitcnt lgkmcnt(3)
	v_fmac_f32_e32 v26, v44, v50
	ds_bpermute_b32 v44, v35, v41
	ds_bpermute_b32 v50, v37, v42
	;; [unrolled: 1-line block ×3, first 2 shown]
	v_add_f32_e32 v43, v43, v52
	s_waitcnt lgkmcnt(5)
	v_sub_f32_e32 v45, v49, v45
	ds_bpermute_b32 v49, v38, v42
	ds_bpermute_b32 v42, v39, v42
	s_waitcnt vmcnt(7)
	v_lshlrev_b32_e32 v53, 16, v82
	v_mul_f32_e32 v45, v45, v52
	s_waitcnt vmcnt(6)
	v_lshlrev_b32_e32 v54, 16, v83
	v_add_f32_e32 v43, v43, v53
	s_waitcnt lgkmcnt(5)
	v_sub_f32_e32 v47, v54, v47
	s_waitcnt vmcnt(5)
	v_lshlrev_b32_e32 v57, 16, v84
	s_waitcnt lgkmcnt(4)
	v_fmac_f32_e32 v26, v45, v44
	s_waitcnt vmcnt(4)
	v_lshlrev_b32_e32 v58, 16, v85
	v_mul_f32_e32 v44, v47, v53
	v_add_f32_e32 v43, v43, v57
	s_waitcnt lgkmcnt(3)
	v_sub_f32_e32 v45, v58, v50
	s_waitcnt vmcnt(3)
	v_lshlrev_b32_e32 v54, 16, v86
	v_fmac_f32_e32 v26, v44, v46
	s_waitcnt vmcnt(2)
	v_lshlrev_b32_e32 v47, 16, v59
	v_mul_f32_e32 v44, v45, v57
	s_waitcnt vmcnt(1)
	v_lshlrev_b32_e32 v46, 16, v55
	v_add_f32_e32 v43, v43, v54
	s_waitcnt lgkmcnt(1)
	v_sub_f32_e32 v45, v47, v49
	s_waitcnt vmcnt(0)
	v_lshlrev_b32_e32 v47, 16, v56
	v_fmac_f32_e32 v26, v44, v51
	s_waitcnt lgkmcnt(0)
	v_sub_f32_e32 v42, v46, v42
	v_mul_f32_e32 v44, v45, v54
	v_add_f32_e32 v43, v43, v47
	v_mul_f32_e32 v42, v42, v47
	v_fmac_f32_e32 v26, v44, v60
	v_fmac_f32_e32 v26, v42, v41
	s_cbranch_vccz .LBB96_8
.LBB96_6:                               ; =>This Inner Loop Header: Depth=1
	v_mov_b32_e32 v41, 0
	v_mov_b32_e32 v42, 0
	s_mov_b32 s0, exec_lo
	v_cmpx_gt_i64_e64 s[16:17], v[4:5]
	s_cbranch_execz .LBB96_5
; %bb.7:                                ;   in Loop: Header=BB96_6 Depth=1
	v_add_co_u32 v41, vcc_lo, s12, v6
	v_add_co_ci_u32_e64 v42, null, s13, v7, vcc_lo
	v_add_co_u32 v44, vcc_lo, s14, v6
	v_add_co_ci_u32_e64 v45, null, s15, v7, vcc_lo
	global_load_dword v42, v[41:42], off
	global_load_dword v41, v[44:45], off
	s_branch .LBB96_5
.LBB96_8:
	s_load_dword s0, s[24:25], 0xc
	v_mov_b32_e32 v2, 0
	s_waitcnt lgkmcnt(0)
	s_lshr_b32 s0, s0, 16
	v_mad_u64_u32 v[2:3], null, s0, s7, v[1:2]
	s_mov_b32 s7, 0
	s_lshl_b64 s[0:1], s[6:7], 6
	s_cmp_eq_u64 s[20:21], 0
	v_or_b32_e32 v0, s0, v0
	v_mov_b32_e32 v1, s1
	v_mul_lo_u32 v3, v3, s18
	v_mul_lo_u32 v4, v2, s19
	v_lshlrev_b64 v[0:1], 1, v[0:1]
	s_cbranch_scc1 .LBB96_10
; %bb.9:
	v_mad_u64_u32 v[5:6], null, v2, s18, 0
	v_bfe_u32 v7, v26, 16, 1
	v_cmp_o_f32_e32 vcc_lo, v26, v26
	v_mov_b32_e32 v8, 0x7fc0
	v_add3_u32 v7, v26, v7, 0x7fff
	v_add3_u32 v6, v6, v4, v3
	v_cndmask_b32_sdwa v7, v8, v7, vcc_lo dst_sel:DWORD dst_unused:UNUSED_PAD src0_sel:DWORD src1_sel:WORD_1
	v_lshlrev_b64 v[5:6], 1, v[5:6]
	v_add_co_u32 v5, s0, s20, v5
	v_add_co_ci_u32_e64 v6, null, s21, v6, s0
	v_add_co_u32 v5, vcc_lo, v5, v0
	v_add_co_ci_u32_e64 v6, null, v6, v1, vcc_lo
	global_store_short v[5:6], v7, off
.LBB96_10:
	s_cmp_eq_u64 s[22:23], 0
	s_cbranch_scc1 .LBB96_12
; %bb.11:
	v_mad_u64_u32 v[5:6], null, v2, s18, 0
	v_cmp_o_f32_e32 vcc_lo, v43, v43
	v_add3_u32 v6, v6, v4, v3
	v_bfe_u32 v4, v43, 16, 1
	v_lshlrev_b64 v[2:3], 1, v[5:6]
	v_mov_b32_e32 v5, 0x7fc0
	v_add3_u32 v4, v43, v4, 0x7fff
	v_add_co_u32 v2, s0, s22, v2
	v_add_co_ci_u32_e64 v3, null, s23, v3, s0
	v_cndmask_b32_sdwa v4, v5, v4, vcc_lo dst_sel:DWORD dst_unused:UNUSED_PAD src0_sel:DWORD src1_sel:WORD_1
	v_add_co_u32 v0, vcc_lo, v2, v0
	v_add_co_ci_u32_e64 v1, null, v3, v1, vcc_lo
	global_store_short v[0:1], v4, off
.LBB96_12:
	s_endpgm
	.section	.rodata,"a",@progbits
	.p2align	6, 0x0
	.amdhsa_kernel _ZN2at6native12_GLOBAL__N_135GammaBetaBackwardCUDAKernelTemplateIN3c108BFloat16EfLj64ELj1ELj32ELb1ELb1ELb0EEEvllPKT_S7_PKT0_SA_PS5_SB_
		.amdhsa_group_segment_fixed_size 0
		.amdhsa_private_segment_fixed_size 0
		.amdhsa_kernarg_size 320
		.amdhsa_user_sgpr_count 6
		.amdhsa_user_sgpr_private_segment_buffer 1
		.amdhsa_user_sgpr_dispatch_ptr 0
		.amdhsa_user_sgpr_queue_ptr 0
		.amdhsa_user_sgpr_kernarg_segment_ptr 1
		.amdhsa_user_sgpr_dispatch_id 0
		.amdhsa_user_sgpr_flat_scratch_init 0
		.amdhsa_user_sgpr_private_segment_size 0
		.amdhsa_wavefront_size32 1
		.amdhsa_uses_dynamic_stack 0
		.amdhsa_system_sgpr_private_segment_wavefront_offset 0
		.amdhsa_system_sgpr_workgroup_id_x 1
		.amdhsa_system_sgpr_workgroup_id_y 1
		.amdhsa_system_sgpr_workgroup_id_z 0
		.amdhsa_system_sgpr_workgroup_info 0
		.amdhsa_system_vgpr_workitem_id 1
		.amdhsa_next_free_vgpr 87
		.amdhsa_next_free_sgpr 32
		.amdhsa_reserve_vcc 1
		.amdhsa_reserve_flat_scratch 0
		.amdhsa_float_round_mode_32 0
		.amdhsa_float_round_mode_16_64 0
		.amdhsa_float_denorm_mode_32 3
		.amdhsa_float_denorm_mode_16_64 3
		.amdhsa_dx10_clamp 1
		.amdhsa_ieee_mode 1
		.amdhsa_fp16_overflow 0
		.amdhsa_workgroup_processor_mode 1
		.amdhsa_memory_ordered 1
		.amdhsa_forward_progress 1
		.amdhsa_shared_vgpr_count 0
		.amdhsa_exception_fp_ieee_invalid_op 0
		.amdhsa_exception_fp_denorm_src 0
		.amdhsa_exception_fp_ieee_div_zero 0
		.amdhsa_exception_fp_ieee_overflow 0
		.amdhsa_exception_fp_ieee_underflow 0
		.amdhsa_exception_fp_ieee_inexact 0
		.amdhsa_exception_int_div_zero 0
	.end_amdhsa_kernel
	.section	.text._ZN2at6native12_GLOBAL__N_135GammaBetaBackwardCUDAKernelTemplateIN3c108BFloat16EfLj64ELj1ELj32ELb1ELb1ELb0EEEvllPKT_S7_PKT0_SA_PS5_SB_,"axG",@progbits,_ZN2at6native12_GLOBAL__N_135GammaBetaBackwardCUDAKernelTemplateIN3c108BFloat16EfLj64ELj1ELj32ELb1ELb1ELb0EEEvllPKT_S7_PKT0_SA_PS5_SB_,comdat
.Lfunc_end96:
	.size	_ZN2at6native12_GLOBAL__N_135GammaBetaBackwardCUDAKernelTemplateIN3c108BFloat16EfLj64ELj1ELj32ELb1ELb1ELb0EEEvllPKT_S7_PKT0_SA_PS5_SB_, .Lfunc_end96-_ZN2at6native12_GLOBAL__N_135GammaBetaBackwardCUDAKernelTemplateIN3c108BFloat16EfLj64ELj1ELj32ELb1ELb1ELb0EEEvllPKT_S7_PKT0_SA_PS5_SB_
                                        ; -- End function
	.set _ZN2at6native12_GLOBAL__N_135GammaBetaBackwardCUDAKernelTemplateIN3c108BFloat16EfLj64ELj1ELj32ELb1ELb1ELb0EEEvllPKT_S7_PKT0_SA_PS5_SB_.num_vgpr, 87
	.set _ZN2at6native12_GLOBAL__N_135GammaBetaBackwardCUDAKernelTemplateIN3c108BFloat16EfLj64ELj1ELj32ELb1ELb1ELb0EEEvllPKT_S7_PKT0_SA_PS5_SB_.num_agpr, 0
	.set _ZN2at6native12_GLOBAL__N_135GammaBetaBackwardCUDAKernelTemplateIN3c108BFloat16EfLj64ELj1ELj32ELb1ELb1ELb0EEEvllPKT_S7_PKT0_SA_PS5_SB_.numbered_sgpr, 32
	.set _ZN2at6native12_GLOBAL__N_135GammaBetaBackwardCUDAKernelTemplateIN3c108BFloat16EfLj64ELj1ELj32ELb1ELb1ELb0EEEvllPKT_S7_PKT0_SA_PS5_SB_.num_named_barrier, 0
	.set _ZN2at6native12_GLOBAL__N_135GammaBetaBackwardCUDAKernelTemplateIN3c108BFloat16EfLj64ELj1ELj32ELb1ELb1ELb0EEEvllPKT_S7_PKT0_SA_PS5_SB_.private_seg_size, 0
	.set _ZN2at6native12_GLOBAL__N_135GammaBetaBackwardCUDAKernelTemplateIN3c108BFloat16EfLj64ELj1ELj32ELb1ELb1ELb0EEEvllPKT_S7_PKT0_SA_PS5_SB_.uses_vcc, 1
	.set _ZN2at6native12_GLOBAL__N_135GammaBetaBackwardCUDAKernelTemplateIN3c108BFloat16EfLj64ELj1ELj32ELb1ELb1ELb0EEEvllPKT_S7_PKT0_SA_PS5_SB_.uses_flat_scratch, 0
	.set _ZN2at6native12_GLOBAL__N_135GammaBetaBackwardCUDAKernelTemplateIN3c108BFloat16EfLj64ELj1ELj32ELb1ELb1ELb0EEEvllPKT_S7_PKT0_SA_PS5_SB_.has_dyn_sized_stack, 0
	.set _ZN2at6native12_GLOBAL__N_135GammaBetaBackwardCUDAKernelTemplateIN3c108BFloat16EfLj64ELj1ELj32ELb1ELb1ELb0EEEvllPKT_S7_PKT0_SA_PS5_SB_.has_recursion, 0
	.set _ZN2at6native12_GLOBAL__N_135GammaBetaBackwardCUDAKernelTemplateIN3c108BFloat16EfLj64ELj1ELj32ELb1ELb1ELb0EEEvllPKT_S7_PKT0_SA_PS5_SB_.has_indirect_call, 0
	.section	.AMDGPU.csdata,"",@progbits
; Kernel info:
; codeLenInByte = 4188
; TotalNumSgprs: 34
; NumVgprs: 87
; ScratchSize: 0
; MemoryBound: 0
; FloatMode: 240
; IeeeMode: 1
; LDSByteSize: 0 bytes/workgroup (compile time only)
; SGPRBlocks: 0
; VGPRBlocks: 10
; NumSGPRsForWavesPerEU: 34
; NumVGPRsForWavesPerEU: 87
; Occupancy: 10
; WaveLimiterHint : 0
; COMPUTE_PGM_RSRC2:SCRATCH_EN: 0
; COMPUTE_PGM_RSRC2:USER_SGPR: 6
; COMPUTE_PGM_RSRC2:TRAP_HANDLER: 0
; COMPUTE_PGM_RSRC2:TGID_X_EN: 1
; COMPUTE_PGM_RSRC2:TGID_Y_EN: 1
; COMPUTE_PGM_RSRC2:TGID_Z_EN: 0
; COMPUTE_PGM_RSRC2:TIDIG_COMP_CNT: 1
	.section	.text._ZN2at6native12_GLOBAL__N_135GammaBetaBackwardCUDAKernelTemplateIN3c108BFloat16EfLj64ELj1ELj32ELb1ELb0ELb0EEEvllPKT_S7_PKT0_SA_PS5_SB_,"axG",@progbits,_ZN2at6native12_GLOBAL__N_135GammaBetaBackwardCUDAKernelTemplateIN3c108BFloat16EfLj64ELj1ELj32ELb1ELb0ELb0EEEvllPKT_S7_PKT0_SA_PS5_SB_,comdat
	.globl	_ZN2at6native12_GLOBAL__N_135GammaBetaBackwardCUDAKernelTemplateIN3c108BFloat16EfLj64ELj1ELj32ELb1ELb0ELb0EEEvllPKT_S7_PKT0_SA_PS5_SB_ ; -- Begin function _ZN2at6native12_GLOBAL__N_135GammaBetaBackwardCUDAKernelTemplateIN3c108BFloat16EfLj64ELj1ELj32ELb1ELb0ELb0EEEvllPKT_S7_PKT0_SA_PS5_SB_
	.p2align	8
	.type	_ZN2at6native12_GLOBAL__N_135GammaBetaBackwardCUDAKernelTemplateIN3c108BFloat16EfLj64ELj1ELj32ELb1ELb0ELb0EEEvllPKT_S7_PKT0_SA_PS5_SB_,@function
_ZN2at6native12_GLOBAL__N_135GammaBetaBackwardCUDAKernelTemplateIN3c108BFloat16EfLj64ELj1ELj32ELb1ELb0ELb0EEEvllPKT_S7_PKT0_SA_PS5_SB_: ; @_ZN2at6native12_GLOBAL__N_135GammaBetaBackwardCUDAKernelTemplateIN3c108BFloat16EfLj64ELj1ELj32ELb1ELb0ELb0EEEvllPKT_S7_PKT0_SA_PS5_SB_
; %bb.0:
	s_mov_b64 s[38:39], s[2:3]
	s_mov_b64 s[36:37], s[0:1]
	s_mov_b32 s0, s7
	s_add_u32 s36, s36, s8
	s_clause 0x1
	s_load_dwordx8 s[8:15], s[4:5], 0x0
	s_load_dwordx4 s[16:19], s[4:5], 0x20
	s_addc_u32 s37, s37, 0
	s_lshl_b32 s7, s6, 6
	s_mov_b32 s21, 0
	s_or_b32 s20, s7, 63
	v_mov_b32_e32 v227, v0
	s_waitcnt lgkmcnt(0)
	v_cmp_le_i64_e64 s1, s[10:11], s[20:21]
	s_lshl_b32 s20, s0, 5
	v_cmp_gt_i64_e64 s28, s[8:9], s[20:21]
	s_and_b32 vcc_lo, exec_lo, s1
	v_cndmask_b32_e64 v0, 0, 1, s28
	v_cmp_ne_u32_e64 s1, 1, v0
	s_cbranch_vccz .LBB97_141
; %bb.1:
	v_mov_b32_e32 v203, 0
	v_mov_b32_e32 v201, 0
	s_and_b32 vcc_lo, exec_lo, s1
	s_cbranch_vccnz .LBB97_142
; %bb.2:
	v_lshlrev_b32_e32 v39, 5, v1
	v_mov_b32_e32 v2, 0
	v_add_nc_u32_e32 v9, s7, v227
	s_load_dword s2, s[4:5], 0x44
	s_add_u32 s22, s4, 64
	v_add_co_u32 v5, s1, v39, s20
	v_add_co_ci_u32_e64 v6, null, 0, 0, s1
	v_mov_b32_e32 v10, v2
	v_mul_lo_u32 v7, s11, v5
	v_mad_u64_u32 v[3:4], null, s10, v5, 0
	v_mul_lo_u32 v8, s10, v6
	v_cmp_gt_i64_e64 s1, s[10:11], v[9:10]
	v_lshlrev_b64 v[35:36], 1, v[9:10]
	s_addc_u32 s23, s5, 0
	v_mov_b32_e32 v40, v2
	v_mov_b32_e32 v201, 0
	;; [unrolled: 1-line block ×3, first 2 shown]
	s_mov_b64 s[26:27], s[20:21]
	v_add3_u32 v4, v4, v8, v7
	v_add_co_u32 v7, vcc_lo, v5, 31
	v_add_co_ci_u32_e64 v8, null, 0, v6, vcc_lo
	v_add_co_u32 v9, vcc_lo, v5, 30
	v_add_co_ci_u32_e64 v10, null, 0, v6, vcc_lo
	v_lshlrev_b64 v[15:16], 1, v[3:4]
	v_mul_lo_u32 v11, s11, v7
	v_mul_lo_u32 v12, s10, v8
	v_mad_u64_u32 v[7:8], null, s10, v7, 0
	v_mul_lo_u32 v13, s11, v9
	v_mul_lo_u32 v14, s10, v10
	v_mad_u64_u32 v[9:10], null, s10, v9, 0
	v_add_co_u32 v41, vcc_lo, s12, v15
	v_add_co_ci_u32_e64 v42, null, s13, v16, vcc_lo
	v_add_co_u32 v43, vcc_lo, s14, v15
	v_add3_u32 v8, v8, v12, v11
	v_add_co_ci_u32_e64 v44, null, s15, v16, vcc_lo
	v_add_co_u32 v11, vcc_lo, v5, 29
	v_add3_u32 v10, v10, v14, v13
	v_add_co_ci_u32_e64 v12, null, 0, v6, vcc_lo
	v_lshlrev_b64 v[15:16], 1, v[7:8]
	v_mul_lo_u32 v13, s11, v11
	v_lshlrev_b64 v[7:8], 1, v[9:10]
	v_mul_lo_u32 v12, s10, v12
	v_mad_u64_u32 v[9:10], null, s10, v11, 0
	v_add_co_u32 v45, vcc_lo, s12, v15
	v_add_co_ci_u32_e64 v46, null, s13, v16, vcc_lo
	v_add_co_u32 v47, vcc_lo, s14, v15
	v_add3_u32 v10, v10, v12, v13
	s_waitcnt lgkmcnt(0)
	s_lshl_b32 s29, s2, 5
	v_add_co_ci_u32_e64 v48, null, s15, v16, vcc_lo
	v_add_co_u32 v49, vcc_lo, s12, v7
	s_mul_i32 s2, s11, s29
	s_mul_hi_u32 s3, s10, s29
	v_add_co_ci_u32_e64 v50, null, s13, v8, vcc_lo
	v_add_co_u32 v11, vcc_lo, v5, 28
	s_add_i32 s25, s3, s2
	v_add_co_u32 v51, s2, s14, v7
	v_lshlrev_b64 v[15:16], 1, v[9:10]
	v_add_co_ci_u32_e64 v7, null, 0, v6, vcc_lo
	v_add_co_u32 v9, vcc_lo, v5, 27
	v_add_co_ci_u32_e64 v10, null, 0, v6, vcc_lo
	v_add_co_ci_u32_e64 v52, null, s15, v8, s2
	v_mul_lo_u32 v12, s11, v11
	v_mul_lo_u32 v13, s10, v7
	v_mad_u64_u32 v[7:8], null, s10, v11, 0
	v_mul_lo_u32 v11, s11, v9
	v_mul_lo_u32 v14, s10, v10
	v_mad_u64_u32 v[9:10], null, s10, v9, 0
	v_add_co_u32 v53, vcc_lo, s12, v15
	v_add_co_ci_u32_e64 v54, null, s13, v16, vcc_lo
	v_add_co_u32 v55, vcc_lo, s14, v15
	v_add_co_ci_u32_e64 v56, null, s15, v16, vcc_lo
	v_add3_u32 v10, v10, v14, v11
	v_add_co_u32 v11, vcc_lo, v5, 26
	v_add3_u32 v8, v8, v13, v12
	v_add_co_ci_u32_e64 v12, null, 0, v6, vcc_lo
	v_mul_lo_u32 v13, s11, v11
	s_mul_i32 s24, s10, s29
	v_lshlrev_b64 v[15:16], 1, v[7:8]
	v_lshlrev_b64 v[7:8], 1, v[9:10]
	v_mul_lo_u32 v12, s10, v12
	v_mad_u64_u32 v[9:10], null, s10, v11, 0
	v_add_co_u32 v57, vcc_lo, s12, v15
	v_add_co_ci_u32_e64 v58, null, s13, v16, vcc_lo
	v_add_co_u32 v59, vcc_lo, s14, v15
	v_add3_u32 v10, v10, v12, v13
	v_add_co_ci_u32_e64 v60, null, s15, v16, vcc_lo
	v_add_co_u32 v61, vcc_lo, s12, v7
	v_add_co_ci_u32_e64 v62, null, s13, v8, vcc_lo
	v_add_co_u32 v11, vcc_lo, v5, 25
	v_add_co_u32 v63, s2, s14, v7
	v_lshlrev_b64 v[15:16], 1, v[9:10]
	v_add_co_ci_u32_e64 v7, null, 0, v6, vcc_lo
	v_add_co_u32 v9, vcc_lo, v5, 24
	v_add_co_ci_u32_e64 v10, null, 0, v6, vcc_lo
	v_add_co_ci_u32_e64 v64, null, s15, v8, s2
	v_mul_lo_u32 v12, s11, v11
	v_mul_lo_u32 v13, s10, v7
	v_mad_u64_u32 v[7:8], null, s10, v11, 0
	v_mul_lo_u32 v11, s11, v9
	v_mul_lo_u32 v14, s10, v10
	v_mad_u64_u32 v[9:10], null, s10, v9, 0
	v_add_co_u32 v65, vcc_lo, s12, v15
	v_add_co_ci_u32_e64 v66, null, s13, v16, vcc_lo
	v_add_co_u32 v67, vcc_lo, s14, v15
	v_add_co_ci_u32_e64 v68, null, s15, v16, vcc_lo
	v_add3_u32 v10, v10, v14, v11
	v_add_co_u32 v11, vcc_lo, v5, 23
	v_add3_u32 v8, v8, v13, v12
	v_add_co_ci_u32_e64 v12, null, 0, v6, vcc_lo
	v_mul_lo_u32 v13, s11, v11
	v_lshlrev_b64 v[15:16], 1, v[7:8]
	v_lshlrev_b64 v[7:8], 1, v[9:10]
	v_mul_lo_u32 v12, s10, v12
	v_mad_u64_u32 v[9:10], null, s10, v11, 0
	v_add_co_u32 v69, vcc_lo, s12, v15
	v_add_co_ci_u32_e64 v70, null, s13, v16, vcc_lo
	v_add_co_u32 v71, vcc_lo, s14, v15
	v_add3_u32 v10, v10, v12, v13
	v_add_co_ci_u32_e64 v72, null, s15, v16, vcc_lo
	v_add_co_u32 v73, vcc_lo, s12, v7
	v_add_co_ci_u32_e64 v74, null, s13, v8, vcc_lo
	v_add_co_u32 v11, vcc_lo, v5, 22
	v_add_co_u32 v0, s2, s14, v7
	v_add_co_ci_u32_e64 v226, null, s15, v8, s2
	v_lshlrev_b64 v[7:8], 1, v[9:10]
	v_add_co_ci_u32_e64 v9, null, 0, v6, vcc_lo
	v_add_co_u32 v12, vcc_lo, v5, 21
	v_add_co_ci_u32_e64 v14, null, 0, v6, vcc_lo
	v_mul_lo_u32 v13, s11, v11
	v_mul_lo_u32 v15, s10, v9
	v_mad_u64_u32 v[9:10], null, s10, v11, 0
	v_mul_lo_u32 v16, s11, v12
	v_mul_lo_u32 v14, s10, v14
	v_mad_u64_u32 v[11:12], null, s10, v12, 0
	v_add_co_u32 v75, vcc_lo, s12, v7
	v_add_co_ci_u32_e64 v76, null, s13, v8, vcc_lo
	v_add_co_u32 v77, vcc_lo, s14, v7
	v_add3_u32 v10, v10, v15, v13
	v_add_co_ci_u32_e64 v78, null, s15, v8, vcc_lo
	v_add_co_u32 v13, vcc_lo, v5, 20
	v_add3_u32 v12, v12, v14, v16
	v_add_co_ci_u32_e64 v14, null, 0, v6, vcc_lo
	v_lshlrev_b64 v[7:8], 1, v[9:10]
	v_mul_lo_u32 v15, s11, v13
	v_lshlrev_b64 v[9:10], 1, v[11:12]
	v_mul_lo_u32 v14, s10, v14
	v_mad_u64_u32 v[11:12], null, s10, v13, 0
	v_add_co_u32 v79, vcc_lo, s12, v7
	v_add_co_ci_u32_e64 v80, null, s13, v8, vcc_lo
	v_add_co_u32 v81, vcc_lo, s14, v7
	v_add3_u32 v12, v12, v14, v15
	v_add_co_ci_u32_e64 v82, null, s15, v8, vcc_lo
	v_add_co_u32 v83, vcc_lo, s12, v9
	v_add_co_ci_u32_e64 v84, null, s13, v10, vcc_lo
	v_add_co_u32 v13, vcc_lo, v5, 19
	v_add_co_u32 v85, s2, s14, v9
	v_lshlrev_b64 v[7:8], 1, v[11:12]
	v_add_co_ci_u32_e64 v9, null, 0, v6, vcc_lo
	v_add_co_u32 v11, vcc_lo, v5, 18
	v_add_co_ci_u32_e64 v12, null, 0, v6, vcc_lo
	v_add_co_ci_u32_e64 v86, null, s15, v10, s2
	v_mul_lo_u32 v14, s11, v13
	v_mul_lo_u32 v15, s10, v9
	v_mad_u64_u32 v[9:10], null, s10, v13, 0
	v_mul_lo_u32 v13, s11, v11
	v_mul_lo_u32 v16, s10, v12
	v_mad_u64_u32 v[11:12], null, s10, v11, 0
	v_add_co_u32 v87, vcc_lo, s12, v7
	v_add_co_ci_u32_e64 v88, null, s13, v8, vcc_lo
	v_add_co_u32 v89, vcc_lo, s14, v7
	v_add_co_ci_u32_e64 v90, null, s15, v8, vcc_lo
	v_add3_u32 v12, v12, v16, v13
	v_add_co_u32 v13, vcc_lo, v5, 17
	v_add3_u32 v10, v10, v15, v14
	v_add_co_ci_u32_e64 v14, null, 0, v6, vcc_lo
	v_mul_lo_u32 v15, s11, v13
	v_lshlrev_b64 v[7:8], 1, v[9:10]
	v_lshlrev_b64 v[9:10], 1, v[11:12]
	v_mul_lo_u32 v14, s10, v14
	v_mad_u64_u32 v[11:12], null, s10, v13, 0
	v_add_co_u32 v91, vcc_lo, s12, v7
	v_add_co_ci_u32_e64 v92, null, s13, v8, vcc_lo
	v_add_co_u32 v93, vcc_lo, s14, v7
	v_add3_u32 v12, v12, v14, v15
	v_add_co_ci_u32_e64 v94, null, s15, v8, vcc_lo
	v_add_co_u32 v95, vcc_lo, s12, v9
	v_add_co_ci_u32_e64 v96, null, s13, v10, vcc_lo
	v_add_co_u32 v13, vcc_lo, v5, 16
	v_add_co_u32 v97, s2, s14, v9
	v_lshlrev_b64 v[7:8], 1, v[11:12]
	v_add_co_ci_u32_e64 v9, null, 0, v6, vcc_lo
	v_add_co_u32 v11, vcc_lo, v5, 15
	v_add_co_ci_u32_e64 v12, null, 0, v6, vcc_lo
	v_add_co_ci_u32_e64 v98, null, s15, v10, s2
	v_mul_lo_u32 v14, s11, v13
	v_mul_lo_u32 v15, s10, v9
	v_mad_u64_u32 v[9:10], null, s10, v13, 0
	v_mul_lo_u32 v13, s11, v11
	v_mul_lo_u32 v16, s10, v12
	v_mad_u64_u32 v[11:12], null, s10, v11, 0
	v_add_co_u32 v99, vcc_lo, s12, v7
	v_add_co_ci_u32_e64 v100, null, s13, v8, vcc_lo
	v_add_co_u32 v101, vcc_lo, s14, v7
	v_add_co_ci_u32_e64 v102, null, s15, v8, vcc_lo
	v_add3_u32 v12, v12, v16, v13
	v_add_co_u32 v13, vcc_lo, v5, 14
	v_add3_u32 v10, v10, v15, v14
	v_add_co_ci_u32_e64 v14, null, 0, v6, vcc_lo
	v_mul_lo_u32 v15, s11, v13
	v_lshlrev_b64 v[7:8], 1, v[9:10]
	v_lshlrev_b64 v[9:10], 1, v[11:12]
	v_mul_lo_u32 v14, s10, v14
	v_mad_u64_u32 v[11:12], null, s10, v13, 0
	v_add_co_u32 v103, vcc_lo, s12, v7
	v_add_co_ci_u32_e64 v104, null, s13, v8, vcc_lo
	v_add_co_u32 v105, vcc_lo, s14, v7
	v_add3_u32 v12, v12, v14, v15
	v_add_co_ci_u32_e64 v106, null, s15, v8, vcc_lo
	v_add_co_u32 v107, vcc_lo, s12, v9
	v_add_co_ci_u32_e64 v108, null, s13, v10, vcc_lo
	v_add_co_u32 v13, vcc_lo, v5, 13
	v_add_co_u32 v109, s2, s14, v9
	v_lshlrev_b64 v[7:8], 1, v[11:12]
	v_add_co_ci_u32_e64 v9, null, 0, v6, vcc_lo
	v_add_co_u32 v11, vcc_lo, v5, 12
	v_add_co_ci_u32_e64 v12, null, 0, v6, vcc_lo
	v_add_co_ci_u32_e64 v110, null, s15, v10, s2
	v_mul_lo_u32 v14, s11, v13
	v_mul_lo_u32 v15, s10, v9
	v_mad_u64_u32 v[9:10], null, s10, v13, 0
	v_mul_lo_u32 v13, s11, v11
	v_mul_lo_u32 v16, s10, v12
	v_mad_u64_u32 v[11:12], null, s10, v11, 0
	v_add_co_u32 v111, vcc_lo, s12, v7
	v_add_co_ci_u32_e64 v112, null, s13, v8, vcc_lo
	v_add_co_u32 v113, vcc_lo, s14, v7
	v_add_co_ci_u32_e64 v114, null, s15, v8, vcc_lo
	v_add3_u32 v12, v12, v16, v13
	v_add_co_u32 v13, vcc_lo, v5, 11
	v_add3_u32 v10, v10, v15, v14
	v_add_co_ci_u32_e64 v14, null, 0, v6, vcc_lo
	v_mul_lo_u32 v15, s11, v13
	v_lshlrev_b64 v[7:8], 1, v[9:10]
	v_lshlrev_b64 v[9:10], 1, v[11:12]
	v_mul_lo_u32 v14, s10, v14
	v_mad_u64_u32 v[11:12], null, s10, v13, 0
	v_add_co_u32 v115, vcc_lo, s12, v7
	v_add_co_ci_u32_e64 v116, null, s13, v8, vcc_lo
	v_add_co_u32 v117, vcc_lo, s14, v7
	v_add3_u32 v12, v12, v14, v15
	v_add_co_ci_u32_e64 v118, null, s15, v8, vcc_lo
	v_add_co_u32 v119, vcc_lo, s12, v9
	v_add_co_ci_u32_e64 v120, null, s13, v10, vcc_lo
	v_add_co_u32 v13, vcc_lo, v5, 10
	v_add_co_u32 v121, s2, s14, v9
	v_lshlrev_b64 v[7:8], 1, v[11:12]
	v_add_co_ci_u32_e64 v9, null, 0, v6, vcc_lo
	v_add_co_u32 v11, vcc_lo, v5, 9
	v_add_co_ci_u32_e64 v12, null, 0, v6, vcc_lo
	v_add_co_ci_u32_e64 v122, null, s15, v10, s2
	v_mul_lo_u32 v14, s11, v13
	v_mul_lo_u32 v15, s10, v9
	v_mad_u64_u32 v[9:10], null, s10, v13, 0
	v_mul_lo_u32 v13, s11, v11
	v_mul_lo_u32 v16, s10, v12
	v_mad_u64_u32 v[11:12], null, s10, v11, 0
	v_add_co_u32 v123, vcc_lo, s12, v7
	v_add_co_ci_u32_e64 v124, null, s13, v8, vcc_lo
	v_add_co_u32 v125, vcc_lo, s14, v7
	v_add3_u32 v10, v10, v15, v14
	v_add_co_ci_u32_e64 v126, null, s15, v8, vcc_lo
	v_add3_u32 v12, v12, v16, v13
	v_add_co_u32 v13, vcc_lo, v5, 8
	v_add_co_ci_u32_e64 v14, null, 0, v6, vcc_lo
	v_lshlrev_b64 v[7:8], 1, v[9:10]
	v_lshlrev_b64 v[9:10], 1, v[11:12]
	v_mul_lo_u32 v15, s11, v13
	v_mul_lo_u32 v14, s10, v14
	v_mad_u64_u32 v[11:12], null, s10, v13, 0
	v_add_co_u32 v127, vcc_lo, s12, v7
	v_add_co_ci_u32_e64 v128, null, s13, v8, vcc_lo
	v_add_co_u32 v129, vcc_lo, s14, v7
	v_add_co_ci_u32_e64 v130, null, s15, v8, vcc_lo
	v_add_co_u32 v131, vcc_lo, s12, v9
	v_add3_u32 v12, v12, v14, v15
	v_add_co_ci_u32_e64 v132, null, s13, v10, vcc_lo
	v_add_co_u32 v13, vcc_lo, v5, 7
	v_add_co_u32 v133, s2, s14, v9
	v_add_co_ci_u32_e64 v9, null, 0, v6, vcc_lo
	v_lshlrev_b64 v[7:8], 1, v[11:12]
	v_add_co_u32 v11, vcc_lo, v5, 6
	v_add_co_ci_u32_e64 v12, null, 0, v6, vcc_lo
	v_add_co_ci_u32_e64 v134, null, s15, v10, s2
	v_mul_lo_u32 v14, s11, v13
	v_mul_lo_u32 v15, s10, v9
	v_mad_u64_u32 v[9:10], null, s10, v13, 0
	v_mul_lo_u32 v13, s11, v11
	v_mul_lo_u32 v16, s10, v12
	v_mad_u64_u32 v[11:12], null, s10, v11, 0
	v_add_co_u32 v135, vcc_lo, s12, v7
	v_add3_u32 v10, v10, v15, v14
	v_add_co_ci_u32_e64 v136, null, s13, v8, vcc_lo
	v_add_co_u32 v137, vcc_lo, s14, v7
	v_add_co_ci_u32_e64 v138, null, s15, v8, vcc_lo
	v_add3_u32 v12, v12, v16, v13
	v_add_co_u32 v13, vcc_lo, v5, 5
	v_lshlrev_b64 v[7:8], 1, v[9:10]
	v_add_co_ci_u32_e64 v14, null, 0, v6, vcc_lo
	v_lshlrev_b64 v[9:10], 1, v[11:12]
	v_mul_lo_u32 v15, s11, v13
	v_mad_u64_u32 v[11:12], null, s10, v13, 0
	v_add_co_u32 v139, vcc_lo, s12, v7
	v_mul_lo_u32 v14, s10, v14
	v_add_co_ci_u32_e64 v140, null, s13, v8, vcc_lo
	v_add_co_u32 v141, vcc_lo, s14, v7
	v_add_co_ci_u32_e64 v142, null, s15, v8, vcc_lo
	v_add_co_u32 v143, vcc_lo, s12, v9
	v_add_co_ci_u32_e64 v144, null, s13, v10, vcc_lo
	v_add_co_u32 v13, vcc_lo, v5, 4
	v_add3_u32 v12, v12, v14, v15
	v_add_co_u32 v145, s2, s14, v9
	v_add_co_ci_u32_e64 v9, null, 0, v6, vcc_lo
	v_add_co_ci_u32_e64 v146, null, s15, v10, s2
	v_lshlrev_b64 v[7:8], 1, v[11:12]
	v_mul_lo_u32 v14, s11, v13
	v_add_co_u32 v11, vcc_lo, v5, 3
	v_mul_lo_u32 v15, s10, v9
	v_mad_u64_u32 v[9:10], null, s10, v13, 0
	v_add_co_ci_u32_e64 v12, null, 0, v6, vcc_lo
	v_mul_lo_u32 v13, s11, v11
	v_add_co_u32 v147, vcc_lo, s12, v7
	v_mul_lo_u32 v16, s10, v12
	v_mad_u64_u32 v[11:12], null, s10, v11, 0
	v_add3_u32 v10, v10, v15, v14
	v_add_co_ci_u32_e64 v148, null, s13, v8, vcc_lo
	v_add_co_u32 v149, vcc_lo, s14, v7
	v_add_co_ci_u32_e64 v150, null, s15, v8, vcc_lo
	v_lshlrev_b64 v[7:8], 1, v[9:10]
	v_add_co_u32 v9, vcc_lo, v5, 2
	v_add3_u32 v12, v12, v16, v13
	v_add_co_ci_u32_e64 v10, null, 0, v6, vcc_lo
	v_add_co_u32 v151, vcc_lo, s12, v7
	v_lshlrev_b64 v[5:6], 1, v[11:12]
	v_mul_lo_u32 v11, s11, v9
	v_mul_lo_u32 v12, s10, v10
	v_mad_u64_u32 v[9:10], null, s10, v9, 0
	v_add_co_ci_u32_e64 v152, null, s13, v8, vcc_lo
	v_add_co_u32 v153, vcc_lo, s14, v7
	v_add_co_ci_u32_e64 v154, null, s15, v8, vcc_lo
	v_add_co_u32 v155, vcc_lo, s12, v5
	v_add_co_ci_u32_e64 v156, null, s13, v6, vcc_lo
	v_add3_u32 v10, v10, v12, v11
	v_add_co_u32 v157, vcc_lo, s14, v5
	v_add_co_ci_u32_e64 v158, null, s15, v6, vcc_lo
	v_add_co_u32 v3, vcc_lo, v3, s10
	v_add_co_ci_u32_e64 v4, null, s11, v4, vcc_lo
	v_lshlrev_b64 v[5:6], 1, v[9:10]
	s_lshl_b64 s[2:3], s[24:25], 1
	s_mov_b64 s[24:25], 31
	v_lshlrev_b64 v[3:4], 1, v[3:4]
	v_add_co_u32 v159, vcc_lo, s12, v5
	v_add_co_ci_u32_e64 v160, null, s13, v6, vcc_lo
	v_add_co_u32 v161, vcc_lo, s14, v5
	v_add_co_ci_u32_e64 v162, null, s15, v6, vcc_lo
	;; [unrolled: 2-line block ×4, first 2 shown]
.LBB97_3:                               ; =>This Inner Loop Header: Depth=1
	s_add_u32 s30, s20, s24
	s_addc_u32 s31, 0, s25
	v_add_co_u32 v37, vcc_lo, s20, v39
	v_cmp_ge_i64_e64 s30, s[30:31], s[8:9]
	v_add_co_ci_u32_e64 v38, null, 0, v40, vcc_lo
                                        ; implicit-def: $vgpr3_vgpr4_vgpr5_vgpr6_vgpr7_vgpr8_vgpr9_vgpr10_vgpr11_vgpr12_vgpr13_vgpr14_vgpr15_vgpr16_vgpr17_vgpr18_vgpr19_vgpr20_vgpr21_vgpr22_vgpr23_vgpr24_vgpr25_vgpr26_vgpr27_vgpr28_vgpr29_vgpr30_vgpr31_vgpr32_vgpr33_vgpr34
                                        ; implicit-def: $vgpr169
                                        ; implicit-def: $vgpr186
                                        ; implicit-def: $vgpr3
                                        ; implicit-def: $vgpr203
                                        ; implicit-def: $vgpr4
	s_and_b32 vcc_lo, exec_lo, s30
	s_mov_b32 s30, -1
	s_cbranch_vccz .LBB97_71
; %bb.4:                                ;   in Loop: Header=BB97_3 Depth=1
	s_load_dword s30, s[22:23], 0xc
	v_mov_b32_e32 v170, 0
	v_mov_b32_e32 v169, 0
	;; [unrolled: 1-line block ×3, first 2 shown]
	s_waitcnt lgkmcnt(0)
	s_and_b32 s30, s30, 0xffff
	v_mad_u32_u24 v3, v1, s30, v227
	s_mov_b32 s30, exec_lo
	v_and_b32_e32 v3, 31, v3
	v_add_co_u32 v3, vcc_lo, v37, v3
	v_add_co_ci_u32_e64 v4, null, 0, v38, vcc_lo
	v_cmpx_gt_i64_e64 s[8:9], v[3:4]
	s_cbranch_execz .LBB97_6
; %bb.5:                                ;   in Loop: Header=BB97_3 Depth=1
	v_lshlrev_b64 v[3:4], 2, v[3:4]
	v_add_co_u32 v5, vcc_lo, s16, v3
	v_add_co_ci_u32_e64 v6, null, s17, v4, vcc_lo
	v_add_co_u32 v3, vcc_lo, s18, v3
	v_add_co_ci_u32_e64 v4, null, s19, v4, vcc_lo
	global_load_dword v168, v[5:6], off
	global_load_dword v169, v[3:4], off
.LBB97_6:                               ;   in Loop: Header=BB97_3 Depth=1
	s_or_b32 exec_lo, exec_lo, s30
	v_mov_b32_e32 v33, v2
	v_cmp_gt_i64_e32 vcc_lo, s[8:9], v[37:38]
	v_mov_b32_e32 v3, v2
	v_mov_b32_e32 v4, v2
	;; [unrolled: 1-line block ×62, first 2 shown]
	s_and_b32 s31, s1, vcc_lo
	s_and_saveexec_b32 s30, s31
	s_cbranch_execz .LBB97_8
; %bb.7:                                ;   in Loop: Header=BB97_3 Depth=1
	v_add_co_u32 v3, vcc_lo, v41, v35
	v_add_co_ci_u32_e64 v4, null, v42, v36, vcc_lo
	v_add_co_u32 v5, vcc_lo, v43, v35
	v_add_co_ci_u32_e64 v6, null, v44, v36, vcc_lo
	global_load_ushort v3, v[3:4], off
	global_load_ushort v170, v[5:6], off
	v_mov_b32_e32 v4, v2
	v_mov_b32_e32 v5, v2
	;; [unrolled: 1-line block ×31, first 2 shown]
	s_waitcnt vmcnt(1)
	v_lshlrev_b32_e32 v3, 16, v3
	s_waitcnt vmcnt(0)
	v_lshlrev_b32_e32 v170, 16, v170
.LBB97_8:                               ;   in Loop: Header=BB97_3 Depth=1
	s_or_b32 exec_lo, exec_lo, s30
	v_add_co_u32 v171, vcc_lo, v37, 1
	v_add_co_ci_u32_e64 v172, null, 0, v38, vcc_lo
	v_cmp_gt_i64_e32 vcc_lo, s[8:9], v[171:172]
	v_mov_b32_e32 v171, 0
	v_mov_b32_e32 v172, 0
	s_and_b32 s31, s1, vcc_lo
	s_and_saveexec_b32 s30, s31
	s_cbranch_execz .LBB97_10
; %bb.9:                                ;   in Loop: Header=BB97_3 Depth=1
	v_add_co_u32 v172, vcc_lo, v163, v35
	v_add_co_ci_u32_e64 v173, null, v164, v36, vcc_lo
	v_add_co_u32 v174, vcc_lo, v165, v35
	v_add_co_ci_u32_e64 v175, null, v166, v36, vcc_lo
	global_load_ushort v4, v[172:173], off
	global_load_ushort v172, v[174:175], off
	s_waitcnt vmcnt(1)
	v_lshlrev_b32_e32 v4, 16, v4
	s_waitcnt vmcnt(0)
	v_lshlrev_b32_e32 v172, 16, v172
.LBB97_10:                              ;   in Loop: Header=BB97_3 Depth=1
	s_or_b32 exec_lo, exec_lo, s30
	v_add_co_u32 v173, vcc_lo, v37, 2
	v_add_co_ci_u32_e64 v174, null, 0, v38, vcc_lo
	v_cmp_gt_i64_e32 vcc_lo, s[8:9], v[173:174]
	s_and_b32 s31, s1, vcc_lo
	s_and_saveexec_b32 s30, s31
	s_cbranch_execz .LBB97_12
; %bb.11:                               ;   in Loop: Header=BB97_3 Depth=1
	v_add_co_u32 v173, vcc_lo, v159, v35
	v_add_co_ci_u32_e64 v174, null, v160, v36, vcc_lo
	v_add_co_u32 v175, vcc_lo, v161, v35
	v_add_co_ci_u32_e64 v176, null, v162, v36, vcc_lo
	global_load_ushort v5, v[173:174], off
	global_load_ushort v171, v[175:176], off
	s_waitcnt vmcnt(1)
	v_lshlrev_b32_e32 v5, 16, v5
	s_waitcnt vmcnt(0)
	v_lshlrev_b32_e32 v171, 16, v171
.LBB97_12:                              ;   in Loop: Header=BB97_3 Depth=1
	s_or_b32 exec_lo, exec_lo, s30
	v_add_co_u32 v173, vcc_lo, v37, 3
	v_add_co_ci_u32_e64 v174, null, 0, v38, vcc_lo
	v_cmp_gt_i64_e32 vcc_lo, s[8:9], v[173:174]
	v_mov_b32_e32 v173, 0
	v_mov_b32_e32 v174, 0
	s_and_b32 s31, s1, vcc_lo
	s_and_saveexec_b32 s30, s31
	s_cbranch_execz .LBB97_14
; %bb.13:                               ;   in Loop: Header=BB97_3 Depth=1
	v_add_co_u32 v174, vcc_lo, v155, v35
	v_add_co_ci_u32_e64 v175, null, v156, v36, vcc_lo
	v_add_co_u32 v176, vcc_lo, v157, v35
	v_add_co_ci_u32_e64 v177, null, v158, v36, vcc_lo
	global_load_ushort v6, v[174:175], off
	global_load_ushort v174, v[176:177], off
	s_waitcnt vmcnt(1)
	v_lshlrev_b32_e32 v6, 16, v6
	s_waitcnt vmcnt(0)
	v_lshlrev_b32_e32 v174, 16, v174
.LBB97_14:                              ;   in Loop: Header=BB97_3 Depth=1
	s_or_b32 exec_lo, exec_lo, s30
	v_add_co_u32 v175, vcc_lo, v37, 4
	v_add_co_ci_u32_e64 v176, null, 0, v38, vcc_lo
	v_cmp_gt_i64_e32 vcc_lo, s[8:9], v[175:176]
	s_and_b32 s31, s1, vcc_lo
	s_and_saveexec_b32 s30, s31
	s_cbranch_execz .LBB97_16
; %bb.15:                               ;   in Loop: Header=BB97_3 Depth=1
	v_add_co_u32 v175, vcc_lo, v151, v35
	v_add_co_ci_u32_e64 v176, null, v152, v36, vcc_lo
	v_add_co_u32 v177, vcc_lo, v153, v35
	v_add_co_ci_u32_e64 v178, null, v154, v36, vcc_lo
	global_load_ushort v7, v[175:176], off
	global_load_ushort v173, v[177:178], off
	s_waitcnt vmcnt(1)
	v_lshlrev_b32_e32 v7, 16, v7
	s_waitcnt vmcnt(0)
	v_lshlrev_b32_e32 v173, 16, v173
.LBB97_16:                              ;   in Loop: Header=BB97_3 Depth=1
	s_or_b32 exec_lo, exec_lo, s30
	v_add_co_u32 v175, vcc_lo, v37, 5
	v_add_co_ci_u32_e64 v176, null, 0, v38, vcc_lo
	v_cmp_gt_i64_e32 vcc_lo, s[8:9], v[175:176]
	v_mov_b32_e32 v175, 0
	v_mov_b32_e32 v176, 0
	s_and_b32 s31, s1, vcc_lo
	s_and_saveexec_b32 s30, s31
	s_cbranch_execz .LBB97_18
; %bb.17:                               ;   in Loop: Header=BB97_3 Depth=1
	v_add_co_u32 v176, vcc_lo, v147, v35
	v_add_co_ci_u32_e64 v177, null, v148, v36, vcc_lo
	v_add_co_u32 v178, vcc_lo, v149, v35
	v_add_co_ci_u32_e64 v179, null, v150, v36, vcc_lo
	global_load_ushort v8, v[176:177], off
	global_load_ushort v176, v[178:179], off
	s_waitcnt vmcnt(1)
	v_lshlrev_b32_e32 v8, 16, v8
	s_waitcnt vmcnt(0)
	v_lshlrev_b32_e32 v176, 16, v176
.LBB97_18:                              ;   in Loop: Header=BB97_3 Depth=1
	;; [unrolled: 40-line block ×6, first 2 shown]
	s_or_b32 exec_lo, exec_lo, s30
	v_add_co_u32 v185, vcc_lo, v37, 14
	v_add_co_ci_u32_e64 v186, null, 0, v38, vcc_lo
	v_cmp_gt_i64_e32 vcc_lo, s[8:9], v[185:186]
	s_and_b32 s31, s1, vcc_lo
	s_and_saveexec_b32 s30, s31
	s_cbranch_execz .LBB97_36
; %bb.35:                               ;   in Loop: Header=BB97_3 Depth=1
	v_add_co_u32 v185, vcc_lo, v111, v35
	v_add_co_ci_u32_e64 v186, null, v112, v36, vcc_lo
	v_add_co_u32 v187, vcc_lo, v113, v35
	v_add_co_ci_u32_e64 v188, null, v114, v36, vcc_lo
	global_load_ushort v17, v[185:186], off
	global_load_ushort v183, v[187:188], off
	s_waitcnt vmcnt(1)
	v_lshlrev_b32_e32 v17, 16, v17
	s_waitcnt vmcnt(0)
	v_lshlrev_b32_e32 v183, 16, v183
.LBB97_36:                              ;   in Loop: Header=BB97_3 Depth=1
	s_or_b32 exec_lo, exec_lo, s30
	v_add_co_u32 v185, vcc_lo, v37, 15
	v_add_co_ci_u32_e64 v186, null, 0, v38, vcc_lo
	v_mov_b32_e32 v187, 0
	v_cmp_gt_i64_e32 vcc_lo, s[8:9], v[185:186]
	v_mov_b32_e32 v185, 0
	s_and_b32 s31, s1, vcc_lo
	s_and_saveexec_b32 s30, s31
	s_cbranch_execz .LBB97_38
; %bb.37:                               ;   in Loop: Header=BB97_3 Depth=1
	v_add_co_u32 v186, vcc_lo, v107, v35
	v_add_co_ci_u32_e64 v187, null, v108, v36, vcc_lo
	v_add_co_u32 v188, vcc_lo, v109, v35
	v_add_co_ci_u32_e64 v189, null, v110, v36, vcc_lo
	global_load_ushort v18, v[186:187], off
	global_load_ushort v186, v[188:189], off
	s_waitcnt vmcnt(1)
	v_lshlrev_b32_e32 v18, 16, v18
	s_waitcnt vmcnt(0)
	v_lshlrev_b32_e32 v187, 16, v186
.LBB97_38:                              ;   in Loop: Header=BB97_3 Depth=1
	s_or_b32 exec_lo, exec_lo, s30
	v_add_co_u32 v188, vcc_lo, v37, 16
	v_add_co_ci_u32_e64 v189, null, 0, v38, vcc_lo
	v_cmp_gt_i64_e32 vcc_lo, s[8:9], v[188:189]
	s_and_b32 s31, s1, vcc_lo
	s_and_saveexec_b32 s30, s31
	s_cbranch_execz .LBB97_40
; %bb.39:                               ;   in Loop: Header=BB97_3 Depth=1
	v_add_co_u32 v185, vcc_lo, v103, v35
	v_add_co_ci_u32_e64 v186, null, v104, v36, vcc_lo
	v_add_co_u32 v188, vcc_lo, v105, v35
	v_add_co_ci_u32_e64 v189, null, v106, v36, vcc_lo
	global_load_ushort v19, v[185:186], off
	global_load_ushort v185, v[188:189], off
	s_waitcnt vmcnt(1)
	v_lshlrev_b32_e32 v19, 16, v19
	s_waitcnt vmcnt(0)
	v_lshlrev_b32_e32 v185, 16, v185
.LBB97_40:                              ;   in Loop: Header=BB97_3 Depth=1
	s_or_b32 exec_lo, exec_lo, s30
	v_add_co_u32 v188, vcc_lo, v37, 17
	v_add_co_ci_u32_e64 v189, null, 0, v38, vcc_lo
	v_cmp_gt_i64_e32 vcc_lo, s[8:9], v[188:189]
	v_mov_b32_e32 v188, 0
	v_mov_b32_e32 v189, 0
	s_and_b32 s31, s1, vcc_lo
	s_and_saveexec_b32 s30, s31
	s_cbranch_execz .LBB97_42
; %bb.41:                               ;   in Loop: Header=BB97_3 Depth=1
	v_add_co_u32 v189, vcc_lo, v99, v35
	v_add_co_ci_u32_e64 v190, null, v100, v36, vcc_lo
	v_add_co_u32 v191, vcc_lo, v101, v35
	v_add_co_ci_u32_e64 v192, null, v102, v36, vcc_lo
	global_load_ushort v20, v[189:190], off
	global_load_ushort v186, v[191:192], off
	s_waitcnt vmcnt(1)
	v_lshlrev_b32_e32 v20, 16, v20
	s_waitcnt vmcnt(0)
	v_lshlrev_b32_e32 v189, 16, v186
.LBB97_42:                              ;   in Loop: Header=BB97_3 Depth=1
	s_or_b32 exec_lo, exec_lo, s30
	v_add_co_u32 v190, vcc_lo, v37, 18
	v_add_co_ci_u32_e64 v191, null, 0, v38, vcc_lo
	v_cmp_gt_i64_e32 vcc_lo, s[8:9], v[190:191]
	s_and_b32 s31, s1, vcc_lo
	s_and_saveexec_b32 s30, s31
	s_cbranch_execz .LBB97_44
; %bb.43:                               ;   in Loop: Header=BB97_3 Depth=1
	v_add_co_u32 v190, vcc_lo, v95, v35
	v_add_co_ci_u32_e64 v191, null, v96, v36, vcc_lo
	v_add_co_u32 v192, vcc_lo, v97, v35
	v_add_co_ci_u32_e64 v193, null, v98, v36, vcc_lo
	global_load_ushort v21, v[190:191], off
	global_load_ushort v186, v[192:193], off
	s_waitcnt vmcnt(1)
	v_lshlrev_b32_e32 v21, 16, v21
	s_waitcnt vmcnt(0)
	v_lshlrev_b32_e32 v188, 16, v186
.LBB97_44:                              ;   in Loop: Header=BB97_3 Depth=1
	s_or_b32 exec_lo, exec_lo, s30
	v_add_co_u32 v190, vcc_lo, v37, 19
	v_add_co_ci_u32_e64 v191, null, 0, v38, vcc_lo
	v_cmp_gt_i64_e32 vcc_lo, s[8:9], v[190:191]
	v_mov_b32_e32 v190, 0
	;; [unrolled: 40-line block ×6, first 2 shown]
	v_mov_b32_e32 v199, 0
	s_and_b32 s31, s1, vcc_lo
	s_and_saveexec_b32 s30, s31
	s_cbranch_execz .LBB97_62
; %bb.61:                               ;   in Loop: Header=BB97_3 Depth=1
	v_add_co_u32 v199, vcc_lo, v61, v35
	v_add_co_ci_u32_e64 v200, null, v62, v36, vcc_lo
	v_add_co_u32 v202, vcc_lo, v63, v35
	v_add_co_ci_u32_e64 v203, null, v64, v36, vcc_lo
	global_load_ushort v30, v[199:200], off
	global_load_ushort v186, v[202:203], off
	s_waitcnt vmcnt(1)
	v_lshlrev_b32_e32 v30, 16, v30
	s_waitcnt vmcnt(0)
	v_lshlrev_b32_e32 v199, 16, v186
.LBB97_62:                              ;   in Loop: Header=BB97_3 Depth=1
	s_or_b32 exec_lo, exec_lo, s30
	v_add_co_u32 v202, vcc_lo, v37, 28
	v_add_co_ci_u32_e64 v203, null, 0, v38, vcc_lo
	v_cmp_gt_i64_e32 vcc_lo, s[8:9], v[202:203]
	s_and_b32 s31, s1, vcc_lo
	s_and_saveexec_b32 s30, s31
	s_cbranch_execz .LBB97_64
; %bb.63:                               ;   in Loop: Header=BB97_3 Depth=1
	v_add_co_u32 v202, vcc_lo, v57, v35
	v_add_co_ci_u32_e64 v203, null, v58, v36, vcc_lo
	v_add_co_u32 v204, vcc_lo, v59, v35
	v_add_co_ci_u32_e64 v205, null, v60, v36, vcc_lo
	global_load_ushort v31, v[202:203], off
	global_load_ushort v186, v[204:205], off
	s_waitcnt vmcnt(1)
	v_lshlrev_b32_e32 v31, 16, v31
	s_waitcnt vmcnt(0)
	v_lshlrev_b32_e32 v198, 16, v186
.LBB97_64:                              ;   in Loop: Header=BB97_3 Depth=1
	s_or_b32 exec_lo, exec_lo, s30
	v_add_co_u32 v202, vcc_lo, v37, 29
	v_add_co_ci_u32_e64 v203, null, 0, v38, vcc_lo
	v_mov_b32_e32 v200, 0
	v_cmp_gt_i64_e32 vcc_lo, s[8:9], v[202:203]
	v_mov_b32_e32 v202, 0
	s_and_b32 s31, s1, vcc_lo
	s_and_saveexec_b32 s30, s31
	s_cbranch_execz .LBB97_66
; %bb.65:                               ;   in Loop: Header=BB97_3 Depth=1
	v_add_co_u32 v202, vcc_lo, v53, v35
	v_add_co_ci_u32_e64 v203, null, v54, v36, vcc_lo
	v_add_co_u32 v204, vcc_lo, v55, v35
	v_add_co_ci_u32_e64 v205, null, v56, v36, vcc_lo
	global_load_ushort v32, v[202:203], off
	global_load_ushort v186, v[204:205], off
	s_waitcnt vmcnt(1)
	v_lshlrev_b32_e32 v32, 16, v32
	s_waitcnt vmcnt(0)
	v_lshlrev_b32_e32 v202, 16, v186
.LBB97_66:                              ;   in Loop: Header=BB97_3 Depth=1
	s_or_b32 exec_lo, exec_lo, s30
	v_add_co_u32 v203, vcc_lo, v37, 30
	v_add_co_ci_u32_e64 v204, null, 0, v38, vcc_lo
	v_cmp_gt_i64_e32 vcc_lo, s[8:9], v[203:204]
	s_and_b32 s31, s1, vcc_lo
	s_and_saveexec_b32 s30, s31
	s_cbranch_execz .LBB97_68
; %bb.67:                               ;   in Loop: Header=BB97_3 Depth=1
	v_add_co_u32 v203, vcc_lo, v49, v35
	v_add_co_ci_u32_e64 v204, null, v50, v36, vcc_lo
	v_add_co_u32 v205, vcc_lo, v51, v35
	v_add_co_ci_u32_e64 v206, null, v52, v36, vcc_lo
	global_load_ushort v33, v[203:204], off
	global_load_ushort v186, v[205:206], off
	s_waitcnt vmcnt(1)
	v_lshlrev_b32_e32 v33, 16, v33
	s_waitcnt vmcnt(0)
	v_lshlrev_b32_e32 v200, 16, v186
.LBB97_68:                              ;   in Loop: Header=BB97_3 Depth=1
	s_or_b32 exec_lo, exec_lo, s30
	v_add_co_u32 v203, vcc_lo, v37, 31
	v_add_co_ci_u32_e64 v204, null, 0, v38, vcc_lo
	v_mov_b32_e32 v186, 0
	v_cmp_gt_i64_e32 vcc_lo, s[8:9], v[203:204]
	s_and_b32 s31, s1, vcc_lo
	s_and_saveexec_b32 s30, s31
	s_cbranch_execz .LBB97_70
; %bb.69:                               ;   in Loop: Header=BB97_3 Depth=1
	v_add_co_u32 v203, vcc_lo, v45, v35
	v_add_co_ci_u32_e64 v204, null, v46, v36, vcc_lo
	v_add_co_u32 v205, vcc_lo, v47, v35
	v_add_co_ci_u32_e64 v206, null, v48, v36, vcc_lo
	global_load_ushort v34, v[203:204], off
	global_load_ushort v186, v[205:206], off
	s_waitcnt vmcnt(1)
	v_lshlrev_b32_e32 v34, 16, v34
	s_waitcnt vmcnt(0)
	v_lshlrev_b32_e32 v186, 16, v186
.LBB97_70:                              ;   in Loop: Header=BB97_3 Depth=1
	s_or_b32 exec_lo, exec_lo, s30
	s_waitcnt vmcnt(1)
	ds_bpermute_b32 v203, v2, v168
	ds_bpermute_b32 v207, v2, v168 offset:4
	s_waitcnt vmcnt(0)
	ds_bpermute_b32 v204, v2, v169
	ds_bpermute_b32 v209, v2, v168 offset:8
	ds_bpermute_b32 v206, v2, v169 offset:4
	;; [unrolled: 1-line block ×5, first 2 shown]
	v_add_f32_e32 v205, v201, v3
	ds_bpermute_b32 v210, v2, v169 offset:12
	ds_bpermute_b32 v215, v2, v168 offset:20
	;; [unrolled: 1-line block ×11, first 2 shown]
	s_waitcnt lgkmcnt(18)
	v_sub_f32_e32 v170, v170, v203
	s_waitcnt lgkmcnt(17)
	v_sub_f32_e32 v172, v172, v207
	ds_bpermute_b32 v225, v2, v168 offset:40
	s_waitcnt lgkmcnt(16)
	v_sub_f32_e32 v171, v171, v209
	ds_bpermute_b32 v222, v2, v169 offset:36
	v_mul_f32_e32 v3, v3, v170
	v_mul_f32_e32 v172, v4, v172
	v_add_f32_e32 v4, v4, v205
	s_waitcnt lgkmcnt(15)
	v_sub_f32_e32 v174, v174, v211
	v_mul_f32_e32 v171, v5, v171
	v_fma_f32 v203, v3, v204, v167
	ds_bpermute_b32 v207, v2, v168 offset:44
	v_add_f32_e32 v4, v5, v4
	s_waitcnt lgkmcnt(14)
	v_sub_f32_e32 v5, v173, v213
	v_mul_f32_e32 v173, v6, v174
	v_fmac_f32_e32 v203, v172, v206
	s_waitcnt lgkmcnt(8)
	v_sub_f32_e32 v174, v178, v219
	v_add_f32_e32 v4, v6, v4
	v_sub_f32_e32 v6, v176, v215
	v_mul_f32_e32 v5, v7, v5
	v_fmac_f32_e32 v203, v171, v208
	ds_bpermute_b32 v224, v2, v169 offset:40
	v_add_f32_e32 v4, v7, v4
	v_sub_f32_e32 v7, v175, v217
	v_mul_f32_e32 v6, v8, v6
	v_fmac_f32_e32 v203, v173, v210
	ds_bpermute_b32 v172, v2, v168 offset:48
	v_add_f32_e32 v4, v8, v4
	v_mul_f32_e32 v7, v9, v7
	s_waitcnt lgkmcnt(8)
	v_sub_f32_e32 v8, v177, v221
	v_fmac_f32_e32 v203, v5, v212
	v_mul_f32_e32 v174, v10, v174
	ds_bpermute_b32 v170, v2, v169 offset:44
	ds_bpermute_b32 v173, v2, v168 offset:52
	v_add_f32_e32 v4, v9, v4
	v_fmac_f32_e32 v203, v6, v214
	s_waitcnt lgkmcnt(8)
	v_sub_f32_e32 v9, v180, v223
	v_mul_f32_e32 v8, v11, v8
	ds_bpermute_b32 v3, v2, v169 offset:48
	ds_bpermute_b32 v6, v2, v168 offset:56
	v_fmac_f32_e32 v203, v7, v216
	v_add_f32_e32 v4, v10, v4
	v_mul_f32_e32 v9, v12, v9
	ds_bpermute_b32 v171, v2, v169 offset:52
	ds_bpermute_b32 v10, v2, v168 offset:60
	v_fmac_f32_e32 v203, v174, v218
	s_waitcnt lgkmcnt(10)
	v_sub_f32_e32 v174, v179, v225
	v_add_f32_e32 v4, v11, v4
	s_waitcnt lgkmcnt(8)
	v_sub_f32_e32 v11, v182, v207
	ds_bpermute_b32 v5, v2, v169 offset:56
	v_fmac_f32_e32 v203, v8, v220
	v_mul_f32_e32 v174, v13, v174
	v_add_f32_e32 v4, v12, v4
	s_waitcnt lgkmcnt(7)
	v_sub_f32_e32 v12, v181, v172
	v_mul_f32_e32 v11, v14, v11
	v_fmac_f32_e32 v203, v9, v222
	ds_bpermute_b32 v9, v2, v168 offset:64
	ds_bpermute_b32 v7, v2, v169 offset:60
	v_add_f32_e32 v4, v13, v4
	ds_bpermute_b32 v13, v2, v168 offset:68
	v_fmac_f32_e32 v203, v174, v224
	s_waitcnt lgkmcnt(8)
	v_sub_f32_e32 v172, v184, v173
	v_mul_f32_e32 v12, v15, v12
	ds_bpermute_b32 v8, v2, v169 offset:64
	v_add_f32_e32 v4, v14, v4
	v_fmac_f32_e32 v203, v11, v170
	ds_bpermute_b32 v11, v2, v168 offset:72
	s_waitcnt lgkmcnt(8)
	v_sub_f32_e32 v6, v183, v6
	v_mul_f32_e32 v14, v16, v172
	s_waitcnt lgkmcnt(6)
	v_sub_f32_e32 v10, v187, v10
	v_fmac_f32_e32 v203, v12, v3
	ds_bpermute_b32 v3, v2, v169 offset:68
	v_mul_f32_e32 v6, v17, v6
	ds_bpermute_b32 v12, v2, v169 offset:72
	v_mul_f32_e32 v10, v18, v10
	v_fmac_f32_e32 v203, v14, v171
	ds_bpermute_b32 v14, v2, v168 offset:76
	v_add_f32_e32 v4, v15, v4
	s_mov_b32 s30, 0
	s_waitcnt lgkmcnt(8)
	v_fmac_f32_e32 v203, v6, v5
	s_waitcnt lgkmcnt(7)
	v_sub_f32_e32 v5, v185, v9
	ds_bpermute_b32 v6, v2, v168 offset:80
	s_waitcnt lgkmcnt(6)
	v_sub_f32_e32 v9, v189, v13
	v_add_f32_e32 v4, v16, v4
	v_fmac_f32_e32 v203, v10, v7
	v_mul_f32_e32 v5, v19, v5
	ds_bpermute_b32 v7, v2, v169 offset:76
	v_mul_f32_e32 v9, v20, v9
	s_waitcnt lgkmcnt(5)
	v_sub_f32_e32 v10, v188, v11
	ds_bpermute_b32 v11, v2, v168 offset:84
	v_fmac_f32_e32 v203, v5, v8
	v_add_f32_e32 v4, v17, v4
	ds_bpermute_b32 v5, v2, v169 offset:80
	v_mul_f32_e32 v8, v21, v10
	ds_bpermute_b32 v10, v2, v169 offset:84
	s_waitcnt lgkmcnt(7)
	v_fmac_f32_e32 v203, v9, v3
	s_waitcnt lgkmcnt(5)
	v_sub_f32_e32 v3, v191, v14
	ds_bpermute_b32 v9, v2, v168 offset:88
	v_add_f32_e32 v4, v18, v4
	v_fmac_f32_e32 v203, v8, v12
	v_mul_f32_e32 v3, v22, v3
	ds_bpermute_b32 v8, v2, v168 offset:92
	v_add_f32_e32 v4, v19, v4
	s_waitcnt lgkmcnt(6)
	v_sub_f32_e32 v6, v190, v6
	ds_bpermute_b32 v12, v2, v169 offset:116
	s_waitcnt lgkmcnt(6)
	v_fmac_f32_e32 v203, v3, v7
	ds_bpermute_b32 v3, v2, v169 offset:88
	v_add_f32_e32 v4, v20, v4
	v_mul_f32_e32 v6, v23, v6
	s_waitcnt lgkmcnt(6)
	v_sub_f32_e32 v7, v193, v11
	ds_bpermute_b32 v11, v2, v168 offset:96
	v_add_f32_e32 v4, v21, v4
	s_waitcnt lgkmcnt(6)
	v_fmac_f32_e32 v203, v6, v5
	ds_bpermute_b32 v5, v2, v169 offset:92
	v_mul_f32_e32 v6, v24, v7
	s_waitcnt lgkmcnt(5)
	v_sub_f32_e32 v7, v192, v9
	ds_bpermute_b32 v9, v2, v168 offset:100
	v_add_f32_e32 v4, v22, v4
	v_fmac_f32_e32 v203, v6, v10
	ds_bpermute_b32 v6, v2, v169 offset:96
	v_mul_f32_e32 v7, v25, v7
	ds_bpermute_b32 v10, v2, v168 offset:104
	v_add_f32_e32 v4, v23, v4
	s_waitcnt lgkmcnt(7)
	v_sub_f32_e32 v8, v195, v8
	s_waitcnt lgkmcnt(5)
	v_fmac_f32_e32 v203, v7, v3
	ds_bpermute_b32 v3, v2, v169 offset:100
	v_add_f32_e32 v4, v24, v4
	v_mul_f32_e32 v7, v26, v8
	s_waitcnt lgkmcnt(5)
	v_sub_f32_e32 v8, v194, v11
	ds_bpermute_b32 v11, v2, v168 offset:108
	v_add_f32_e32 v4, v25, v4
	s_waitcnt lgkmcnt(5)
	v_fmac_f32_e32 v203, v7, v5
	v_mul_f32_e32 v5, v27, v8
	ds_bpermute_b32 v7, v2, v169 offset:104
	s_waitcnt lgkmcnt(5)
	v_sub_f32_e32 v8, v197, v9
	ds_bpermute_b32 v9, v2, v168 offset:112
	v_add_f32_e32 v4, v26, v4
	s_waitcnt lgkmcnt(5)
	v_fmac_f32_e32 v203, v5, v6
	ds_bpermute_b32 v5, v2, v169 offset:108
	v_mul_f32_e32 v6, v28, v8
	s_waitcnt lgkmcnt(5)
	v_sub_f32_e32 v8, v196, v10
	ds_bpermute_b32 v10, v2, v168 offset:116
	v_add_f32_e32 v4, v27, v4
	s_waitcnt lgkmcnt(5)
	v_fmac_f32_e32 v203, v6, v3
	ds_bpermute_b32 v6, v2, v169 offset:112
	v_mul_f32_e32 v3, v29, v8
	ds_bpermute_b32 v8, v2, v168 offset:120
	s_waitcnt lgkmcnt(6)
	v_sub_f32_e32 v11, v199, v11
	v_add_f32_e32 v4, v28, v4
	s_waitcnt lgkmcnt(5)
	v_fmac_f32_e32 v203, v3, v7
	v_mul_f32_e32 v3, v30, v11
	v_add_f32_e32 v4, v29, v4
	s_waitcnt lgkmcnt(4)
	v_sub_f32_e32 v7, v198, v9
	ds_bpermute_b32 v9, v2, v169 offset:120
	ds_bpermute_b32 v169, v2, v169 offset:124
	s_waitcnt lgkmcnt(5)
	v_fmac_f32_e32 v203, v3, v5
	v_add_f32_e32 v4, v30, v4
	v_mul_f32_e32 v5, v31, v7
	s_waitcnt lgkmcnt(4)
	v_sub_f32_e32 v7, v202, v10
	ds_bpermute_b32 v3, v2, v168 offset:124
	v_add_f32_e32 v4, v31, v4
	s_waitcnt lgkmcnt(4)
	v_fmac_f32_e32 v203, v5, v6
	v_mul_f32_e32 v5, v32, v7
	s_waitcnt lgkmcnt(3)
	v_sub_f32_e32 v6, v200, v8
	v_add_f32_e32 v4, v32, v4
	v_fmac_f32_e32 v203, v5, v12
	v_mul_f32_e32 v5, v33, v6
	v_add_f32_e32 v4, v33, v4
	s_waitcnt lgkmcnt(2)
	v_fmac_f32_e32 v203, v5, v9
.LBB97_71:                              ;   in Loop: Header=BB97_3 Depth=1
	s_and_b32 vcc_lo, exec_lo, s30
	s_cbranch_vccz .LBB97_137
; %bb.72:                               ;   in Loop: Header=BB97_3 Depth=1
	s_load_dword s30, s[22:23], 0x0
	v_mov_b32_e32 v168, 0
	s_waitcnt lgkmcnt(0)
	s_cmp_lt_u32 s6, s30
	s_cselect_b32 s30, 12, 18
	s_add_u32 s30, s22, s30
	s_addc_u32 s31, s23, 0
	global_load_ushort v3, v2, s[30:31]
	s_mov_b32 s30, exec_lo
	s_waitcnt vmcnt(0)
	v_mad_u32_u24 v3, v1, v3, v227
	v_and_b32_e32 v3, 31, v3
	v_add_co_u32 v3, vcc_lo, v37, v3
	v_add_co_ci_u32_e64 v4, null, 0, v38, vcc_lo
	v_mov_b32_e32 v38, 0
	v_mov_b32_e32 v37, 0
	v_cmpx_gt_i64_e64 s[8:9], v[3:4]
	s_cbranch_execz .LBB97_74
; %bb.73:                               ;   in Loop: Header=BB97_3 Depth=1
	v_lshlrev_b64 v[3:4], 2, v[3:4]
	v_add_co_u32 v5, vcc_lo, s16, v3
	v_add_co_ci_u32_e64 v6, null, s17, v4, vcc_lo
	v_add_co_u32 v3, vcc_lo, s18, v3
	v_add_co_ci_u32_e64 v4, null, s19, v4, vcc_lo
	global_load_dword v37, v[5:6], off
	global_load_dword v38, v[3:4], off
.LBB97_74:                              ;   in Loop: Header=BB97_3 Depth=1
	s_or_b32 exec_lo, exec_lo, s30
	v_mov_b32_e32 v33, v2
	v_mov_b32_e32 v3, v2
	;; [unrolled: 1-line block ×63, first 2 shown]
	s_and_saveexec_b32 s30, s1
	s_cbranch_execz .LBB97_76
; %bb.75:                               ;   in Loop: Header=BB97_3 Depth=1
	v_add_co_u32 v3, vcc_lo, v41, v35
	v_add_co_ci_u32_e64 v4, null, v42, v36, vcc_lo
	v_add_co_u32 v5, vcc_lo, v43, v35
	v_add_co_ci_u32_e64 v6, null, v44, v36, vcc_lo
	global_load_ushort v3, v[3:4], off
	global_load_ushort v168, v[5:6], off
	v_mov_b32_e32 v4, v2
	v_mov_b32_e32 v5, v2
	;; [unrolled: 1-line block ×31, first 2 shown]
	s_waitcnt vmcnt(1)
	v_lshlrev_b32_e32 v3, 16, v3
	s_waitcnt vmcnt(0)
	v_lshlrev_b32_e32 v168, 16, v168
.LBB97_76:                              ;   in Loop: Header=BB97_3 Depth=1
	s_or_b32 exec_lo, exec_lo, s30
	v_mov_b32_e32 v169, 0
	v_mov_b32_e32 v170, 0
	s_and_saveexec_b32 s30, s1
	s_cbranch_execz .LBB97_78
; %bb.77:                               ;   in Loop: Header=BB97_3 Depth=1
	v_add_co_u32 v170, vcc_lo, v163, v35
	v_add_co_ci_u32_e64 v171, null, v164, v36, vcc_lo
	v_add_co_u32 v172, vcc_lo, v165, v35
	v_add_co_ci_u32_e64 v173, null, v166, v36, vcc_lo
	global_load_ushort v4, v[170:171], off
	global_load_ushort v170, v[172:173], off
	s_waitcnt vmcnt(1)
	v_lshlrev_b32_e32 v4, 16, v4
	s_waitcnt vmcnt(0)
	v_lshlrev_b32_e32 v170, 16, v170
.LBB97_78:                              ;   in Loop: Header=BB97_3 Depth=1
	s_or_b32 exec_lo, exec_lo, s30
	s_and_saveexec_b32 s30, s1
	s_cbranch_execz .LBB97_80
; %bb.79:                               ;   in Loop: Header=BB97_3 Depth=1
	v_add_co_u32 v171, vcc_lo, v159, v35
	v_add_co_ci_u32_e64 v172, null, v160, v36, vcc_lo
	v_add_co_u32 v173, vcc_lo, v161, v35
	v_add_co_ci_u32_e64 v174, null, v162, v36, vcc_lo
	global_load_ushort v5, v[171:172], off
	global_load_ushort v169, v[173:174], off
	s_waitcnt vmcnt(1)
	v_lshlrev_b32_e32 v5, 16, v5
	s_waitcnt vmcnt(0)
	v_lshlrev_b32_e32 v169, 16, v169
.LBB97_80:                              ;   in Loop: Header=BB97_3 Depth=1
	s_or_b32 exec_lo, exec_lo, s30
	v_mov_b32_e32 v171, 0
	v_mov_b32_e32 v172, 0
	s_and_saveexec_b32 s30, s1
	s_cbranch_execz .LBB97_82
; %bb.81:                               ;   in Loop: Header=BB97_3 Depth=1
	v_add_co_u32 v172, vcc_lo, v155, v35
	v_add_co_ci_u32_e64 v173, null, v156, v36, vcc_lo
	v_add_co_u32 v174, vcc_lo, v157, v35
	v_add_co_ci_u32_e64 v175, null, v158, v36, vcc_lo
	global_load_ushort v6, v[172:173], off
	global_load_ushort v172, v[174:175], off
	s_waitcnt vmcnt(1)
	v_lshlrev_b32_e32 v6, 16, v6
	s_waitcnt vmcnt(0)
	v_lshlrev_b32_e32 v172, 16, v172
.LBB97_82:                              ;   in Loop: Header=BB97_3 Depth=1
	s_or_b32 exec_lo, exec_lo, s30
	s_and_saveexec_b32 s30, s1
	s_cbranch_execz .LBB97_84
; %bb.83:                               ;   in Loop: Header=BB97_3 Depth=1
	v_add_co_u32 v173, vcc_lo, v151, v35
	v_add_co_ci_u32_e64 v174, null, v152, v36, vcc_lo
	v_add_co_u32 v175, vcc_lo, v153, v35
	v_add_co_ci_u32_e64 v176, null, v154, v36, vcc_lo
	global_load_ushort v7, v[173:174], off
	global_load_ushort v171, v[175:176], off
	s_waitcnt vmcnt(1)
	v_lshlrev_b32_e32 v7, 16, v7
	s_waitcnt vmcnt(0)
	v_lshlrev_b32_e32 v171, 16, v171
.LBB97_84:                              ;   in Loop: Header=BB97_3 Depth=1
	;; [unrolled: 32-line block ×5, first 2 shown]
	s_or_b32 exec_lo, exec_lo, s30
	v_mov_b32_e32 v179, 0
	v_mov_b32_e32 v180, 0
	s_and_saveexec_b32 s30, s1
	s_cbranch_execz .LBB97_98
; %bb.97:                               ;   in Loop: Header=BB97_3 Depth=1
	v_add_co_u32 v180, vcc_lo, v123, v35
	v_add_co_ci_u32_e64 v181, null, v124, v36, vcc_lo
	v_add_co_u32 v182, vcc_lo, v125, v35
	v_add_co_ci_u32_e64 v183, null, v126, v36, vcc_lo
	global_load_ushort v14, v[180:181], off
	global_load_ushort v180, v[182:183], off
	s_waitcnt vmcnt(1)
	v_lshlrev_b32_e32 v14, 16, v14
	s_waitcnt vmcnt(0)
	v_lshlrev_b32_e32 v180, 16, v180
.LBB97_98:                              ;   in Loop: Header=BB97_3 Depth=1
	s_or_b32 exec_lo, exec_lo, s30
	s_and_saveexec_b32 s30, s1
	s_cbranch_execz .LBB97_100
; %bb.99:                               ;   in Loop: Header=BB97_3 Depth=1
	v_add_co_u32 v181, vcc_lo, v119, v35
	v_add_co_ci_u32_e64 v182, null, v120, v36, vcc_lo
	v_add_co_u32 v183, vcc_lo, v121, v35
	v_add_co_ci_u32_e64 v184, null, v122, v36, vcc_lo
	global_load_ushort v15, v[181:182], off
	global_load_ushort v179, v[183:184], off
	s_waitcnt vmcnt(1)
	v_lshlrev_b32_e32 v15, 16, v15
	s_waitcnt vmcnt(0)
	v_lshlrev_b32_e32 v179, 16, v179
.LBB97_100:                             ;   in Loop: Header=BB97_3 Depth=1
	s_or_b32 exec_lo, exec_lo, s30
	v_mov_b32_e32 v181, 0
	v_mov_b32_e32 v182, 0
	s_and_saveexec_b32 s30, s1
	s_cbranch_execz .LBB97_102
; %bb.101:                              ;   in Loop: Header=BB97_3 Depth=1
	v_add_co_u32 v182, vcc_lo, v115, v35
	v_add_co_ci_u32_e64 v183, null, v116, v36, vcc_lo
	v_add_co_u32 v184, vcc_lo, v117, v35
	v_add_co_ci_u32_e64 v185, null, v118, v36, vcc_lo
	global_load_ushort v16, v[182:183], off
	global_load_ushort v182, v[184:185], off
	s_waitcnt vmcnt(1)
	v_lshlrev_b32_e32 v16, 16, v16
	s_waitcnt vmcnt(0)
	v_lshlrev_b32_e32 v182, 16, v182
.LBB97_102:                             ;   in Loop: Header=BB97_3 Depth=1
	s_or_b32 exec_lo, exec_lo, s30
	s_and_saveexec_b32 s30, s1
	s_cbranch_execz .LBB97_104
; %bb.103:                              ;   in Loop: Header=BB97_3 Depth=1
	v_add_co_u32 v183, vcc_lo, v111, v35
	v_add_co_ci_u32_e64 v184, null, v112, v36, vcc_lo
	v_add_co_u32 v185, vcc_lo, v113, v35
	v_add_co_ci_u32_e64 v186, null, v114, v36, vcc_lo
	global_load_ushort v17, v[183:184], off
	global_load_ushort v181, v[185:186], off
	s_waitcnt vmcnt(1)
	v_lshlrev_b32_e32 v17, 16, v17
	s_waitcnt vmcnt(0)
	v_lshlrev_b32_e32 v181, 16, v181
.LBB97_104:                             ;   in Loop: Header=BB97_3 Depth=1
	s_or_b32 exec_lo, exec_lo, s30
	v_mov_b32_e32 v183, 0
	v_mov_b32_e32 v184, 0
	s_and_saveexec_b32 s30, s1
	s_cbranch_execz .LBB97_106
; %bb.105:                              ;   in Loop: Header=BB97_3 Depth=1
	v_add_co_u32 v184, vcc_lo, v107, v35
	v_add_co_ci_u32_e64 v185, null, v108, v36, vcc_lo
	v_add_co_u32 v186, vcc_lo, v109, v35
	v_add_co_ci_u32_e64 v187, null, v110, v36, vcc_lo
	global_load_ushort v18, v[184:185], off
	global_load_ushort v184, v[186:187], off
	s_waitcnt vmcnt(1)
	v_lshlrev_b32_e32 v18, 16, v18
	s_waitcnt vmcnt(0)
	v_lshlrev_b32_e32 v184, 16, v184
.LBB97_106:                             ;   in Loop: Header=BB97_3 Depth=1
	s_or_b32 exec_lo, exec_lo, s30
	s_and_saveexec_b32 s30, s1
	s_cbranch_execz .LBB97_108
; %bb.107:                              ;   in Loop: Header=BB97_3 Depth=1
	v_add_co_u32 v185, vcc_lo, v103, v35
	v_add_co_ci_u32_e64 v186, null, v104, v36, vcc_lo
	v_add_co_u32 v187, vcc_lo, v105, v35
	v_add_co_ci_u32_e64 v188, null, v106, v36, vcc_lo
	global_load_ushort v19, v[185:186], off
	global_load_ushort v183, v[187:188], off
	s_waitcnt vmcnt(1)
	v_lshlrev_b32_e32 v19, 16, v19
	s_waitcnt vmcnt(0)
	v_lshlrev_b32_e32 v183, 16, v183
.LBB97_108:                             ;   in Loop: Header=BB97_3 Depth=1
	;; [unrolled: 32-line block ×8, first 2 shown]
	s_or_b32 exec_lo, exec_lo, s30
	v_mov_b32_e32 v198, 0
	v_mov_b32_e32 v199, 0
	s_and_saveexec_b32 s30, s1
	s_cbranch_execnz .LBB97_139
; %bb.133:                              ;   in Loop: Header=BB97_3 Depth=1
	s_or_b32 exec_lo, exec_lo, s30
	s_and_saveexec_b32 s30, s1
	s_cbranch_execnz .LBB97_140
.LBB97_134:                             ;   in Loop: Header=BB97_3 Depth=1
	s_or_b32 exec_lo, exec_lo, s30
	v_mov_b32_e32 v186, 0
	s_and_saveexec_b32 s30, s1
	s_cbranch_execz .LBB97_136
.LBB97_135:                             ;   in Loop: Header=BB97_3 Depth=1
	v_add_co_u32 v202, vcc_lo, v45, v35
	v_add_co_ci_u32_e64 v203, null, v46, v36, vcc_lo
	v_add_co_u32 v204, vcc_lo, v47, v35
	v_add_co_ci_u32_e64 v205, null, v48, v36, vcc_lo
	global_load_ushort v34, v[202:203], off
	global_load_ushort v186, v[204:205], off
	s_waitcnt vmcnt(1)
	v_lshlrev_b32_e32 v34, 16, v34
	s_waitcnt vmcnt(0)
	v_lshlrev_b32_e32 v186, 16, v186
.LBB97_136:                             ;   in Loop: Header=BB97_3 Depth=1
	s_or_b32 exec_lo, exec_lo, s30
	s_waitcnt vmcnt(1)
	ds_bpermute_b32 v200, v2, v37
	ds_bpermute_b32 v204, v2, v37 offset:4
	s_waitcnt vmcnt(0)
	ds_bpermute_b32 v202, v2, v38
	ds_bpermute_b32 v206, v2, v37 offset:8
	ds_bpermute_b32 v203, v2, v38 offset:4
	;; [unrolled: 1-line block ×5, first 2 shown]
	v_add_f32_e32 v201, v201, v3
	ds_bpermute_b32 v207, v2, v38 offset:12
	ds_bpermute_b32 v212, v2, v37 offset:20
	;; [unrolled: 1-line block ×11, first 2 shown]
	s_waitcnt lgkmcnt(18)
	v_sub_f32_e32 v168, v168, v200
	s_waitcnt lgkmcnt(17)
	v_sub_f32_e32 v170, v170, v204
	ds_bpermute_b32 v200, v2, v37 offset:36
	s_waitcnt lgkmcnt(16)
	v_sub_f32_e32 v169, v169, v206
	ds_bpermute_b32 v219, v2, v38 offset:36
	v_mul_f32_e32 v3, v3, v168
	v_mul_f32_e32 v170, v4, v170
	v_add_f32_e32 v4, v4, v201
	s_waitcnt lgkmcnt(15)
	v_sub_f32_e32 v172, v172, v208
	v_mul_f32_e32 v169, v5, v169
	v_fmac_f32_e32 v167, v3, v202
	ds_bpermute_b32 v204, v2, v37 offset:44
	v_add_f32_e32 v4, v5, v4
	s_waitcnt lgkmcnt(14)
	v_sub_f32_e32 v5, v171, v210
	v_mul_f32_e32 v171, v6, v172
	v_fmac_f32_e32 v167, v170, v203
	s_waitcnt lgkmcnt(8)
	v_sub_f32_e32 v172, v176, v216
	v_add_f32_e32 v4, v6, v4
	v_sub_f32_e32 v6, v174, v212
	v_mul_f32_e32 v5, v7, v5
	v_fmac_f32_e32 v167, v169, v205
	ds_bpermute_b32 v220, v2, v38 offset:40
	v_add_f32_e32 v4, v7, v4
	v_sub_f32_e32 v7, v173, v214
	v_mul_f32_e32 v6, v8, v6
	v_fmac_f32_e32 v167, v171, v207
	ds_bpermute_b32 v170, v2, v37 offset:48
	v_add_f32_e32 v4, v8, v4
	v_mul_f32_e32 v7, v9, v7
	s_waitcnt lgkmcnt(8)
	v_sub_f32_e32 v8, v175, v218
	v_fmac_f32_e32 v167, v5, v209
	v_mul_f32_e32 v172, v10, v172
	ds_bpermute_b32 v168, v2, v38 offset:44
	ds_bpermute_b32 v171, v2, v37 offset:52
	v_add_f32_e32 v4, v9, v4
	v_fmac_f32_e32 v167, v6, v211
	s_waitcnt lgkmcnt(6)
	v_sub_f32_e32 v9, v178, v200
	v_mul_f32_e32 v8, v11, v8
	ds_bpermute_b32 v3, v2, v38 offset:48
	ds_bpermute_b32 v6, v2, v37 offset:56
	v_fmac_f32_e32 v167, v7, v213
	v_add_f32_e32 v4, v10, v4
	v_mul_f32_e32 v9, v12, v9
	ds_bpermute_b32 v169, v2, v38 offset:52
	ds_bpermute_b32 v10, v2, v37 offset:60
	v_fmac_f32_e32 v167, v172, v215
	v_sub_f32_e32 v172, v177, v221
	v_add_f32_e32 v4, v11, v4
	s_waitcnt lgkmcnt(8)
	v_sub_f32_e32 v11, v180, v204
	ds_bpermute_b32 v5, v2, v38 offset:56
	v_fmac_f32_e32 v167, v8, v217
	v_mul_f32_e32 v172, v13, v172
	v_add_f32_e32 v4, v12, v4
	s_waitcnt lgkmcnt(7)
	v_sub_f32_e32 v12, v179, v170
	v_mul_f32_e32 v11, v14, v11
	v_fmac_f32_e32 v167, v9, v219
	ds_bpermute_b32 v9, v2, v37 offset:64
	ds_bpermute_b32 v7, v2, v38 offset:60
	v_add_f32_e32 v4, v13, v4
	ds_bpermute_b32 v13, v2, v37 offset:68
	v_fmac_f32_e32 v167, v172, v220
	s_waitcnt lgkmcnt(8)
	v_sub_f32_e32 v170, v182, v171
	v_mul_f32_e32 v12, v15, v12
	ds_bpermute_b32 v8, v2, v38 offset:64
	v_add_f32_e32 v4, v14, v4
	v_fmac_f32_e32 v167, v11, v168
	ds_bpermute_b32 v11, v2, v37 offset:72
	s_waitcnt lgkmcnt(8)
	v_sub_f32_e32 v6, v181, v6
	v_mul_f32_e32 v14, v16, v170
	s_waitcnt lgkmcnt(6)
	v_sub_f32_e32 v10, v184, v10
	v_fmac_f32_e32 v167, v12, v3
	ds_bpermute_b32 v3, v2, v38 offset:68
	v_mul_f32_e32 v6, v17, v6
	ds_bpermute_b32 v12, v2, v38 offset:72
	v_mul_f32_e32 v10, v18, v10
	v_fmac_f32_e32 v167, v14, v169
	ds_bpermute_b32 v14, v2, v37 offset:76
	v_add_f32_e32 v4, v15, v4
	ds_bpermute_b32 v169, v2, v38 offset:124
	s_waitcnt lgkmcnt(9)
	v_fmac_f32_e32 v167, v6, v5
	s_waitcnt lgkmcnt(8)
	v_sub_f32_e32 v5, v183, v9
	ds_bpermute_b32 v9, v2, v37 offset:80
	s_waitcnt lgkmcnt(7)
	v_sub_f32_e32 v6, v187, v13
	v_add_f32_e32 v4, v16, v4
	v_fmac_f32_e32 v167, v10, v7
	v_mul_f32_e32 v5, v19, v5
	ds_bpermute_b32 v7, v2, v38 offset:76
	s_waitcnt lgkmcnt(6)
	v_sub_f32_e32 v10, v185, v11
	ds_bpermute_b32 v11, v2, v37 offset:84
	v_mul_f32_e32 v6, v20, v6
	v_fmac_f32_e32 v167, v5, v8
	ds_bpermute_b32 v5, v2, v38 offset:80
	v_mul_f32_e32 v8, v21, v10
	ds_bpermute_b32 v10, v2, v38 offset:84
	v_add_f32_e32 v4, v17, v4
	s_waitcnt lgkmcnt(8)
	v_fmac_f32_e32 v167, v6, v3
	ds_bpermute_b32 v3, v2, v37 offset:88
	s_waitcnt lgkmcnt(7)
	v_sub_f32_e32 v6, v189, v14
	v_add_f32_e32 v4, v18, v4
	v_fmac_f32_e32 v167, v8, v12
	ds_bpermute_b32 v8, v2, v37 offset:92
	v_mul_f32_e32 v6, v22, v6
	s_waitcnt lgkmcnt(6)
	v_sub_f32_e32 v9, v188, v9
	v_add_f32_e32 v4, v19, v4
	s_waitcnt lgkmcnt(5)
	v_fmac_f32_e32 v167, v6, v7
	ds_bpermute_b32 v6, v2, v38 offset:88
	v_mul_f32_e32 v7, v23, v9
	s_waitcnt lgkmcnt(5)
	v_sub_f32_e32 v9, v191, v11
	ds_bpermute_b32 v11, v2, v37 offset:96
	v_add_f32_e32 v4, v20, v4
	s_waitcnt lgkmcnt(5)
	v_fmac_f32_e32 v167, v7, v5
	ds_bpermute_b32 v5, v2, v38 offset:92
	v_mul_f32_e32 v7, v24, v9
	s_waitcnt lgkmcnt(4)
	v_sub_f32_e32 v3, v190, v3
	ds_bpermute_b32 v9, v2, v37 offset:100
	v_add_f32_e32 v4, v21, v4
	v_fmac_f32_e32 v167, v7, v10
	ds_bpermute_b32 v7, v2, v38 offset:96
	v_mul_f32_e32 v3, v25, v3
	s_waitcnt lgkmcnt(5)
	v_sub_f32_e32 v8, v193, v8
	ds_bpermute_b32 v10, v2, v37 offset:104
	v_add_f32_e32 v4, v22, v4
	s_waitcnt lgkmcnt(5)
	v_fmac_f32_e32 v167, v3, v6
	ds_bpermute_b32 v3, v2, v38 offset:100
	v_mul_f32_e32 v6, v26, v8
	s_waitcnt lgkmcnt(5)
	v_sub_f32_e32 v8, v192, v11
	ds_bpermute_b32 v11, v2, v37 offset:108
	v_add_f32_e32 v4, v23, v4
	s_waitcnt lgkmcnt(5)
	v_fmac_f32_e32 v167, v6, v5
	v_mul_f32_e32 v5, v27, v8
	ds_bpermute_b32 v6, v2, v38 offset:104
	v_add_f32_e32 v4, v24, v4
	s_waitcnt lgkmcnt(5)
	v_sub_f32_e32 v8, v195, v9
	ds_bpermute_b32 v9, v2, v37 offset:112
	s_waitcnt lgkmcnt(5)
	v_fmac_f32_e32 v167, v5, v7
	ds_bpermute_b32 v7, v2, v38 offset:108
	v_add_f32_e32 v4, v25, v4
	v_mul_f32_e32 v5, v28, v8
	s_waitcnt lgkmcnt(5)
	v_sub_f32_e32 v8, v194, v10
	ds_bpermute_b32 v10, v2, v37 offset:116
	v_add_f32_e32 v4, v26, v4
	s_waitcnt lgkmcnt(5)
	v_fmac_f32_e32 v167, v5, v3
	v_mul_f32_e32 v3, v29, v8
	ds_bpermute_b32 v5, v2, v38 offset:112
	s_waitcnt lgkmcnt(5)
	v_sub_f32_e32 v8, v197, v11
	ds_bpermute_b32 v11, v2, v37 offset:120
	v_add_f32_e32 v4, v27, v4
	s_waitcnt lgkmcnt(5)
	v_fmac_f32_e32 v167, v3, v6
	v_mul_f32_e32 v3, v30, v8
	ds_bpermute_b32 v6, v2, v38 offset:116
	v_add_f32_e32 v4, v28, v4
	s_waitcnt lgkmcnt(5)
	v_sub_f32_e32 v8, v196, v9
	s_waitcnt lgkmcnt(4)
	v_fmac_f32_e32 v167, v3, v7
	ds_bpermute_b32 v7, v2, v38 offset:120
	v_add_f32_e32 v4, v29, v4
	v_mul_f32_e32 v3, v31, v8
	s_waitcnt lgkmcnt(4)
	v_sub_f32_e32 v8, v199, v10
	v_add_f32_e32 v4, v30, v4
	s_waitcnt lgkmcnt(3)
	v_fmac_f32_e32 v167, v3, v5
	v_mul_f32_e32 v5, v32, v8
	s_waitcnt lgkmcnt(2)
	v_sub_f32_e32 v8, v198, v11
	ds_bpermute_b32 v3, v2, v37 offset:124
	v_add_f32_e32 v4, v31, v4
	s_waitcnt lgkmcnt(2)
	v_fmac_f32_e32 v167, v5, v6
	v_mul_f32_e32 v5, v33, v8
	v_add_f32_e32 v4, v32, v4
	s_waitcnt lgkmcnt(1)
	v_fmac_f32_e32 v167, v5, v7
	v_add_f32_e32 v4, v33, v4
	v_mov_b32_e32 v203, v167
.LBB97_137:                             ;   in Loop: Header=BB97_3 Depth=1
	v_add_co_u32 v41, vcc_lo, v41, s2
	v_add_co_ci_u32_e64 v42, null, s3, v42, vcc_lo
	v_add_co_u32 v43, vcc_lo, v43, s2
	v_add_co_ci_u32_e64 v44, null, s3, v44, vcc_lo
	v_add_co_u32 v45, vcc_lo, v45, s2
	v_add_co_ci_u32_e64 v46, null, s3, v46, vcc_lo
	v_add_co_u32 v47, vcc_lo, v47, s2
	v_add_co_ci_u32_e64 v48, null, s3, v48, vcc_lo
	v_add_co_u32 v49, vcc_lo, v49, s2
	v_add_co_ci_u32_e64 v50, null, s3, v50, vcc_lo
	v_add_co_u32 v51, vcc_lo, v51, s2
	v_add_co_ci_u32_e64 v52, null, s3, v52, vcc_lo
	v_add_co_u32 v53, vcc_lo, v53, s2
	v_add_co_ci_u32_e64 v54, null, s3, v54, vcc_lo
	v_add_co_u32 v55, vcc_lo, v55, s2
	v_add_co_ci_u32_e64 v56, null, s3, v56, vcc_lo
	v_add_co_u32 v57, vcc_lo, v57, s2
	v_add_co_ci_u32_e64 v58, null, s3, v58, vcc_lo
	v_add_co_u32 v59, vcc_lo, v59, s2
	v_add_co_ci_u32_e64 v60, null, s3, v60, vcc_lo
	v_add_co_u32 v61, vcc_lo, v61, s2
	v_add_co_ci_u32_e64 v62, null, s3, v62, vcc_lo
	v_add_co_u32 v63, vcc_lo, v63, s2
	v_add_co_ci_u32_e64 v64, null, s3, v64, vcc_lo
	v_add_co_u32 v65, vcc_lo, v65, s2
	v_add_co_ci_u32_e64 v66, null, s3, v66, vcc_lo
	v_add_co_u32 v67, vcc_lo, v67, s2
	v_add_co_ci_u32_e64 v68, null, s3, v68, vcc_lo
	v_add_co_u32 v69, vcc_lo, v69, s2
	v_add_co_ci_u32_e64 v70, null, s3, v70, vcc_lo
	v_add_co_u32 v71, vcc_lo, v71, s2
	v_add_co_ci_u32_e64 v72, null, s3, v72, vcc_lo
	v_add_co_u32 v73, vcc_lo, v73, s2
	v_add_co_ci_u32_e64 v74, null, s3, v74, vcc_lo
	v_add_co_u32 v0, vcc_lo, v0, s2
	v_add_co_ci_u32_e64 v226, null, s3, v226, vcc_lo
	v_add_co_u32 v75, vcc_lo, v75, s2
	v_add_co_ci_u32_e64 v76, null, s3, v76, vcc_lo
	v_add_co_u32 v77, vcc_lo, v77, s2
	v_add_co_ci_u32_e64 v78, null, s3, v78, vcc_lo
	v_add_co_u32 v79, vcc_lo, v79, s2
	v_add_co_ci_u32_e64 v80, null, s3, v80, vcc_lo
	v_add_co_u32 v81, vcc_lo, v81, s2
	v_add_co_ci_u32_e64 v82, null, s3, v82, vcc_lo
	v_add_co_u32 v83, vcc_lo, v83, s2
	v_add_co_ci_u32_e64 v84, null, s3, v84, vcc_lo
	v_add_co_u32 v85, vcc_lo, v85, s2
	v_add_co_ci_u32_e64 v86, null, s3, v86, vcc_lo
	v_add_co_u32 v87, vcc_lo, v87, s2
	v_add_co_ci_u32_e64 v88, null, s3, v88, vcc_lo
	v_add_co_u32 v89, vcc_lo, v89, s2
	v_add_co_ci_u32_e64 v90, null, s3, v90, vcc_lo
	v_add_co_u32 v91, vcc_lo, v91, s2
	v_add_co_ci_u32_e64 v92, null, s3, v92, vcc_lo
	v_add_co_u32 v93, vcc_lo, v93, s2
	v_add_co_ci_u32_e64 v94, null, s3, v94, vcc_lo
	v_add_co_u32 v95, vcc_lo, v95, s2
	v_add_co_ci_u32_e64 v96, null, s3, v96, vcc_lo
	v_add_co_u32 v97, vcc_lo, v97, s2
	v_add_co_ci_u32_e64 v98, null, s3, v98, vcc_lo
	v_add_co_u32 v99, vcc_lo, v99, s2
	v_add_co_ci_u32_e64 v100, null, s3, v100, vcc_lo
	v_add_co_u32 v101, vcc_lo, v101, s2
	v_add_co_ci_u32_e64 v102, null, s3, v102, vcc_lo
	v_add_co_u32 v103, vcc_lo, v103, s2
	v_add_co_ci_u32_e64 v104, null, s3, v104, vcc_lo
	v_add_co_u32 v105, vcc_lo, v105, s2
	v_add_co_ci_u32_e64 v106, null, s3, v106, vcc_lo
	v_add_co_u32 v107, vcc_lo, v107, s2
	v_add_co_ci_u32_e64 v108, null, s3, v108, vcc_lo
	v_add_co_u32 v109, vcc_lo, v109, s2
	v_add_co_ci_u32_e64 v110, null, s3, v110, vcc_lo
	v_add_co_u32 v111, vcc_lo, v111, s2
	v_add_co_ci_u32_e64 v112, null, s3, v112, vcc_lo
	v_add_co_u32 v113, vcc_lo, v113, s2
	v_add_co_ci_u32_e64 v114, null, s3, v114, vcc_lo
	v_add_co_u32 v115, vcc_lo, v115, s2
	v_add_co_ci_u32_e64 v116, null, s3, v116, vcc_lo
	v_add_co_u32 v117, vcc_lo, v117, s2
	v_add_co_ci_u32_e64 v118, null, s3, v118, vcc_lo
	v_add_co_u32 v119, vcc_lo, v119, s2
	v_add_co_ci_u32_e64 v120, null, s3, v120, vcc_lo
	v_add_co_u32 v121, vcc_lo, v121, s2
	v_add_co_ci_u32_e64 v122, null, s3, v122, vcc_lo
	v_add_co_u32 v123, vcc_lo, v123, s2
	v_add_co_ci_u32_e64 v124, null, s3, v124, vcc_lo
	v_add_co_u32 v125, vcc_lo, v125, s2
	v_add_co_ci_u32_e64 v126, null, s3, v126, vcc_lo
	v_add_co_u32 v127, vcc_lo, v127, s2
	v_add_co_ci_u32_e64 v128, null, s3, v128, vcc_lo
	v_add_co_u32 v129, vcc_lo, v129, s2
	v_add_co_ci_u32_e64 v130, null, s3, v130, vcc_lo
	v_add_co_u32 v131, vcc_lo, v131, s2
	v_add_co_ci_u32_e64 v132, null, s3, v132, vcc_lo
	v_add_co_u32 v133, vcc_lo, v133, s2
	v_add_co_ci_u32_e64 v134, null, s3, v134, vcc_lo
	v_add_co_u32 v135, vcc_lo, v135, s2
	v_add_co_ci_u32_e64 v136, null, s3, v136, vcc_lo
	v_add_co_u32 v137, vcc_lo, v137, s2
	v_add_co_ci_u32_e64 v138, null, s3, v138, vcc_lo
	v_add_co_u32 v139, vcc_lo, v139, s2
	v_add_co_ci_u32_e64 v140, null, s3, v140, vcc_lo
	v_add_co_u32 v141, vcc_lo, v141, s2
	v_add_co_ci_u32_e64 v142, null, s3, v142, vcc_lo
	v_add_co_u32 v143, vcc_lo, v143, s2
	v_add_co_ci_u32_e64 v144, null, s3, v144, vcc_lo
	v_add_co_u32 v145, vcc_lo, v145, s2
	v_add_co_ci_u32_e64 v146, null, s3, v146, vcc_lo
	v_add_co_u32 v147, vcc_lo, v147, s2
	v_add_co_ci_u32_e64 v148, null, s3, v148, vcc_lo
	v_add_co_u32 v149, vcc_lo, v149, s2
	v_add_co_ci_u32_e64 v150, null, s3, v150, vcc_lo
	v_add_co_u32 v151, vcc_lo, v151, s2
	v_add_co_ci_u32_e64 v152, null, s3, v152, vcc_lo
	v_add_co_u32 v153, vcc_lo, v153, s2
	v_add_co_ci_u32_e64 v154, null, s3, v154, vcc_lo
	v_add_co_u32 v155, vcc_lo, v155, s2
	v_add_co_ci_u32_e64 v156, null, s3, v156, vcc_lo
	v_add_co_u32 v157, vcc_lo, v157, s2
	s_waitcnt lgkmcnt(0)
	v_sub_f32_e32 v3, v186, v3
	v_add_co_ci_u32_e64 v158, null, s3, v158, vcc_lo
	v_add_co_u32 v159, vcc_lo, v159, s2
	v_add_co_ci_u32_e64 v160, null, s3, v160, vcc_lo
	v_add_co_u32 v161, vcc_lo, v161, s2
	s_add_u32 s26, s26, s29
	v_add_co_ci_u32_e64 v162, null, s3, v162, vcc_lo
	v_add_co_u32 v163, vcc_lo, v163, s2
	v_mul_f32_e32 v3, v34, v3
	s_addc_u32 s27, s27, 0
	v_add_co_ci_u32_e64 v164, null, s3, v164, vcc_lo
	v_add_co_u32 v165, vcc_lo, v165, s2
	v_cmp_lt_i64_e64 s30, s[26:27], s[8:9]
	v_add_co_ci_u32_e64 v166, null, s3, v166, vcc_lo
	v_add_co_u32 v39, vcc_lo, v39, s29
	v_add_f32_e32 v201, v4, v34
	v_fmac_f32_e32 v203, v3, v169
	v_add_co_ci_u32_e64 v40, null, 0, v40, vcc_lo
	s_add_u32 s24, s24, s29
	s_addc_u32 s25, 0, s25
	s_and_b32 vcc_lo, exec_lo, s30
	s_cbranch_vccz .LBB97_142
; %bb.138:                              ;   in Loop: Header=BB97_3 Depth=1
	v_mov_b32_e32 v167, v203
	s_branch .LBB97_3
.LBB97_139:                             ;   in Loop: Header=BB97_3 Depth=1
	v_add_co_u32 v199, vcc_lo, v53, v35
	v_add_co_ci_u32_e64 v200, null, v54, v36, vcc_lo
	v_add_co_u32 v202, vcc_lo, v55, v35
	v_add_co_ci_u32_e64 v203, null, v56, v36, vcc_lo
	global_load_ushort v32, v[199:200], off
	global_load_ushort v186, v[202:203], off
	s_waitcnt vmcnt(1)
	v_lshlrev_b32_e32 v32, 16, v32
	s_waitcnt vmcnt(0)
	v_lshlrev_b32_e32 v199, 16, v186
	s_or_b32 exec_lo, exec_lo, s30
	s_and_saveexec_b32 s30, s1
	s_cbranch_execz .LBB97_134
.LBB97_140:                             ;   in Loop: Header=BB97_3 Depth=1
	v_add_co_u32 v202, vcc_lo, v49, v35
	v_add_co_ci_u32_e64 v203, null, v50, v36, vcc_lo
	v_add_co_u32 v204, vcc_lo, v51, v35
	v_add_co_ci_u32_e64 v205, null, v52, v36, vcc_lo
	global_load_ushort v33, v[202:203], off
	global_load_ushort v186, v[204:205], off
	s_waitcnt vmcnt(1)
	v_lshlrev_b32_e32 v33, 16, v33
	s_waitcnt vmcnt(0)
	v_lshlrev_b32_e32 v198, 16, v186
	s_or_b32 exec_lo, exec_lo, s30
	v_mov_b32_e32 v186, 0
	s_and_saveexec_b32 s30, s1
	s_cbranch_execnz .LBB97_135
	s_branch .LBB97_136
.LBB97_141:
                                        ; implicit-def: $vgpr203
                                        ; implicit-def: $vgpr201
	s_branch .LBB97_143
.LBB97_142:
	s_cbranch_execnz .LBB97_220
.LBB97_143:
	v_mov_b32_e32 v203, 0
	v_mov_b32_e32 v201, 0
	s_andn2_b32 vcc_lo, exec_lo, s28
	s_cbranch_vccnz .LBB97_220
; %bb.144:
	v_mov_b32_e32 v0, v1
	v_lshlrev_b32_e32 v225, 5, v1
	s_add_u32 s2, s4, 64
	s_addc_u32 s3, s5, 0
	s_lshl_b64 s[22:23], s[20:21], 1
	buffer_store_dword v0, off, s[36:39], 0 offset:292 ; 4-byte Folded Spill
	buffer_store_dword v1, off, s[36:39], 0 offset:296 ; 4-byte Folded Spill
	v_add_co_u32 v0, s1, v225, s20
	v_mov_b32_e32 v223, 0
	v_mov_b32_e32 v204, 0
	v_mul_lo_u32 v6, s11, v0
	v_lshlrev_b32_e32 v2, 6, v1
	v_add_co_ci_u32_e64 v1, null, 0, 0, s1
	v_add_co_u32 v4, s1, v2, s22
	v_add_co_ci_u32_e64 v5, null, 0, s23, s1
	v_mul_lo_u32 v7, s10, v1
	v_add_co_u32 v8, vcc_lo, v4, 2
	v_add_co_ci_u32_e64 v9, null, 0, v5, vcc_lo
	v_mad_u64_u32 v[2:3], null, s10, v0, 0
	v_add_co_u32 v10, vcc_lo, v4, 4
	v_add_co_ci_u32_e64 v12, null, 0, v5, vcc_lo
	v_add_co_u32 v13, vcc_lo, v4, 6
	v_add_co_ci_u32_e64 v14, null, 0, v5, vcc_lo
	;; [unrolled: 2-line block ×4, first 2 shown]
	v_add3_u32 v3, v3, v7, v6
	v_add_co_u32 v6, vcc_lo, v4, 12
	v_mad_u64_u32 v[35:36], null, s10, v8, s[12:13]
	v_mul_lo_u32 v9, s10, v9
	v_mul_lo_u32 v11, s11, v8
	v_mad_u64_u32 v[49:50], null, s10, v8, s[14:15]
	v_add_co_ci_u32_e64 v7, null, 0, v5, vcc_lo
	v_add_co_u32 v23, vcc_lo, v4, 14
	v_mad_u64_u32 v[37:38], null, s10, v10, s[12:13]
	v_mul_lo_u32 v12, s10, v12
	v_mul_lo_u32 v15, s11, v10
	v_mad_u64_u32 v[53:54], null, s10, v10, s[14:15]
	v_add_co_ci_u32_e64 v24, null, 0, v5, vcc_lo
	v_add_co_u32 v26, vcc_lo, v4, 16
	v_add_co_ci_u32_e64 v27, null, 0, v5, vcc_lo
	v_mad_u64_u32 v[45:46], null, s10, v6, s[12:13]
	v_mul_lo_u32 v7, s10, v7
	v_mul_lo_u32 v25, s11, v6
	v_mad_u64_u32 v[63:64], null, s10, v6, s[14:15]
	v_add3_u32 v36, v11, v36, v9
	v_mad_u64_u32 v[47:48], null, s10, v23, s[12:13]
	v_mul_lo_u32 v24, s10, v24
	v_mul_lo_u32 v8, s11, v23
	v_add3_u32 v50, v11, v50, v9
	v_add_co_u32 v9, vcc_lo, v4, 18
	v_mad_u64_u32 v[65:66], null, s10, v23, s[14:15]
	v_add3_u32 v38, v15, v38, v12
	v_mad_u64_u32 v[51:52], null, s10, v26, s[12:13]
	v_add_co_ci_u32_e64 v10, null, 0, v5, vcc_lo
	v_mul_lo_u32 v11, s10, v27
	v_add3_u32 v54, v15, v54, v12
	v_mul_lo_u32 v12, s11, v26
	v_mad_u64_u32 v[67:68], null, s10, v26, s[14:15]
	v_add3_u32 v46, v25, v46, v7
	v_add3_u32 v64, v25, v64, v7
	v_add_co_u32 v7, vcc_lo, v4, 20
	v_mad_u64_u32 v[59:60], null, s10, v9, s[12:13]
	v_mul_lo_u32 v10, s10, v10
	v_mul_lo_u32 v6, s11, v9
	v_mad_u64_u32 v[69:70], null, s10, v9, s[14:15]
	v_add3_u32 v48, v8, v48, v24
	v_add3_u32 v66, v8, v66, v24
	v_add_co_ci_u32_e64 v8, null, 0, v5, vcc_lo
	v_add_co_u32 v9, vcc_lo, v4, 22
	v_add3_u32 v52, v12, v52, v11
	v_add3_u32 v68, v12, v68, v11
	v_add_co_ci_u32_e64 v11, null, 0, v5, vcc_lo
	v_mad_u64_u32 v[71:72], null, s10, v7, s[12:13]
	v_mul_lo_u32 v8, s10, v8
	v_mul_lo_u32 v12, s11, v7
	v_mad_u64_u32 v[73:74], null, s10, v7, s[14:15]
	v_add3_u32 v60, v6, v60, v10
	v_add3_u32 v70, v6, v70, v10
	v_mul_lo_u32 v6, s10, v11
	v_mul_lo_u32 v7, s11, v9
	v_mad_u64_u32 v[75:76], null, s10, v9, s[12:13]
	v_mad_u64_u32 v[77:78], null, s10, v9, s[14:15]
	v_add_co_u32 v9, vcc_lo, v4, 24
	v_add_co_ci_u32_e64 v10, null, 0, v5, vcc_lo
	v_add3_u32 v72, v12, v72, v8
	v_add3_u32 v74, v12, v74, v8
	v_add_co_u32 v8, vcc_lo, v4, 26
	v_add3_u32 v76, v7, v76, v6
	v_add3_u32 v78, v7, v78, v6
	v_mul_lo_u32 v6, s10, v10
	v_add_co_ci_u32_e64 v10, null, 0, v5, vcc_lo
	v_mul_lo_u32 v7, s11, v9
	v_mad_u64_u32 v[79:80], null, s10, v9, s[12:13]
	v_mad_u64_u32 v[81:82], null, s10, v9, s[14:15]
	v_mul_lo_u32 v9, s10, v10
	v_mul_lo_u32 v10, s11, v8
	v_mad_u64_u32 v[83:84], null, s10, v8, s[12:13]
	v_mad_u64_u32 v[85:86], null, s10, v8, s[14:15]
	v_add_co_u32 v8, vcc_lo, v4, 28
	v_add_co_ci_u32_e64 v11, null, 0, v5, vcc_lo
	v_add3_u32 v84, v10, v84, v9
	v_add3_u32 v80, v7, v80, v6
	;; [unrolled: 1-line block ×3, first 2 shown]
	v_add_co_u32 v9, vcc_lo, v4, 30
	v_add_co_ci_u32_e64 v10, null, 0, v5, vcc_lo
	v_add3_u32 v82, v7, v82, v6
	v_mul_lo_u32 v6, s10, v11
	v_mul_lo_u32 v7, s11, v8
	v_mad_u64_u32 v[87:88], null, s10, v8, s[12:13]
	v_mad_u64_u32 v[89:90], null, s10, v8, s[14:15]
	v_mul_lo_u32 v8, s10, v10
	v_mul_lo_u32 v10, s11, v9
	v_mad_u64_u32 v[91:92], null, s10, v9, s[12:13]
	v_mad_u64_u32 v[93:94], null, s10, v9, s[14:15]
	v_add_co_u32 v9, vcc_lo, v4, 32
	v_add_co_ci_u32_e64 v11, null, 0, v5, vcc_lo
	v_add3_u32 v88, v7, v88, v6
	v_add3_u32 v90, v7, v90, v6
	v_mul_lo_u32 v7, s11, v9
	v_mul_lo_u32 v6, s10, v11
	v_mad_u64_u32 v[95:96], null, s10, v9, s[12:13]
	v_mad_u64_u32 v[97:98], null, s10, v9, s[14:15]
	v_add3_u32 v92, v10, v92, v8
	v_add3_u32 v94, v10, v94, v8
	v_mad_u64_u32 v[39:40], null, s10, v13, s[12:13]
	v_add3_u32 v96, v7, v96, v6
	v_mul_lo_u32 v17, s11, v13
	v_add3_u32 v98, v7, v98, v6
	v_add_co_u32 v6, vcc_lo, v4, 34
	v_add_co_ci_u32_e64 v7, null, 0, v5, vcc_lo
	v_mad_u64_u32 v[55:56], null, s10, v13, s[14:15]
	v_mul_lo_u32 v8, s11, v6
	v_mul_lo_u32 v7, s10, v7
	v_mad_u64_u32 v[99:100], null, s10, v6, s[12:13]
	v_mad_u64_u32 v[101:102], null, s10, v6, s[14:15]
	v_add_co_u32 v6, vcc_lo, v4, 36
	v_mul_lo_u32 v14, s10, v14
	v_mad_u64_u32 v[41:42], null, s10, v16, s[12:13]
	v_add3_u32 v100, v8, v100, v7
	v_add3_u32 v102, v8, v102, v7
	v_add_co_ci_u32_e64 v7, null, 0, v5, vcc_lo
	v_mul_lo_u32 v8, s11, v6
	v_mad_u64_u32 v[103:104], null, s10, v6, s[12:13]
	v_mul_lo_u32 v7, s10, v7
	v_mad_u64_u32 v[105:106], null, s10, v6, s[14:15]
	v_add_co_u32 v6, vcc_lo, v4, 38
	v_add3_u32 v40, v17, v40, v14
	v_add3_u32 v56, v17, v56, v14
	v_mul_lo_u32 v21, s11, v16
	v_add3_u32 v104, v8, v104, v7
	v_add3_u32 v106, v8, v106, v7
	v_add_co_ci_u32_e64 v7, null, 0, v5, vcc_lo
	v_mul_lo_u32 v8, s11, v6
	v_mad_u64_u32 v[107:108], null, s10, v6, s[12:13]
	v_mul_lo_u32 v7, s10, v7
	v_mad_u64_u32 v[109:110], null, s10, v6, s[14:15]
	v_add_co_u32 v6, vcc_lo, v4, 40
	v_mad_u64_u32 v[57:58], null, s10, v16, s[14:15]
	v_mul_lo_u32 v18, s10, v18
	v_add3_u32 v108, v8, v108, v7
	v_add3_u32 v110, v8, v110, v7
	v_add_co_ci_u32_e64 v7, null, 0, v5, vcc_lo
	v_mul_lo_u32 v8, s11, v6
	v_mad_u64_u32 v[111:112], null, s10, v6, s[12:13]
	v_mul_lo_u32 v7, s10, v7
	v_mad_u64_u32 v[113:114], null, s10, v6, s[14:15]
	v_add_co_u32 v6, vcc_lo, v4, 42
	v_mad_u64_u32 v[43:44], null, s10, v19, s[12:13]
	v_mul_lo_u32 v22, s11, v19
	v_add3_u32 v112, v8, v112, v7
	v_add3_u32 v114, v8, v114, v7
	v_add_co_ci_u32_e64 v7, null, 0, v5, vcc_lo
	v_mul_lo_u32 v8, s11, v6
	v_mad_u64_u32 v[115:116], null, s10, v6, s[12:13]
	v_mul_lo_u32 v7, s10, v7
	v_mad_u64_u32 v[117:118], null, s10, v6, s[14:15]
	v_add_co_u32 v6, vcc_lo, v4, 44
	v_add3_u32 v42, v21, v42, v18
	v_mad_u64_u32 v[61:62], null, s10, v19, s[14:15]
	v_add3_u32 v116, v8, v116, v7
	v_add3_u32 v118, v8, v118, v7
	v_add_co_ci_u32_e64 v7, null, 0, v5, vcc_lo
	v_mul_lo_u32 v8, s11, v6
	v_mad_u64_u32 v[119:120], null, s10, v6, s[12:13]
	v_mul_lo_u32 v7, s10, v7
	v_mad_u64_u32 v[121:122], null, s10, v6, s[14:15]
	v_add_co_u32 v6, vcc_lo, v4, 46
	v_add3_u32 v58, v21, v58, v18
	v_mul_lo_u32 v20, s10, v20
	s_load_dword s1, s[4:5], 0x44
	v_add3_u32 v120, v8, v120, v7
	v_add3_u32 v122, v8, v122, v7
	v_add_co_ci_u32_e64 v7, null, 0, v5, vcc_lo
	v_mul_lo_u32 v8, s11, v6
	v_mad_u64_u32 v[123:124], null, s10, v6, s[12:13]
	v_mul_lo_u32 v7, s10, v7
	v_mad_u64_u32 v[125:126], null, s10, v6, s[14:15]
	v_add_co_u32 v6, vcc_lo, v4, 48
	v_add3_u32 v44, v22, v44, v20
	v_add3_u32 v62, v22, v62, v20
	s_mov_b64 s[22:23], s[20:21]
	v_add3_u32 v124, v8, v124, v7
	v_add3_u32 v126, v8, v126, v7
	v_add_co_ci_u32_e64 v7, null, 0, v5, vcc_lo
	v_mul_lo_u32 v8, s11, v6
	v_mad_u64_u32 v[127:128], null, s10, v6, s[12:13]
	v_mul_lo_u32 v7, s10, v7
	v_mad_u64_u32 v[129:130], null, s10, v6, s[14:15]
	v_add_co_u32 v6, vcc_lo, v4, 50
	s_waitcnt lgkmcnt(0)
	s_lshl_b32 s1, s1, 5
	v_add3_u32 v128, v8, v128, v7
	v_add3_u32 v130, v8, v130, v7
	v_add_co_ci_u32_e64 v7, null, 0, v5, vcc_lo
	v_mul_lo_u32 v8, s11, v6
	v_mad_u64_u32 v[131:132], null, s10, v6, s[12:13]
	v_mul_lo_u32 v7, s10, v7
	v_mad_u64_u32 v[133:134], null, s10, v6, s[14:15]
	v_add_co_u32 v6, vcc_lo, v4, 52
	v_add3_u32 v132, v8, v132, v7
	v_add3_u32 v134, v8, v134, v7
	v_add_co_ci_u32_e64 v7, null, 0, v5, vcc_lo
	v_mul_lo_u32 v8, s11, v6
	v_mad_u64_u32 v[135:136], null, s10, v6, s[12:13]
	v_mul_lo_u32 v7, s10, v7
	v_mad_u64_u32 v[137:138], null, s10, v6, s[14:15]
	v_add_co_u32 v6, vcc_lo, v4, 54
	;; [unrolled: 8-line block ×5, first 2 shown]
	v_add3_u32 v148, v8, v148, v7
	v_add3_u32 v150, v8, v150, v7
	v_add_co_ci_u32_e64 v7, null, 0, v5, vcc_lo
	v_add_co_u32 v4, vcc_lo, v4, 62
	v_add_co_ci_u32_e64 v5, null, 0, v5, vcc_lo
	v_mul_lo_u32 v8, s11, v6
	v_mad_u64_u32 v[151:152], null, s10, v6, s[12:13]
	v_mad_u64_u32 v[153:154], null, s10, v6, s[14:15]
	v_mul_lo_u32 v5, s10, v5
	v_mul_lo_u32 v6, s11, v4
	v_mad_u64_u32 v[155:156], null, s10, v4, s[12:13]
	v_mad_u64_u32 v[157:158], null, s10, v4, s[14:15]
	v_mul_lo_u32 v7, s10, v7
	v_add_co_u32 v4, vcc_lo, v0, 31
	v_add3_u32 v156, v6, v156, v5
	v_add3_u32 v158, v6, v158, v5
	v_add_co_ci_u32_e64 v5, null, 0, v1, vcc_lo
	v_add3_u32 v152, v8, v152, v7
	v_add3_u32 v154, v8, v154, v7
	v_mul_lo_u32 v7, s11, v4
	v_mul_lo_u32 v6, s10, v5
	v_mad_u64_u32 v[4:5], null, s10, v4, 0
	v_add3_u32 v5, v5, v6, v7
	v_add_co_u32 v6, vcc_lo, v0, 30
	v_add_co_ci_u32_e64 v7, null, 0, v1, vcc_lo
	v_mul_lo_u32 v9, s11, v6
	v_mul_lo_u32 v8, s10, v7
	v_mad_u64_u32 v[6:7], null, s10, v6, 0
	v_add3_u32 v7, v7, v8, v9
	v_add_co_u32 v8, vcc_lo, v0, 29
	v_add_co_ci_u32_e64 v9, null, 0, v1, vcc_lo
	v_mul_lo_u32 v11, s11, v8
	v_mul_lo_u32 v10, s10, v9
	v_mad_u64_u32 v[8:9], null, s10, v8, 0
	v_add3_u32 v9, v9, v10, v11
	v_add_co_u32 v10, vcc_lo, v0, 28
	v_add_co_ci_u32_e64 v11, null, 0, v1, vcc_lo
	v_mul_lo_u32 v13, s11, v10
	v_mul_lo_u32 v12, s10, v11
	v_mad_u64_u32 v[10:11], null, s10, v10, 0
	v_add3_u32 v11, v11, v12, v13
	v_add_co_u32 v12, vcc_lo, v0, 27
	v_add_co_ci_u32_e64 v13, null, 0, v1, vcc_lo
	v_mul_lo_u32 v15, s11, v12
	v_mul_lo_u32 v14, s10, v13
	v_mad_u64_u32 v[12:13], null, s10, v12, 0
	v_add3_u32 v13, v13, v14, v15
	v_add_co_u32 v14, vcc_lo, v0, 26
	v_add_co_ci_u32_e64 v15, null, 0, v1, vcc_lo
	v_mul_lo_u32 v17, s11, v14
	v_mul_lo_u32 v16, s10, v15
	v_mad_u64_u32 v[14:15], null, s10, v14, 0
	v_add3_u32 v15, v15, v16, v17
	v_add_co_u32 v16, vcc_lo, v0, 25
	v_add_co_ci_u32_e64 v17, null, 0, v1, vcc_lo
	v_mul_lo_u32 v19, s11, v16
	v_mul_lo_u32 v18, s10, v17
	v_mad_u64_u32 v[16:17], null, s10, v16, 0
	v_add3_u32 v17, v17, v18, v19
	v_add_co_u32 v18, vcc_lo, v0, 24
	v_add_co_ci_u32_e64 v19, null, 0, v1, vcc_lo
	v_mul_lo_u32 v21, s11, v18
	v_mul_lo_u32 v20, s10, v19
	v_mad_u64_u32 v[18:19], null, s10, v18, 0
	v_add3_u32 v19, v19, v20, v21
	v_add_co_u32 v20, vcc_lo, v0, 23
	v_add_co_ci_u32_e64 v21, null, 0, v1, vcc_lo
	v_mul_lo_u32 v23, s11, v20
	v_mul_lo_u32 v22, s10, v21
	v_mad_u64_u32 v[20:21], null, s10, v20, 0
	v_add3_u32 v21, v21, v22, v23
	v_add_co_u32 v22, vcc_lo, v0, 22
	v_add_co_ci_u32_e64 v23, null, 0, v1, vcc_lo
	v_mul_lo_u32 v25, s11, v22
	v_mul_lo_u32 v24, s10, v23
	v_mad_u64_u32 v[22:23], null, s10, v22, 0
	v_add3_u32 v23, v23, v24, v25
	v_add_co_u32 v24, vcc_lo, v0, 21
	v_add_co_ci_u32_e64 v25, null, 0, v1, vcc_lo
	v_mul_lo_u32 v27, s11, v24
	v_mul_lo_u32 v26, s10, v25
	v_mad_u64_u32 v[24:25], null, s10, v24, 0
	v_add3_u32 v25, v25, v26, v27
	v_add_co_u32 v26, vcc_lo, v0, 20
	v_add_co_ci_u32_e64 v27, null, 0, v1, vcc_lo
	v_mul_lo_u32 v29, s11, v26
	v_mul_lo_u32 v28, s10, v27
	v_mad_u64_u32 v[26:27], null, s10, v26, 0
	v_add3_u32 v27, v27, v28, v29
	v_add_co_u32 v28, vcc_lo, v0, 19
	v_add_co_ci_u32_e64 v29, null, 0, v1, vcc_lo
	v_mul_lo_u32 v31, s11, v28
	v_mul_lo_u32 v30, s10, v29
	v_mad_u64_u32 v[28:29], null, s10, v28, 0
	v_add3_u32 v29, v29, v30, v31
	v_add_co_u32 v30, vcc_lo, v0, 18
	v_add_co_ci_u32_e64 v31, null, 0, v1, vcc_lo
	v_mul_lo_u32 v33, s11, v30
	v_mul_lo_u32 v32, s10, v31
	v_mad_u64_u32 v[30:31], null, s10, v30, 0
	v_add3_u32 v31, v31, v32, v33
	v_add_co_u32 v32, vcc_lo, v0, 17
	v_add_co_ci_u32_e64 v33, null, 0, v1, vcc_lo
	v_mul_lo_u32 v159, s11, v32
	v_mul_lo_u32 v34, s10, v33
	v_mad_u64_u32 v[32:33], null, s10, v32, 0
	v_add3_u32 v33, v33, v34, v159
	v_add_co_u32 v34, vcc_lo, v0, 16
	v_add_co_ci_u32_e64 v159, null, 0, v1, vcc_lo
	v_mul_lo_u32 v162, s11, v34
	v_mul_lo_u32 v161, s10, v159
	v_mad_u64_u32 v[159:160], null, s10, v34, 0
	v_add_co_u32 v34, vcc_lo, v0, 15
	v_mul_lo_u32 v164, s11, v34
	v_add3_u32 v160, v160, v161, v162
	v_add_co_ci_u32_e64 v161, null, 0, v1, vcc_lo
	v_mul_lo_u32 v163, s10, v161
	v_mad_u64_u32 v[161:162], null, s10, v34, 0
	v_add_co_u32 v34, vcc_lo, v0, 14
	v_mad_u64_u32 v[168:169], null, s10, v34, 0
	v_add3_u32 v162, v162, v163, v164
	v_add_co_ci_u32_e64 v163, null, 0, v1, vcc_lo
	v_mul_lo_u32 v164, s11, v34
	v_add_co_u32 v34, vcc_lo, v0, 13
	v_mul_lo_u32 v163, s10, v163
	v_mad_u64_u32 v[170:171], null, s10, v34, 0
	v_add3_u32 v169, v169, v163, v164
	v_add_co_ci_u32_e64 v163, null, 0, v1, vcc_lo
	v_mul_lo_u32 v164, s11, v34
	v_add_co_u32 v34, vcc_lo, v0, 12
	v_mul_lo_u32 v163, s10, v163
	;; [unrolled: 6-line block ×11, first 2 shown]
	v_mad_u64_u32 v[190:191], null, s10, v34, 0
	v_add3_u32 v189, v189, v163, v164
	v_add_co_ci_u32_e64 v163, null, 0, v1, vcc_lo
	v_add_co_u32 v0, vcc_lo, v0, 2
	v_add_co_ci_u32_e64 v1, null, 0, v1, vcc_lo
	v_mul_lo_u32 v164, s11, v34
	v_mul_lo_u32 v34, s11, v0
	v_mad_u64_u32 v[193:194], null, s10, v0, 0
	v_mul_lo_u32 v1, s10, v1
	v_mul_lo_u32 v163, s10, v163
	v_add_co_u32 v197, vcc_lo, v2, s10
	v_add_co_ci_u32_e64 v198, null, s11, v3, vcc_lo
	v_add3_u32 v194, v194, v1, v34
	v_lshlrev_b64 v[0:1], 1, v[2:3]
	v_add3_u32 v191, v191, v163, v164
	v_add_co_u32 v164, vcc_lo, s12, v0
	v_add_co_ci_u32_e64 v165, null, s13, v1, vcc_lo
	v_add_co_u32 v166, vcc_lo, s14, v0
	v_add_co_ci_u32_e64 v167, null, s15, v1, vcc_lo
	v_lshlrev_b64 v[0:1], 1, v[4:5]
	v_mov_b32_e32 v4, v227
	v_add_co_u32 v2, vcc_lo, s12, v0
	buffer_store_dword v4, off, s[36:39], 0 offset:300 ; 4-byte Folded Spill
	buffer_store_dword v2, off, s[36:39], 0 ; 4-byte Folded Spill
	v_add_co_ci_u32_e64 v2, null, s13, v1, vcc_lo
	v_add_co_u32 v0, vcc_lo, s14, v0
	buffer_store_dword v2, off, s[36:39], 0 offset:4 ; 4-byte Folded Spill
	buffer_store_dword v0, off, s[36:39], 0 offset:8 ; 4-byte Folded Spill
	v_add_co_ci_u32_e64 v0, null, s15, v1, vcc_lo
	buffer_store_dword v0, off, s[36:39], 0 offset:12 ; 4-byte Folded Spill
	v_lshlrev_b64 v[0:1], 1, v[6:7]
	v_add_co_u32 v2, vcc_lo, s12, v0
	buffer_store_dword v2, off, s[36:39], 0 offset:16 ; 4-byte Folded Spill
	v_add_co_ci_u32_e64 v2, null, s13, v1, vcc_lo
	v_add_co_u32 v0, vcc_lo, s14, v0
	buffer_store_dword v2, off, s[36:39], 0 offset:20 ; 4-byte Folded Spill
	buffer_store_dword v0, off, s[36:39], 0 offset:24 ; 4-byte Folded Spill
	v_add_co_ci_u32_e64 v0, null, s15, v1, vcc_lo
	buffer_store_dword v0, off, s[36:39], 0 offset:28 ; 4-byte Folded Spill
	v_lshlrev_b64 v[0:1], 1, v[8:9]
	v_add_co_u32 v2, vcc_lo, s12, v0
	buffer_store_dword v2, off, s[36:39], 0 offset:32 ; 4-byte Folded Spill
	;; [unrolled: 9-line block ×14, first 2 shown]
	v_add_co_ci_u32_e64 v2, null, s13, v1, vcc_lo
	v_add_co_u32 v226, vcc_lo, s14, v0
	v_add_co_ci_u32_e64 v227, null, s15, v1, vcc_lo
	v_lshlrev_b64 v[0:1], 1, v[159:160]
	buffer_store_dword v2, off, s[36:39], 0 offset:228 ; 4-byte Folded Spill
	v_add_co_u32 v228, vcc_lo, s12, v0
	v_add_co_ci_u32_e64 v229, null, s13, v1, vcc_lo
	v_add_co_u32 v230, vcc_lo, s14, v0
	v_add_co_ci_u32_e64 v231, null, s15, v1, vcc_lo
	v_lshlrev_b64 v[0:1], 1, v[161:162]
	v_add_co_u32 v232, vcc_lo, s12, v0
	v_add_co_ci_u32_e64 v233, null, s13, v1, vcc_lo
	v_add_co_u32 v234, vcc_lo, s14, v0
	v_add_co_ci_u32_e64 v235, null, s15, v1, vcc_lo
	v_lshlrev_b64 v[0:1], 1, v[168:169]
	;; [unrolled: 5-line block ×15, first 2 shown]
	v_add_co_u32 v197, vcc_lo, s12, v2
	v_add_co_ci_u32_e64 v198, null, s13, v3, vcc_lo
	v_add_co_u32 v199, vcc_lo, s14, v2
	v_mov_b32_e32 v2, 0
	v_add_co_ci_u32_e64 v200, null, s15, v3, vcc_lo
	v_add_nc_u32_e32 v3, s7, v4
	s_mul_i32 s7, s11, s1
	v_mov_b32_e32 v4, v2
	s_mul_hi_u32 s12, s10, s1
	v_mov_b32_e32 v202, v2
	s_add_i32 s13, s12, s7
	s_mul_i32 s12, s10, s1
	v_lshlrev_b64 v[159:160], 1, v[3:4]
	s_lshl_b64 s[12:13], s[12:13], 1
	s_mov_b64 s[14:15], 31
.LBB97_145:                             ; =>This Inner Loop Header: Depth=1
	s_add_u32 s24, s20, s14
	s_addc_u32 s25, 0, s15
	v_add_co_u32 v161, vcc_lo, s20, v225
	v_cmp_ge_i64_e64 s7, s[24:25], s[8:9]
	v_add_co_ci_u32_e64 v162, null, 0, v202, vcc_lo
                                        ; implicit-def: $vgpr201
                                        ; implicit-def: $vgpr203
	s_and_b32 vcc_lo, exec_lo, s7
	s_mov_b32 s7, -1
	s_cbranch_vccz .LBB97_213
; %bb.146:                              ;   in Loop: Header=BB97_145 Depth=1
	s_load_dword s7, s[2:3], 0xc
	s_clause 0x2
	buffer_load_dword v3, off, s[36:39], 0 offset:292
	buffer_load_dword v4, off, s[36:39], 0 offset:296
	;; [unrolled: 1-line block ×3, first 2 shown]
	v_mov_b32_e32 v5, 0
	v_mov_b32_e32 v201, 0
	;; [unrolled: 1-line block ×3, first 2 shown]
	buffer_store_dword v5, off, s[36:39], 0 offset:232 ; 4-byte Folded Spill
	s_waitcnt lgkmcnt(0)
	s_and_b32 s7, s7, 0xffff
	s_waitcnt vmcnt(0)
	v_mad_u32_u24 v3, v3, s7, v4
	s_mov_b32 s7, exec_lo
	v_and_b32_e32 v3, 31, v3
	v_add_co_u32 v3, vcc_lo, v161, v3
	v_add_co_ci_u32_e64 v4, null, 0, v162, vcc_lo
	v_cmpx_gt_i64_e64 s[8:9], v[3:4]
	s_cbranch_execz .LBB97_148
; %bb.147:                              ;   in Loop: Header=BB97_145 Depth=1
	v_lshlrev_b64 v[3:4], 2, v[3:4]
	v_add_co_u32 v5, vcc_lo, s16, v3
	v_add_co_ci_u32_e64 v6, null, s17, v4, vcc_lo
	v_add_co_u32 v3, vcc_lo, s18, v3
	v_add_co_ci_u32_e64 v4, null, s19, v4, vcc_lo
	global_load_dword v205, v[5:6], off
	global_load_dword v201, v[3:4], off
.LBB97_148:                             ;   in Loop: Header=BB97_145 Depth=1
	s_or_b32 exec_lo, exec_lo, s7
	v_mov_b32_e32 v33, v2
	v_mov_b32_e32 v3, v2
	;; [unrolled: 1-line block ×63, first 2 shown]
	s_mov_b32 s7, exec_lo
	v_cmpx_gt_i64_e64 s[8:9], v[161:162]
	s_cbranch_execz .LBB97_150
; %bb.149:                              ;   in Loop: Header=BB97_145 Depth=1
	v_add_co_u32 v3, vcc_lo, v164, v159
	v_add_co_ci_u32_e64 v4, null, v165, v160, vcc_lo
	v_add_co_u32 v5, vcc_lo, v166, v159
	v_add_co_ci_u32_e64 v6, null, v167, v160, vcc_lo
	global_load_ushort v3, v[3:4], off
	global_load_ushort v203, v[5:6], off
	v_mov_b32_e32 v4, v2
	v_mov_b32_e32 v5, v2
	;; [unrolled: 1-line block ×31, first 2 shown]
	s_waitcnt vmcnt(1)
	v_lshlrev_b32_e32 v3, 16, v3
	s_waitcnt vmcnt(0)
	v_lshlrev_b32_e32 v203, 16, v203
	buffer_store_dword v203, off, s[36:39], 0 offset:232 ; 4-byte Folded Spill
.LBB97_150:                             ;   in Loop: Header=BB97_145 Depth=1
	s_or_b32 exec_lo, exec_lo, s7
	v_mov_b32_e32 v203, 0
	v_add_co_u32 v206, vcc_lo, v161, 1
	v_add_co_ci_u32_e64 v207, null, 0, v162, vcc_lo
	buffer_store_dword v203, off, s[36:39], 0 offset:236 ; 4-byte Folded Spill
	v_mov_b32_e32 v203, 0
	s_mov_b32 s7, exec_lo
	buffer_store_dword v203, off, s[36:39], 0 offset:240 ; 4-byte Folded Spill
	v_cmpx_gt_i64_e64 s[8:9], v[206:207]
	s_cbranch_execz .LBB97_152
; %bb.151:                              ;   in Loop: Header=BB97_145 Depth=1
	v_add_co_u32 v206, vcc_lo, v197, v159
	v_add_co_ci_u32_e64 v207, null, v198, v160, vcc_lo
	v_add_co_u32 v208, vcc_lo, v199, v159
	v_add_co_ci_u32_e64 v209, null, v200, v160, vcc_lo
	global_load_ushort v4, v[206:207], off
	global_load_ushort v203, v[208:209], off
	s_waitcnt vmcnt(1)
	v_lshlrev_b32_e32 v4, 16, v4
	s_waitcnt vmcnt(0)
	v_lshlrev_b32_e32 v203, 16, v203
	buffer_store_dword v203, off, s[36:39], 0 offset:240 ; 4-byte Folded Spill
.LBB97_152:                             ;   in Loop: Header=BB97_145 Depth=1
	s_or_b32 exec_lo, exec_lo, s7
	v_add_co_u32 v206, vcc_lo, v161, 2
	v_add_co_ci_u32_e64 v207, null, 0, v162, vcc_lo
	s_mov_b32 s7, exec_lo
	v_cmpx_gt_i64_e64 s[8:9], v[206:207]
	s_cbranch_execz .LBB97_154
; %bb.153:                              ;   in Loop: Header=BB97_145 Depth=1
	v_add_co_u32 v206, vcc_lo, v193, v159
	v_add_co_ci_u32_e64 v207, null, v194, v160, vcc_lo
	v_add_co_u32 v208, vcc_lo, v195, v159
	v_add_co_ci_u32_e64 v209, null, v196, v160, vcc_lo
	global_load_ushort v5, v[206:207], off
	global_load_ushort v206, v[208:209], off
	s_waitcnt vmcnt(1)
	v_lshlrev_b32_e32 v5, 16, v5
	s_waitcnt vmcnt(0)
	v_lshlrev_b32_e32 v203, 16, v206
	buffer_store_dword v203, off, s[36:39], 0 offset:236 ; 4-byte Folded Spill
.LBB97_154:                             ;   in Loop: Header=BB97_145 Depth=1
	s_or_b32 exec_lo, exec_lo, s7
	v_mov_b32_e32 v203, 0
	v_add_co_u32 v206, vcc_lo, v161, 3
	v_add_co_ci_u32_e64 v207, null, 0, v162, vcc_lo
	buffer_store_dword v203, off, s[36:39], 0 offset:244 ; 4-byte Folded Spill
	v_mov_b32_e32 v203, 0
	s_mov_b32 s7, exec_lo
	buffer_store_dword v203, off, s[36:39], 0 offset:248 ; 4-byte Folded Spill
	v_cmpx_gt_i64_e64 s[8:9], v[206:207]
	s_cbranch_execz .LBB97_156
; %bb.155:                              ;   in Loop: Header=BB97_145 Depth=1
	v_add_co_u32 v206, vcc_lo, v189, v159
	v_add_co_ci_u32_e64 v207, null, v190, v160, vcc_lo
	v_add_co_u32 v208, vcc_lo, v191, v159
	v_add_co_ci_u32_e64 v209, null, v192, v160, vcc_lo
	global_load_ushort v6, v[206:207], off
	global_load_ushort v206, v[208:209], off
	s_waitcnt vmcnt(1)
	v_lshlrev_b32_e32 v6, 16, v6
	s_waitcnt vmcnt(0)
	v_lshlrev_b32_e32 v203, 16, v206
	buffer_store_dword v203, off, s[36:39], 0 offset:248 ; 4-byte Folded Spill
.LBB97_156:                             ;   in Loop: Header=BB97_145 Depth=1
	s_or_b32 exec_lo, exec_lo, s7
	v_add_co_u32 v206, vcc_lo, v161, 4
	v_add_co_ci_u32_e64 v207, null, 0, v162, vcc_lo
	s_mov_b32 s7, exec_lo
	v_cmpx_gt_i64_e64 s[8:9], v[206:207]
	s_cbranch_execz .LBB97_158
; %bb.157:                              ;   in Loop: Header=BB97_145 Depth=1
	v_add_co_u32 v206, vcc_lo, v185, v159
	v_add_co_ci_u32_e64 v207, null, v186, v160, vcc_lo
	v_add_co_u32 v208, vcc_lo, v187, v159
	v_add_co_ci_u32_e64 v209, null, v188, v160, vcc_lo
	global_load_ushort v7, v[206:207], off
	global_load_ushort v206, v[208:209], off
	s_waitcnt vmcnt(1)
	v_lshlrev_b32_e32 v7, 16, v7
	s_waitcnt vmcnt(0)
	v_lshlrev_b32_e32 v203, 16, v206
	buffer_store_dword v203, off, s[36:39], 0 offset:244 ; 4-byte Folded Spill
.LBB97_158:                             ;   in Loop: Header=BB97_145 Depth=1
	;; [unrolled: 42-line block ×7, first 2 shown]
	s_or_b32 exec_lo, exec_lo, s7
	v_add_co_u32 v206, vcc_lo, v161, 15
	v_add_co_ci_u32_e64 v207, null, 0, v162, vcc_lo
	v_mov_b32_e32 v208, 0
	v_cmp_gt_i64_e32 vcc_lo, s[8:9], v[206:207]
	v_mov_b32_e32 v207, 0
	s_and_saveexec_b32 s7, vcc_lo
	s_cbranch_execz .LBB97_180
; %bb.179:                              ;   in Loop: Header=BB97_145 Depth=1
	v_add_co_u32 v208, vcc_lo, v232, v159
	v_add_co_ci_u32_e64 v209, null, v233, v160, vcc_lo
	v_add_co_u32 v210, vcc_lo, v234, v159
	v_add_co_ci_u32_e64 v211, null, v235, v160, vcc_lo
	global_load_ushort v18, v[208:209], off
	global_load_ushort v206, v[210:211], off
	s_waitcnt vmcnt(1)
	v_lshlrev_b32_e32 v18, 16, v18
	s_waitcnt vmcnt(0)
	v_lshlrev_b32_e32 v208, 16, v206
.LBB97_180:                             ;   in Loop: Header=BB97_145 Depth=1
	s_or_b32 exec_lo, exec_lo, s7
	v_add_co_u32 v209, vcc_lo, v161, 16
	v_add_co_ci_u32_e64 v210, null, 0, v162, vcc_lo
	s_mov_b32 s7, exec_lo
	v_cmpx_gt_i64_e64 s[8:9], v[209:210]
	s_cbranch_execz .LBB97_182
; %bb.181:                              ;   in Loop: Header=BB97_145 Depth=1
	v_add_co_u32 v206, vcc_lo, v228, v159
	v_add_co_ci_u32_e64 v207, null, v229, v160, vcc_lo
	v_add_co_u32 v209, vcc_lo, v230, v159
	v_add_co_ci_u32_e64 v210, null, v231, v160, vcc_lo
	global_load_ushort v19, v[206:207], off
	global_load_ushort v206, v[209:210], off
	s_waitcnt vmcnt(1)
	v_lshlrev_b32_e32 v19, 16, v19
	s_waitcnt vmcnt(0)
	v_lshlrev_b32_e32 v207, 16, v206
.LBB97_182:                             ;   in Loop: Header=BB97_145 Depth=1
	s_or_b32 exec_lo, exec_lo, s7
	v_add_co_u32 v209, vcc_lo, v161, 17
	v_add_co_ci_u32_e64 v210, null, 0, v162, vcc_lo
	v_cmp_gt_i64_e32 vcc_lo, s[8:9], v[209:210]
	v_mov_b32_e32 v209, 0
	v_mov_b32_e32 v210, 0
	s_and_saveexec_b32 s7, vcc_lo
	s_cbranch_execz .LBB97_184
; %bb.183:                              ;   in Loop: Header=BB97_145 Depth=1
	buffer_load_dword v20, off, s[36:39], 0 offset:224 ; 4-byte Folded Reload
	s_waitcnt vmcnt(0)
	v_add_co_u32 v210, vcc_lo, v20, v159
	buffer_load_dword v20, off, s[36:39], 0 offset:228 ; 4-byte Folded Reload
	s_waitcnt vmcnt(0)
	v_add_co_ci_u32_e64 v211, null, v20, v160, vcc_lo
	v_add_co_u32 v212, vcc_lo, v226, v159
	v_add_co_ci_u32_e64 v213, null, v227, v160, vcc_lo
	global_load_ushort v20, v[210:211], off
	global_load_ushort v206, v[212:213], off
	s_waitcnt vmcnt(1)
	v_lshlrev_b32_e32 v20, 16, v20
	s_waitcnt vmcnt(0)
	v_lshlrev_b32_e32 v210, 16, v206
.LBB97_184:                             ;   in Loop: Header=BB97_145 Depth=1
	s_or_b32 exec_lo, exec_lo, s7
	v_add_co_u32 v211, vcc_lo, v161, 18
	v_add_co_ci_u32_e64 v212, null, 0, v162, vcc_lo
	s_mov_b32 s7, exec_lo
	v_cmpx_gt_i64_e64 s[8:9], v[211:212]
	s_cbranch_execz .LBB97_186
; %bb.185:                              ;   in Loop: Header=BB97_145 Depth=1
	buffer_load_dword v21, off, s[36:39], 0 offset:208 ; 4-byte Folded Reload
	s_waitcnt vmcnt(0)
	v_add_co_u32 v211, vcc_lo, v21, v159
	buffer_load_dword v21, off, s[36:39], 0 offset:212 ; 4-byte Folded Reload
	s_waitcnt vmcnt(0)
	v_add_co_ci_u32_e64 v212, null, v21, v160, vcc_lo
	buffer_load_dword v21, off, s[36:39], 0 offset:216 ; 4-byte Folded Reload
	s_waitcnt vmcnt(0)
	v_add_co_u32 v213, vcc_lo, v21, v159
	buffer_load_dword v21, off, s[36:39], 0 offset:220 ; 4-byte Folded Reload
	s_waitcnt vmcnt(0)
	v_add_co_ci_u32_e64 v214, null, v21, v160, vcc_lo
	global_load_ushort v21, v[211:212], off
	global_load_ushort v206, v[213:214], off
	s_waitcnt vmcnt(1)
	v_lshlrev_b32_e32 v21, 16, v21
	s_waitcnt vmcnt(0)
	v_lshlrev_b32_e32 v209, 16, v206
.LBB97_186:                             ;   in Loop: Header=BB97_145 Depth=1
	s_or_b32 exec_lo, exec_lo, s7
	v_add_co_u32 v211, vcc_lo, v161, 19
	v_add_co_ci_u32_e64 v212, null, 0, v162, vcc_lo
	v_mov_b32_e32 v206, 0
	v_cmp_gt_i64_e32 vcc_lo, s[8:9], v[211:212]
	v_mov_b32_e32 v211, 0
	s_and_saveexec_b32 s7, vcc_lo
	s_cbranch_execz .LBB97_188
; %bb.187:                              ;   in Loop: Header=BB97_145 Depth=1
	buffer_load_dword v22, off, s[36:39], 0 offset:192 ; 4-byte Folded Reload
	s_waitcnt vmcnt(0)
	v_add_co_u32 v211, vcc_lo, v22, v159
	buffer_load_dword v22, off, s[36:39], 0 offset:196 ; 4-byte Folded Reload
	s_waitcnt vmcnt(0)
	v_add_co_ci_u32_e64 v212, null, v22, v160, vcc_lo
	buffer_load_dword v22, off, s[36:39], 0 offset:200 ; 4-byte Folded Reload
	s_waitcnt vmcnt(0)
	v_add_co_u32 v213, vcc_lo, v22, v159
	buffer_load_dword v22, off, s[36:39], 0 offset:204 ; 4-byte Folded Reload
	s_waitcnt vmcnt(0)
	v_add_co_ci_u32_e64 v214, null, v22, v160, vcc_lo
	global_load_ushort v22, v[211:212], off
	global_load_ushort v211, v[213:214], off
	s_waitcnt vmcnt(1)
	v_lshlrev_b32_e32 v22, 16, v22
	s_waitcnt vmcnt(0)
	v_lshlrev_b32_e32 v211, 16, v211
.LBB97_188:                             ;   in Loop: Header=BB97_145 Depth=1
	s_or_b32 exec_lo, exec_lo, s7
	v_add_co_u32 v212, vcc_lo, v161, 20
	v_add_co_ci_u32_e64 v213, null, 0, v162, vcc_lo
	s_mov_b32 s7, exec_lo
	v_cmpx_gt_i64_e64 s[8:9], v[212:213]
	s_cbranch_execz .LBB97_190
; %bb.189:                              ;   in Loop: Header=BB97_145 Depth=1
	buffer_load_dword v23, off, s[36:39], 0 offset:176 ; 4-byte Folded Reload
	s_waitcnt vmcnt(0)
	v_add_co_u32 v212, vcc_lo, v23, v159
	buffer_load_dword v23, off, s[36:39], 0 offset:180 ; 4-byte Folded Reload
	s_waitcnt vmcnt(0)
	v_add_co_ci_u32_e64 v213, null, v23, v160, vcc_lo
	buffer_load_dword v23, off, s[36:39], 0 offset:184 ; 4-byte Folded Reload
	s_waitcnt vmcnt(0)
	v_add_co_u32 v214, vcc_lo, v23, v159
	buffer_load_dword v23, off, s[36:39], 0 offset:188 ; 4-byte Folded Reload
	s_waitcnt vmcnt(0)
	v_add_co_ci_u32_e64 v215, null, v23, v160, vcc_lo
	global_load_ushort v23, v[212:213], off
	global_load_ushort v206, v[214:215], off
	s_waitcnt vmcnt(1)
	v_lshlrev_b32_e32 v23, 16, v23
	s_waitcnt vmcnt(0)
	v_lshlrev_b32_e32 v206, 16, v206
.LBB97_190:                             ;   in Loop: Header=BB97_145 Depth=1
	s_or_b32 exec_lo, exec_lo, s7
	v_add_co_u32 v212, vcc_lo, v161, 21
	v_add_co_ci_u32_e64 v213, null, 0, v162, vcc_lo
	v_mov_b32_e32 v215, 0
	v_cmp_gt_i64_e32 vcc_lo, s[8:9], v[212:213]
	v_mov_b32_e32 v213, 0
	s_and_saveexec_b32 s7, vcc_lo
	s_cbranch_execz .LBB97_192
; %bb.191:                              ;   in Loop: Header=BB97_145 Depth=1
	buffer_load_dword v24, off, s[36:39], 0 offset:160 ; 4-byte Folded Reload
	s_waitcnt vmcnt(0)
	v_add_co_u32 v214, vcc_lo, v24, v159
	buffer_load_dword v24, off, s[36:39], 0 offset:164 ; 4-byte Folded Reload
	s_waitcnt vmcnt(0)
	v_add_co_ci_u32_e64 v215, null, v24, v160, vcc_lo
	buffer_load_dword v24, off, s[36:39], 0 offset:168 ; 4-byte Folded Reload
	s_waitcnt vmcnt(0)
	v_add_co_u32 v216, vcc_lo, v24, v159
	buffer_load_dword v24, off, s[36:39], 0 offset:172 ; 4-byte Folded Reload
	s_waitcnt vmcnt(0)
	v_add_co_ci_u32_e64 v217, null, v24, v160, vcc_lo
	global_load_ushort v24, v[214:215], off
	global_load_ushort v212, v[216:217], off
	s_waitcnt vmcnt(1)
	v_lshlrev_b32_e32 v24, 16, v24
	s_waitcnt vmcnt(0)
	v_lshlrev_b32_e32 v215, 16, v212
.LBB97_192:                             ;   in Loop: Header=BB97_145 Depth=1
	;; [unrolled: 54-line block ×3, first 2 shown]
	s_or_b32 exec_lo, exec_lo, s7
	v_add_co_u32 v219, vcc_lo, v161, 24
	v_add_co_ci_u32_e64 v220, null, 0, v162, vcc_lo
	s_mov_b32 s7, exec_lo
	v_cmpx_gt_i64_e64 s[8:9], v[219:220]
	s_cbranch_execz .LBB97_198
; %bb.197:                              ;   in Loop: Header=BB97_145 Depth=1
	buffer_load_dword v27, off, s[36:39], 0 offset:112 ; 4-byte Folded Reload
	s_waitcnt vmcnt(0)
	v_add_co_u32 v216, vcc_lo, v27, v159
	buffer_load_dword v27, off, s[36:39], 0 offset:116 ; 4-byte Folded Reload
	s_waitcnt vmcnt(0)
	v_add_co_ci_u32_e64 v217, null, v27, v160, vcc_lo
	buffer_load_dword v27, off, s[36:39], 0 offset:120 ; 4-byte Folded Reload
	s_waitcnt vmcnt(0)
	v_add_co_u32 v219, vcc_lo, v27, v159
	buffer_load_dword v27, off, s[36:39], 0 offset:124 ; 4-byte Folded Reload
	s_waitcnt vmcnt(0)
	v_add_co_ci_u32_e64 v220, null, v27, v160, vcc_lo
	global_load_ushort v27, v[216:217], off
	global_load_ushort v212, v[219:220], off
	s_waitcnt vmcnt(1)
	v_lshlrev_b32_e32 v27, 16, v27
	s_waitcnt vmcnt(0)
	v_lshlrev_b32_e32 v216, 16, v212
.LBB97_198:                             ;   in Loop: Header=BB97_145 Depth=1
	s_or_b32 exec_lo, exec_lo, s7
	v_add_co_u32 v219, vcc_lo, v161, 25
	v_add_co_ci_u32_e64 v220, null, 0, v162, vcc_lo
	v_mov_b32_e32 v221, 0
	v_cmp_gt_i64_e32 vcc_lo, s[8:9], v[219:220]
	v_mov_b32_e32 v220, 0
	s_mov_b32 s7, exec_lo
	s_and_b32 s21, s7, vcc_lo
	buffer_store_dword v223, off, s[36:39], 0 offset:304 ; 4-byte Folded Spill
	s_mov_b32 exec_lo, s21
	s_cbranch_execz .LBB97_200
; %bb.199:                              ;   in Loop: Header=BB97_145 Depth=1
	buffer_load_dword v28, off, s[36:39], 0 offset:96 ; 4-byte Folded Reload
	s_waitcnt vmcnt(0)
	v_add_co_u32 v221, vcc_lo, v28, v159
	buffer_load_dword v28, off, s[36:39], 0 offset:100 ; 4-byte Folded Reload
	s_waitcnt vmcnt(0)
	v_add_co_ci_u32_e64 v222, null, v28, v160, vcc_lo
	buffer_load_dword v28, off, s[36:39], 0 offset:104 ; 4-byte Folded Reload
	s_waitcnt vmcnt(0)
	v_add_co_u32 v223, vcc_lo, v28, v159
	buffer_load_dword v28, off, s[36:39], 0 offset:108 ; 4-byte Folded Reload
	s_waitcnt vmcnt(0)
	v_add_co_ci_u32_e64 v224, null, v28, v160, vcc_lo
	global_load_ushort v28, v[221:222], off
	global_load_ushort v212, v[223:224], off
	s_waitcnt vmcnt(1)
	v_lshlrev_b32_e32 v28, 16, v28
	s_waitcnt vmcnt(0)
	v_lshlrev_b32_e32 v221, 16, v212
.LBB97_200:                             ;   in Loop: Header=BB97_145 Depth=1
	s_or_b32 exec_lo, exec_lo, s7
	v_add_co_u32 v222, vcc_lo, v161, 26
	v_add_co_ci_u32_e64 v223, null, 0, v162, vcc_lo
	s_mov_b32 s7, exec_lo
	v_cmpx_gt_i64_e64 s[8:9], v[222:223]
	s_cbranch_execz .LBB97_202
; %bb.201:                              ;   in Loop: Header=BB97_145 Depth=1
	buffer_load_dword v29, off, s[36:39], 0 offset:80 ; 4-byte Folded Reload
	s_waitcnt vmcnt(0)
	v_add_co_u32 v219, vcc_lo, v29, v159
	buffer_load_dword v29, off, s[36:39], 0 offset:84 ; 4-byte Folded Reload
	s_waitcnt vmcnt(0)
	v_add_co_ci_u32_e64 v220, null, v29, v160, vcc_lo
	buffer_load_dword v29, off, s[36:39], 0 offset:88 ; 4-byte Folded Reload
	s_waitcnt vmcnt(0)
	v_add_co_u32 v222, vcc_lo, v29, v159
	buffer_load_dword v29, off, s[36:39], 0 offset:92 ; 4-byte Folded Reload
	s_waitcnt vmcnt(0)
	v_add_co_ci_u32_e64 v223, null, v29, v160, vcc_lo
	global_load_ushort v29, v[219:220], off
	global_load_ushort v212, v[222:223], off
	s_waitcnt vmcnt(1)
	v_lshlrev_b32_e32 v29, 16, v29
	s_waitcnt vmcnt(0)
	v_lshlrev_b32_e32 v220, 16, v212
.LBB97_202:                             ;   in Loop: Header=BB97_145 Depth=1
	s_or_b32 exec_lo, exec_lo, s7
	v_add_co_u32 v222, vcc_lo, v161, 27
	v_add_co_ci_u32_e64 v223, null, 0, v162, vcc_lo
	v_mov_b32_e32 v212, 0
	v_mov_b32_e32 v214, 0
	v_cmp_gt_i64_e32 vcc_lo, s[8:9], v[222:223]
	s_mov_b32 s7, exec_lo
	v_mov_b32_e32 v203, v225
	s_and_b32 s21, s7, vcc_lo
	s_mov_b32 exec_lo, s21
	s_cbranch_execz .LBB97_204
; %bb.203:                              ;   in Loop: Header=BB97_145 Depth=1
	buffer_load_dword v30, off, s[36:39], 0 offset:64 ; 4-byte Folded Reload
	s_waitcnt vmcnt(0)
	v_add_co_u32 v222, vcc_lo, v30, v159
	buffer_load_dword v30, off, s[36:39], 0 offset:68 ; 4-byte Folded Reload
	s_waitcnt vmcnt(0)
	v_add_co_ci_u32_e64 v223, null, v30, v160, vcc_lo
	buffer_load_dword v30, off, s[36:39], 0 offset:72 ; 4-byte Folded Reload
	s_waitcnt vmcnt(0)
	v_add_co_u32 v224, vcc_lo, v30, v159
	buffer_load_dword v30, off, s[36:39], 0 offset:76 ; 4-byte Folded Reload
	s_waitcnt vmcnt(0)
	v_add_co_ci_u32_e64 v225, null, v30, v160, vcc_lo
	global_load_ushort v30, v[222:223], off
	global_load_ushort v214, v[224:225], off
	v_mov_b32_e32 v225, v203
	s_waitcnt vmcnt(1)
	v_lshlrev_b32_e32 v30, 16, v30
	s_waitcnt vmcnt(0)
	v_lshlrev_b32_e32 v214, 16, v214
.LBB97_204:                             ;   in Loop: Header=BB97_145 Depth=1
	s_or_b32 exec_lo, exec_lo, s7
	v_add_co_u32 v222, vcc_lo, v161, 28
	v_add_co_ci_u32_e64 v223, null, 0, v162, vcc_lo
	s_mov_b32 s7, exec_lo
	v_cmpx_gt_i64_e64 s[8:9], v[222:223]
	s_cbranch_execz .LBB97_206
; %bb.205:                              ;   in Loop: Header=BB97_145 Depth=1
	buffer_load_dword v31, off, s[36:39], 0 offset:48 ; 4-byte Folded Reload
	s_waitcnt vmcnt(0)
	v_add_co_u32 v222, vcc_lo, v31, v159
	buffer_load_dword v31, off, s[36:39], 0 offset:52 ; 4-byte Folded Reload
	s_waitcnt vmcnt(0)
	v_add_co_ci_u32_e64 v223, null, v31, v160, vcc_lo
	buffer_load_dword v31, off, s[36:39], 0 offset:56 ; 4-byte Folded Reload
	s_waitcnt vmcnt(0)
	v_add_co_u32 v224, vcc_lo, v31, v159
	buffer_load_dword v31, off, s[36:39], 0 offset:60 ; 4-byte Folded Reload
	s_waitcnt vmcnt(0)
	v_add_co_ci_u32_e64 v225, null, v31, v160, vcc_lo
	global_load_ushort v31, v[222:223], off
	global_load_ushort v212, v[224:225], off
	v_mov_b32_e32 v225, v203
	s_waitcnt vmcnt(1)
	v_lshlrev_b32_e32 v31, 16, v31
	s_waitcnt vmcnt(0)
	v_lshlrev_b32_e32 v212, 16, v212
.LBB97_206:                             ;   in Loop: Header=BB97_145 Depth=1
	s_or_b32 exec_lo, exec_lo, s7
	v_add_co_u32 v222, vcc_lo, v161, 29
	v_add_co_ci_u32_e64 v223, null, 0, v162, vcc_lo
	v_mov_b32_e32 v217, 0
	v_mov_b32_e32 v219, 0
	s_mov_b32 s7, exec_lo
	v_cmpx_gt_i64_e64 s[8:9], v[222:223]
	s_cbranch_execz .LBB97_208
; %bb.207:                              ;   in Loop: Header=BB97_145 Depth=1
	buffer_load_dword v32, off, s[36:39], 0 offset:32 ; 4-byte Folded Reload
	s_waitcnt vmcnt(0)
	v_add_co_u32 v222, vcc_lo, v32, v159
	buffer_load_dword v32, off, s[36:39], 0 offset:36 ; 4-byte Folded Reload
	s_waitcnt vmcnt(0)
	v_add_co_ci_u32_e64 v223, null, v32, v160, vcc_lo
	buffer_load_dword v32, off, s[36:39], 0 offset:40 ; 4-byte Folded Reload
	s_waitcnt vmcnt(0)
	v_add_co_u32 v224, vcc_lo, v32, v159
	buffer_load_dword v32, off, s[36:39], 0 offset:44 ; 4-byte Folded Reload
	s_waitcnt vmcnt(0)
	v_add_co_ci_u32_e64 v225, null, v32, v160, vcc_lo
	global_load_ushort v32, v[222:223], off
	global_load_ushort v219, v[224:225], off
	v_mov_b32_e32 v225, v203
	s_waitcnt vmcnt(1)
	v_lshlrev_b32_e32 v32, 16, v32
	s_waitcnt vmcnt(0)
	v_lshlrev_b32_e32 v219, 16, v219
.LBB97_208:                             ;   in Loop: Header=BB97_145 Depth=1
	s_or_b32 exec_lo, exec_lo, s7
	v_add_co_u32 v222, vcc_lo, v161, 30
	v_add_co_ci_u32_e64 v223, null, 0, v162, vcc_lo
	s_mov_b32 s7, exec_lo
	v_cmpx_gt_i64_e64 s[8:9], v[222:223]
	s_cbranch_execz .LBB97_210
; %bb.209:                              ;   in Loop: Header=BB97_145 Depth=1
	buffer_load_dword v33, off, s[36:39], 0 offset:16 ; 4-byte Folded Reload
	s_waitcnt vmcnt(0)
	v_add_co_u32 v222, vcc_lo, v33, v159
	buffer_load_dword v33, off, s[36:39], 0 offset:20 ; 4-byte Folded Reload
	s_waitcnt vmcnt(0)
	v_add_co_ci_u32_e64 v223, null, v33, v160, vcc_lo
	buffer_load_dword v33, off, s[36:39], 0 offset:24 ; 4-byte Folded Reload
	s_waitcnt vmcnt(0)
	v_add_co_u32 v224, vcc_lo, v33, v159
	buffer_load_dword v33, off, s[36:39], 0 offset:28 ; 4-byte Folded Reload
	s_waitcnt vmcnt(0)
	v_add_co_ci_u32_e64 v225, null, v33, v160, vcc_lo
	global_load_ushort v33, v[222:223], off
	global_load_ushort v217, v[224:225], off
	v_mov_b32_e32 v225, v203
	s_waitcnt vmcnt(1)
	v_lshlrev_b32_e32 v33, 16, v33
	s_waitcnt vmcnt(0)
	v_lshlrev_b32_e32 v217, 16, v217
.LBB97_210:                             ;   in Loop: Header=BB97_145 Depth=1
	s_or_b32 exec_lo, exec_lo, s7
	v_add_co_u32 v222, vcc_lo, v161, 31
	v_add_co_ci_u32_e64 v223, null, 0, v162, vcc_lo
	v_cmp_gt_i64_e32 vcc_lo, s[8:9], v[222:223]
	v_mov_b32_e32 v222, 0
	s_and_saveexec_b32 s7, vcc_lo
	s_cbranch_execz .LBB97_212
; %bb.211:                              ;   in Loop: Header=BB97_145 Depth=1
	buffer_load_dword v34, off, s[36:39], 0 ; 4-byte Folded Reload
	s_waitcnt vmcnt(0)
	v_add_co_u32 v222, vcc_lo, v34, v159
	buffer_load_dword v34, off, s[36:39], 0 offset:4 ; 4-byte Folded Reload
	s_waitcnt vmcnt(0)
	v_add_co_ci_u32_e64 v223, null, v34, v160, vcc_lo
	buffer_load_dword v34, off, s[36:39], 0 offset:8 ; 4-byte Folded Reload
	s_waitcnt vmcnt(0)
	v_add_co_u32 v224, vcc_lo, v34, v159
	buffer_load_dword v34, off, s[36:39], 0 offset:12 ; 4-byte Folded Reload
	s_waitcnt vmcnt(0)
	v_add_co_ci_u32_e64 v225, null, v34, v160, vcc_lo
	global_load_ushort v34, v[222:223], off
	global_load_ushort v222, v[224:225], off
	v_mov_b32_e32 v225, v203
	s_waitcnt vmcnt(1)
	v_lshlrev_b32_e32 v34, 16, v34
	s_waitcnt vmcnt(0)
	v_lshlrev_b32_e32 v222, 16, v222
.LBB97_212:                             ;   in Loop: Header=BB97_145 Depth=1
	s_or_b32 exec_lo, exec_lo, s7
	buffer_load_dword v203, off, s[36:39], 0 offset:232 ; 4-byte Folded Reload
	s_waitcnt vmcnt(2)
	ds_bpermute_b32 v223, v2, v205
	ds_bpermute_b32 v224, v2, v205 offset:4
	s_mov_b32 s7, 0
	s_waitcnt vmcnt(0) lgkmcnt(1)
	v_sub_f32_e32 v223, v203, v223
	buffer_load_dword v203, off, s[36:39], 0 offset:240 ; 4-byte Folded Reload
	s_waitcnt vmcnt(0) lgkmcnt(0)
	v_sub_f32_e32 v224, v203, v224
	v_mul_f32_e32 v203, v3, v223
	ds_bpermute_b32 v223, v2, v201
	s_waitcnt lgkmcnt(0)
	v_fma_f32 v203, v203, v223, v204
	v_mul_f32_e32 v223, v4, v224
	ds_bpermute_b32 v224, v2, v201 offset:4
	s_waitcnt lgkmcnt(0)
	v_fmac_f32_e32 v203, v223, v224
	buffer_load_dword v224, off, s[36:39], 0 offset:236 ; 4-byte Folded Reload
	ds_bpermute_b32 v223, v2, v205 offset:8
	s_waitcnt vmcnt(0) lgkmcnt(0)
	v_sub_f32_e32 v223, v224, v223
	ds_bpermute_b32 v224, v2, v201 offset:8
	v_mul_f32_e32 v223, v5, v223
	s_waitcnt lgkmcnt(0)
	v_fmac_f32_e32 v203, v223, v224
	buffer_load_dword v224, off, s[36:39], 0 offset:248 ; 4-byte Folded Reload
	ds_bpermute_b32 v223, v2, v205 offset:12
	s_waitcnt vmcnt(0) lgkmcnt(0)
	v_sub_f32_e32 v223, v224, v223
	ds_bpermute_b32 v224, v2, v201 offset:12
	v_mul_f32_e32 v223, v6, v223
	;; [unrolled: 8-line block ×13, first 2 shown]
	s_waitcnt lgkmcnt(0)
	v_fmac_f32_e32 v203, v223, v224
	ds_bpermute_b32 v223, v2, v205 offset:60
	s_waitcnt lgkmcnt(0)
	v_sub_f32_e32 v208, v208, v223
	ds_bpermute_b32 v223, v2, v201 offset:60
	v_mul_f32_e32 v208, v18, v208
	s_waitcnt lgkmcnt(0)
	v_fmac_f32_e32 v203, v208, v223
	buffer_load_dword v223, off, s[36:39], 0 offset:304 ; 4-byte Folded Reload
	ds_bpermute_b32 v208, v2, v205 offset:64
	s_waitcnt lgkmcnt(0)
	v_sub_f32_e32 v207, v207, v208
	ds_bpermute_b32 v208, v2, v201 offset:64
	v_mul_f32_e32 v207, v19, v207
	s_waitcnt lgkmcnt(0)
	v_fmac_f32_e32 v203, v207, v208
	ds_bpermute_b32 v207, v2, v205 offset:68
	ds_bpermute_b32 v208, v2, v201 offset:68
	s_waitcnt lgkmcnt(1)
	v_sub_f32_e32 v207, v210, v207
	v_mul_f32_e32 v207, v20, v207
	s_waitcnt lgkmcnt(0)
	v_fmac_f32_e32 v203, v207, v208
	ds_bpermute_b32 v207, v2, v205 offset:72
	ds_bpermute_b32 v208, v2, v201 offset:72
	s_waitcnt lgkmcnt(1)
	v_sub_f32_e32 v207, v209, v207
	;; [unrolled: 7-line block ×3, first 2 shown]
	v_mul_f32_e32 v207, v22, v207
	s_waitcnt lgkmcnt(0)
	v_fmac_f32_e32 v203, v207, v208
	ds_bpermute_b32 v207, v2, v205 offset:80
	s_waitcnt lgkmcnt(0)
	v_sub_f32_e32 v206, v206, v207
	ds_bpermute_b32 v207, v2, v201 offset:80
	v_mul_f32_e32 v206, v23, v206
	s_waitcnt lgkmcnt(0)
	v_fmac_f32_e32 v203, v206, v207
	ds_bpermute_b32 v206, v2, v205 offset:84
	ds_bpermute_b32 v207, v2, v201 offset:84
	s_waitcnt lgkmcnt(1)
	v_sub_f32_e32 v206, v215, v206
	v_mul_f32_e32 v206, v24, v206
	s_waitcnt lgkmcnt(0)
	v_fmac_f32_e32 v203, v206, v207
	ds_bpermute_b32 v206, v2, v205 offset:88
	ds_bpermute_b32 v207, v2, v201 offset:88
	s_waitcnt lgkmcnt(1)
	v_sub_f32_e32 v206, v213, v206
	;; [unrolled: 7-line block ×4, first 2 shown]
	v_mul_f32_e32 v206, v27, v206
	s_waitcnt lgkmcnt(0)
	v_fmac_f32_e32 v203, v206, v207
	ds_bpermute_b32 v206, v2, v205 offset:100
	ds_bpermute_b32 v207, v2, v201 offset:100
	s_waitcnt vmcnt(0)
	v_add_f32_e32 v3, v223, v3
	s_waitcnt lgkmcnt(1)
	v_sub_f32_e32 v206, v221, v206
	v_add_f32_e32 v3, v4, v3
	ds_bpermute_b32 v4, v2, v205 offset:108
	v_mul_f32_e32 v206, v28, v206
	v_add_f32_e32 v3, v5, v3
	ds_bpermute_b32 v5, v2, v201 offset:108
	s_waitcnt lgkmcnt(2)
	v_fmac_f32_e32 v203, v206, v207
	ds_bpermute_b32 v206, v2, v205 offset:104
	ds_bpermute_b32 v207, v2, v201 offset:104
	v_add_f32_e32 v3, v6, v3
	ds_bpermute_b32 v6, v2, v205 offset:116
	v_add_f32_e32 v3, v7, v3
	;; [unrolled: 2-line block ×3, first 2 shown]
	s_waitcnt lgkmcnt(5)
	v_sub_f32_e32 v4, v214, v4
	ds_bpermute_b32 v8, v2, v201 offset:120
	v_add_f32_e32 v3, v9, v3
	v_mul_f32_e32 v4, v30, v4
	ds_bpermute_b32 v9, v2, v201 offset:124
	s_waitcnt lgkmcnt(5)
	v_sub_f32_e32 v206, v220, v206
	v_add_f32_e32 v3, v10, v3
	s_waitcnt lgkmcnt(3)
	v_sub_f32_e32 v6, v219, v6
	v_mul_f32_e32 v206, v29, v206
	v_add_f32_e32 v3, v11, v3
	v_mul_f32_e32 v6, v32, v6
	v_fmac_f32_e32 v203, v206, v207
	v_add_f32_e32 v3, v12, v3
	v_fmac_f32_e32 v203, v4, v5
	ds_bpermute_b32 v4, v2, v205 offset:112
	v_add_f32_e32 v3, v13, v3
	ds_bpermute_b32 v5, v2, v201 offset:112
	v_add_f32_e32 v3, v14, v3
	v_add_f32_e32 v3, v15, v3
	;; [unrolled: 1-line block ×3, first 2 shown]
	s_waitcnt lgkmcnt(1)
	v_sub_f32_e32 v4, v212, v4
	v_add_f32_e32 v3, v17, v3
	v_mul_f32_e32 v4, v31, v4
	v_add_f32_e32 v3, v18, v3
	s_waitcnt lgkmcnt(0)
	v_fmac_f32_e32 v203, v4, v5
	v_add_f32_e32 v3, v19, v3
	ds_bpermute_b32 v4, v2, v205 offset:120
	ds_bpermute_b32 v5, v2, v201 offset:116
	v_add_f32_e32 v3, v20, v3
	v_add_f32_e32 v3, v21, v3
	;; [unrolled: 1-line block ×4, first 2 shown]
	s_waitcnt lgkmcnt(1)
	v_sub_f32_e32 v4, v217, v4
	s_waitcnt lgkmcnt(0)
	v_fmac_f32_e32 v203, v6, v5
	v_sub_f32_e32 v5, v222, v7
	v_add_f32_e32 v3, v24, v3
	v_mul_f32_e32 v4, v33, v4
	v_add_f32_e32 v3, v25, v3
	v_fmac_f32_e32 v203, v4, v8
	v_mul_f32_e32 v4, v34, v5
	v_add_f32_e32 v3, v26, v3
	v_fmac_f32_e32 v203, v4, v9
	v_add_f32_e32 v3, v27, v3
	v_add_f32_e32 v3, v28, v3
	;; [unrolled: 1-line block ×8, first 2 shown]
.LBB97_213:                             ;   in Loop: Header=BB97_145 Depth=1
	s_and_b32 vcc_lo, exec_lo, s7
	s_cbranch_vccz .LBB97_217
; %bb.214:                              ;   in Loop: Header=BB97_145 Depth=1
	s_load_dword s7, s[2:3], 0x0
	v_mov_b32_e32 v6, 0
	s_waitcnt lgkmcnt(0)
	s_cmp_lt_u32 s6, s7
	s_cselect_b32 s7, 12, 18
	s_add_u32 s24, s2, s7
	s_addc_u32 s25, s3, 0
	s_mov_b32 s7, exec_lo
	global_load_ushort v3, v2, s[24:25]
	s_clause 0x2
	buffer_load_dword v4, off, s[36:39], 0 offset:292
	buffer_load_dword v5, off, s[36:39], 0 offset:296
	;; [unrolled: 1-line block ×3, first 2 shown]
	s_waitcnt vmcnt(0)
	v_mad_u32_u24 v3, v4, v3, v5
	v_mov_b32_e32 v5, 0
	v_and_b32_e32 v3, 31, v3
	v_add_co_u32 v3, vcc_lo, v161, v3
	v_add_co_ci_u32_e64 v4, null, 0, v162, vcc_lo
	v_cmpx_gt_i64_e64 s[8:9], v[3:4]
	s_cbranch_execz .LBB97_216
; %bb.215:                              ;   in Loop: Header=BB97_145 Depth=1
	v_lshlrev_b64 v[3:4], 2, v[3:4]
	v_add_co_u32 v5, vcc_lo, s16, v3
	v_add_co_ci_u32_e64 v6, null, s17, v4, vcc_lo
	v_add_co_u32 v3, vcc_lo, s18, v3
	v_add_co_ci_u32_e64 v4, null, s19, v4, vcc_lo
	global_load_dword v6, v[5:6], off
	global_load_dword v5, v[3:4], off
.LBB97_216:                             ;   in Loop: Header=BB97_145 Depth=1
	s_or_b32 exec_lo, exec_lo, s7
	v_add_co_u32 v3, vcc_lo, v166, v159
	v_add_co_ci_u32_e64 v4, null, v167, v160, vcc_lo
	global_load_ushort v7, v[3:4], off
	v_add_co_u32 v3, vcc_lo, v164, v159
	v_add_co_ci_u32_e64 v4, null, v165, v160, vcc_lo
	global_load_ushort v3, v[3:4], off
	s_waitcnt vmcnt(1)
	v_lshlrev_b32_e32 v4, 16, v7
	ds_bpermute_b32 v7, v2, v6
	s_waitcnt vmcnt(0)
	v_lshlrev_b32_e32 v3, 16, v3
	s_waitcnt lgkmcnt(0)
	v_sub_f32_e32 v4, v4, v7
	ds_bpermute_b32 v7, v2, v5
	v_mul_f32_e32 v4, v4, v3
	v_add_f32_e32 v3, v223, v3
	s_waitcnt lgkmcnt(0)
	v_fmac_f32_e32 v204, v4, v7
	v_add_co_u32 v7, vcc_lo, v49, v159
	v_add_co_ci_u32_e64 v8, null, v50, v160, vcc_lo
	global_load_ushort v4, v[7:8], off
	v_add_co_u32 v7, vcc_lo, v35, v159
	v_add_co_ci_u32_e64 v8, null, v36, v160, vcc_lo
	global_load_ushort v7, v[7:8], off
	ds_bpermute_b32 v8, v2, v6 offset:4
	s_waitcnt vmcnt(1)
	v_lshlrev_b32_e32 v4, 16, v4
	s_waitcnt lgkmcnt(0)
	v_sub_f32_e32 v8, v4, v8
	s_waitcnt vmcnt(0)
	v_lshlrev_b32_e32 v4, 16, v7
	v_mul_f32_e32 v7, v8, v4
	ds_bpermute_b32 v8, v2, v5 offset:4
	v_add_f32_e32 v3, v3, v4
	s_waitcnt lgkmcnt(0)
	v_fmac_f32_e32 v204, v7, v8
	v_add_co_u32 v7, vcc_lo, v53, v159
	v_add_co_ci_u32_e64 v8, null, v54, v160, vcc_lo
	global_load_ushort v9, v[7:8], off
	v_add_co_u32 v7, vcc_lo, v37, v159
	v_add_co_ci_u32_e64 v8, null, v38, v160, vcc_lo
	global_load_ushort v7, v[7:8], off
	s_waitcnt vmcnt(1)
	v_lshlrev_b32_e32 v8, 16, v9
	ds_bpermute_b32 v9, v2, v6 offset:8
	s_waitcnt vmcnt(0)
	v_lshlrev_b32_e32 v7, 16, v7
	v_add_f32_e32 v3, v3, v7
	s_waitcnt lgkmcnt(0)
	v_sub_f32_e32 v8, v8, v9
	ds_bpermute_b32 v9, v2, v5 offset:8
	v_mul_f32_e32 v8, v8, v7
	s_waitcnt lgkmcnt(0)
	v_fmac_f32_e32 v204, v8, v9
	v_add_co_u32 v8, vcc_lo, v55, v159
	v_add_co_ci_u32_e64 v9, null, v56, v160, vcc_lo
	global_load_ushort v10, v[8:9], off
	v_add_co_u32 v8, vcc_lo, v39, v159
	v_add_co_ci_u32_e64 v9, null, v40, v160, vcc_lo
	global_load_ushort v8, v[8:9], off
	s_waitcnt vmcnt(1)
	v_lshlrev_b32_e32 v9, 16, v10
	ds_bpermute_b32 v10, v2, v6 offset:12
	s_waitcnt vmcnt(0)
	v_lshlrev_b32_e32 v8, 16, v8
	v_add_f32_e32 v3, v3, v8
	s_waitcnt lgkmcnt(0)
	v_sub_f32_e32 v9, v9, v10
	ds_bpermute_b32 v10, v2, v5 offset:12
	v_mul_f32_e32 v9, v9, v8
	;; [unrolled: 18-line block ×8, first 2 shown]
	s_waitcnt lgkmcnt(0)
	v_fmac_f32_e32 v204, v15, v16
	v_add_co_u32 v15, vcc_lo, v73, v159
	v_add_co_ci_u32_e64 v16, null, v74, v160, vcc_lo
	global_load_ushort v17, v[15:16], off
	v_add_co_u32 v15, vcc_lo, v71, v159
	v_add_co_ci_u32_e64 v16, null, v72, v160, vcc_lo
	global_load_ushort v15, v[15:16], off
	s_waitcnt vmcnt(1)
	v_lshlrev_b32_e32 v16, 16, v17
	ds_bpermute_b32 v17, v2, v6 offset:40
	s_waitcnt lgkmcnt(0)
	v_sub_f32_e32 v16, v16, v17
	s_waitcnt vmcnt(0)
	v_lshlrev_b32_e32 v17, 16, v15
	v_mul_f32_e32 v15, v16, v17
	ds_bpermute_b32 v16, v2, v5 offset:40
	v_add_f32_e32 v3, v3, v17
	s_waitcnt lgkmcnt(0)
	v_fmac_f32_e32 v204, v15, v16
	v_add_co_u32 v15, vcc_lo, v77, v159
	v_add_co_ci_u32_e64 v16, null, v78, v160, vcc_lo
	global_load_ushort v18, v[15:16], off
	v_add_co_u32 v15, vcc_lo, v75, v159
	v_add_co_ci_u32_e64 v16, null, v76, v160, vcc_lo
	global_load_ushort v15, v[15:16], off
	s_waitcnt vmcnt(1)
	v_lshlrev_b32_e32 v16, 16, v18
	ds_bpermute_b32 v18, v2, v6 offset:44
	s_waitcnt lgkmcnt(0)
	v_sub_f32_e32 v16, v16, v18
	s_waitcnt vmcnt(0)
	v_lshlrev_b32_e32 v18, 16, v15
	v_mul_f32_e32 v15, v16, v18
	ds_bpermute_b32 v16, v2, v5 offset:44
	v_add_f32_e32 v3, v3, v18
	;; [unrolled: 18-line block ×20, first 2 shown]
	s_waitcnt lgkmcnt(0)
	v_fmac_f32_e32 v204, v15, v16
	v_add_co_u32 v15, vcc_lo, v153, v159
	v_add_co_ci_u32_e64 v16, null, v154, v160, vcc_lo
	global_load_ushort v201, v[15:16], off
	v_add_co_u32 v15, vcc_lo, v151, v159
	v_add_co_ci_u32_e64 v16, null, v152, v160, vcc_lo
	global_load_ushort v15, v[15:16], off
	s_waitcnt vmcnt(1)
	v_lshlrev_b32_e32 v16, 16, v201
	ds_bpermute_b32 v201, v2, v6 offset:120
	ds_bpermute_b32 v6, v2, v6 offset:124
	s_waitcnt lgkmcnt(1)
	v_sub_f32_e32 v16, v16, v201
	s_waitcnt vmcnt(0)
	v_lshlrev_b32_e32 v201, 16, v15
	v_mul_f32_e32 v15, v16, v201
	ds_bpermute_b32 v16, v2, v5 offset:120
	ds_bpermute_b32 v5, v2, v5 offset:124
	v_add_f32_e32 v3, v3, v201
	s_waitcnt lgkmcnt(1)
	v_fmac_f32_e32 v204, v15, v16
	v_add_co_u32 v15, vcc_lo, v157, v159
	v_add_co_ci_u32_e64 v16, null, v158, v160, vcc_lo
	global_load_ushort v203, v[15:16], off
	v_add_co_u32 v15, vcc_lo, v155, v159
	v_add_co_ci_u32_e64 v16, null, v156, v160, vcc_lo
	global_load_ushort v15, v[15:16], off
	s_waitcnt vmcnt(1)
	v_lshlrev_b32_e32 v16, 16, v203
	v_sub_f32_e32 v6, v16, v6
	s_waitcnt vmcnt(0)
	v_lshlrev_b32_e32 v15, 16, v15
	v_mul_f32_e32 v6, v6, v15
	v_add_f32_e32 v201, v3, v15
	s_waitcnt lgkmcnt(0)
	v_fmac_f32_e32 v204, v6, v5
	v_mov_b32_e32 v203, v204
.LBB97_217:                             ;   in Loop: Header=BB97_145 Depth=1
	buffer_load_dword v3, off, s[36:39], 0  ; 4-byte Folded Reload
	v_add_co_u32 v164, vcc_lo, v164, s12
	v_add_co_ci_u32_e64 v165, null, s13, v165, vcc_lo
	v_add_co_u32 v166, vcc_lo, v166, s12
	v_add_co_ci_u32_e64 v167, null, s13, v167, vcc_lo
	;; [unrolled: 2-line block ×65, first 2 shown]
	s_add_u32 s22, s22, s1
	s_addc_u32 s23, s23, 0
	s_add_u32 s14, s14, s1
	v_cmp_ge_i64_e64 s7, s[22:23], s[8:9]
	s_addc_u32 s15, 0, s15
	s_waitcnt vmcnt(0)
	v_add_co_u32 v3, vcc_lo, v3, s12
	buffer_store_dword v3, off, s[36:39], 0 ; 4-byte Folded Spill
	buffer_load_dword v3, off, s[36:39], 0 offset:4 ; 4-byte Folded Reload
	s_waitcnt vmcnt(0)
	v_add_co_ci_u32_e64 v3, null, s13, v3, vcc_lo
	buffer_store_dword v3, off, s[36:39], 0 offset:4 ; 4-byte Folded Spill
	buffer_load_dword v3, off, s[36:39], 0 offset:8 ; 4-byte Folded Reload
	s_waitcnt vmcnt(0)
	v_add_co_u32 v3, vcc_lo, v3, s12
	buffer_store_dword v3, off, s[36:39], 0 offset:8 ; 4-byte Folded Spill
	buffer_load_dword v3, off, s[36:39], 0 offset:12 ; 4-byte Folded Reload
	s_waitcnt vmcnt(0)
	v_add_co_ci_u32_e64 v3, null, s13, v3, vcc_lo
	buffer_store_dword v3, off, s[36:39], 0 offset:12 ; 4-byte Folded Spill
	buffer_load_dword v3, off, s[36:39], 0 offset:16 ; 4-byte Folded Reload
	s_waitcnt vmcnt(0)
	v_add_co_u32 v3, vcc_lo, v3, s12
	buffer_store_dword v3, off, s[36:39], 0 offset:16 ; 4-byte Folded Spill
	;; [unrolled: 8-line block ×28, first 2 shown]
	buffer_load_dword v3, off, s[36:39], 0 offset:228 ; 4-byte Folded Reload
	s_waitcnt vmcnt(0)
	v_add_co_ci_u32_e64 v3, null, s13, v3, vcc_lo
	v_add_co_u32 v226, vcc_lo, v226, s12
	v_add_co_ci_u32_e64 v227, null, s13, v227, vcc_lo
	v_add_co_u32 v228, vcc_lo, v228, s12
	;; [unrolled: 2-line block ×33, first 2 shown]
	v_add_co_ci_u32_e64 v200, null, s13, v200, vcc_lo
	s_and_b32 vcc_lo, exec_lo, s7
	buffer_store_dword v3, off, s[36:39], 0 offset:228 ; 4-byte Folded Spill
	s_cbranch_vccnz .LBB97_219
; %bb.218:                              ;   in Loop: Header=BB97_145 Depth=1
	v_mov_b32_e32 v223, v201
	v_mov_b32_e32 v204, v203
	s_branch .LBB97_145
.LBB97_219:
	s_clause 0x2
	buffer_load_dword v1, off, s[36:39], 0 offset:292
	buffer_load_dword v2, off, s[36:39], 0 offset:296
	;; [unrolled: 1-line block ×3, first 2 shown]
.LBB97_220:
	s_mov_b32 s7, 0
	s_mov_b32 s1, exec_lo
	s_lshl_b64 s[2:3], s[6:7], 6
	s_waitcnt vmcnt(0)
	v_or_b32_e32 v4, s2, v227
	v_mov_b32_e32 v5, s3
	v_cmpx_gt_i64_e64 s[10:11], v[4:5]
	s_cbranch_execz .LBB97_225
; %bb.221:
	s_clause 0x1
	s_load_dword s1, s[4:5], 0x4c
	s_load_dwordx4 s[4:7], s[4:5], 0x30
	v_mov_b32_e32 v2, 0
	s_waitcnt lgkmcnt(0)
	s_lshr_b32 s1, s1, 16
	s_cmp_eq_u64 s[4:5], 0
	v_mad_u64_u32 v[2:3], null, s1, s0, v[1:2]
	v_lshlrev_b64 v[0:1], 1, v[4:5]
	v_mul_lo_u32 v3, v3, s10
	v_mul_lo_u32 v6, v2, s11
	s_cbranch_scc1 .LBB97_223
; %bb.222:
	v_mad_u64_u32 v[4:5], null, v2, s10, 0
	v_bfe_u32 v7, v203, 16, 1
	v_cmp_o_f32_e32 vcc_lo, v203, v203
	v_mov_b32_e32 v8, 0x7fc0
	v_add3_u32 v7, v203, v7, 0x7fff
	v_add3_u32 v5, v5, v6, v3
	v_cndmask_b32_sdwa v7, v8, v7, vcc_lo dst_sel:DWORD dst_unused:UNUSED_PAD src0_sel:DWORD src1_sel:WORD_1
	v_lshlrev_b64 v[4:5], 1, v[4:5]
	v_add_co_u32 v4, s0, s4, v4
	v_add_co_ci_u32_e64 v5, null, s5, v5, s0
	v_add_co_u32 v4, vcc_lo, v4, v0
	v_add_co_ci_u32_e64 v5, null, v5, v1, vcc_lo
	global_store_short v[4:5], v7, off
.LBB97_223:
	s_cmp_eq_u64 s[6:7], 0
	s_cbranch_scc1 .LBB97_225
; %bb.224:
	v_mad_u64_u32 v[4:5], null, v2, s10, 0
	v_cmp_o_f32_e32 vcc_lo, v201, v201
	v_add3_u32 v5, v5, v6, v3
	v_bfe_u32 v6, v201, 16, 1
	v_lshlrev_b64 v[2:3], 1, v[4:5]
	v_mov_b32_e32 v4, 0x7fc0
	v_add3_u32 v5, v201, v6, 0x7fff
	v_add_co_u32 v2, s0, s6, v2
	v_add_co_ci_u32_e64 v3, null, s7, v3, s0
	v_cndmask_b32_sdwa v4, v4, v5, vcc_lo dst_sel:DWORD dst_unused:UNUSED_PAD src0_sel:DWORD src1_sel:WORD_1
	v_add_co_u32 v0, vcc_lo, v2, v0
	v_add_co_ci_u32_e64 v1, null, v3, v1, vcc_lo
	global_store_short v[0:1], v4, off
.LBB97_225:
	s_endpgm
	.section	.rodata,"a",@progbits
	.p2align	6, 0x0
	.amdhsa_kernel _ZN2at6native12_GLOBAL__N_135GammaBetaBackwardCUDAKernelTemplateIN3c108BFloat16EfLj64ELj1ELj32ELb1ELb0ELb0EEEvllPKT_S7_PKT0_SA_PS5_SB_
		.amdhsa_group_segment_fixed_size 0
		.amdhsa_private_segment_fixed_size 312
		.amdhsa_kernarg_size 320
		.amdhsa_user_sgpr_count 6
		.amdhsa_user_sgpr_private_segment_buffer 1
		.amdhsa_user_sgpr_dispatch_ptr 0
		.amdhsa_user_sgpr_queue_ptr 0
		.amdhsa_user_sgpr_kernarg_segment_ptr 1
		.amdhsa_user_sgpr_dispatch_id 0
		.amdhsa_user_sgpr_flat_scratch_init 0
		.amdhsa_user_sgpr_private_segment_size 0
		.amdhsa_wavefront_size32 1
		.amdhsa_uses_dynamic_stack 0
		.amdhsa_system_sgpr_private_segment_wavefront_offset 1
		.amdhsa_system_sgpr_workgroup_id_x 1
		.amdhsa_system_sgpr_workgroup_id_y 1
		.amdhsa_system_sgpr_workgroup_id_z 0
		.amdhsa_system_sgpr_workgroup_info 0
		.amdhsa_system_vgpr_workitem_id 1
		.amdhsa_next_free_vgpr 256
		.amdhsa_next_free_sgpr 40
		.amdhsa_reserve_vcc 1
		.amdhsa_reserve_flat_scratch 0
		.amdhsa_float_round_mode_32 0
		.amdhsa_float_round_mode_16_64 0
		.amdhsa_float_denorm_mode_32 3
		.amdhsa_float_denorm_mode_16_64 3
		.amdhsa_dx10_clamp 1
		.amdhsa_ieee_mode 1
		.amdhsa_fp16_overflow 0
		.amdhsa_workgroup_processor_mode 1
		.amdhsa_memory_ordered 1
		.amdhsa_forward_progress 1
		.amdhsa_shared_vgpr_count 0
		.amdhsa_exception_fp_ieee_invalid_op 0
		.amdhsa_exception_fp_denorm_src 0
		.amdhsa_exception_fp_ieee_div_zero 0
		.amdhsa_exception_fp_ieee_overflow 0
		.amdhsa_exception_fp_ieee_underflow 0
		.amdhsa_exception_fp_ieee_inexact 0
		.amdhsa_exception_int_div_zero 0
	.end_amdhsa_kernel
	.section	.text._ZN2at6native12_GLOBAL__N_135GammaBetaBackwardCUDAKernelTemplateIN3c108BFloat16EfLj64ELj1ELj32ELb1ELb0ELb0EEEvllPKT_S7_PKT0_SA_PS5_SB_,"axG",@progbits,_ZN2at6native12_GLOBAL__N_135GammaBetaBackwardCUDAKernelTemplateIN3c108BFloat16EfLj64ELj1ELj32ELb1ELb0ELb0EEEvllPKT_S7_PKT0_SA_PS5_SB_,comdat
.Lfunc_end97:
	.size	_ZN2at6native12_GLOBAL__N_135GammaBetaBackwardCUDAKernelTemplateIN3c108BFloat16EfLj64ELj1ELj32ELb1ELb0ELb0EEEvllPKT_S7_PKT0_SA_PS5_SB_, .Lfunc_end97-_ZN2at6native12_GLOBAL__N_135GammaBetaBackwardCUDAKernelTemplateIN3c108BFloat16EfLj64ELj1ELj32ELb1ELb0ELb0EEEvllPKT_S7_PKT0_SA_PS5_SB_
                                        ; -- End function
	.set _ZN2at6native12_GLOBAL__N_135GammaBetaBackwardCUDAKernelTemplateIN3c108BFloat16EfLj64ELj1ELj32ELb1ELb0ELb0EEEvllPKT_S7_PKT0_SA_PS5_SB_.num_vgpr, 256
	.set _ZN2at6native12_GLOBAL__N_135GammaBetaBackwardCUDAKernelTemplateIN3c108BFloat16EfLj64ELj1ELj32ELb1ELb0ELb0EEEvllPKT_S7_PKT0_SA_PS5_SB_.num_agpr, 0
	.set _ZN2at6native12_GLOBAL__N_135GammaBetaBackwardCUDAKernelTemplateIN3c108BFloat16EfLj64ELj1ELj32ELb1ELb0ELb0EEEvllPKT_S7_PKT0_SA_PS5_SB_.numbered_sgpr, 40
	.set _ZN2at6native12_GLOBAL__N_135GammaBetaBackwardCUDAKernelTemplateIN3c108BFloat16EfLj64ELj1ELj32ELb1ELb0ELb0EEEvllPKT_S7_PKT0_SA_PS5_SB_.num_named_barrier, 0
	.set _ZN2at6native12_GLOBAL__N_135GammaBetaBackwardCUDAKernelTemplateIN3c108BFloat16EfLj64ELj1ELj32ELb1ELb0ELb0EEEvllPKT_S7_PKT0_SA_PS5_SB_.private_seg_size, 312
	.set _ZN2at6native12_GLOBAL__N_135GammaBetaBackwardCUDAKernelTemplateIN3c108BFloat16EfLj64ELj1ELj32ELb1ELb0ELb0EEEvllPKT_S7_PKT0_SA_PS5_SB_.uses_vcc, 1
	.set _ZN2at6native12_GLOBAL__N_135GammaBetaBackwardCUDAKernelTemplateIN3c108BFloat16EfLj64ELj1ELj32ELb1ELb0ELb0EEEvllPKT_S7_PKT0_SA_PS5_SB_.uses_flat_scratch, 0
	.set _ZN2at6native12_GLOBAL__N_135GammaBetaBackwardCUDAKernelTemplateIN3c108BFloat16EfLj64ELj1ELj32ELb1ELb0ELb0EEEvllPKT_S7_PKT0_SA_PS5_SB_.has_dyn_sized_stack, 0
	.set _ZN2at6native12_GLOBAL__N_135GammaBetaBackwardCUDAKernelTemplateIN3c108BFloat16EfLj64ELj1ELj32ELb1ELb0ELb0EEEvllPKT_S7_PKT0_SA_PS5_SB_.has_recursion, 0
	.set _ZN2at6native12_GLOBAL__N_135GammaBetaBackwardCUDAKernelTemplateIN3c108BFloat16EfLj64ELj1ELj32ELb1ELb0ELb0EEEvllPKT_S7_PKT0_SA_PS5_SB_.has_indirect_call, 0
	.section	.AMDGPU.csdata,"",@progbits
; Kernel info:
; codeLenInByte = 32224
; TotalNumSgprs: 42
; NumVgprs: 256
; ScratchSize: 312
; MemoryBound: 0
; FloatMode: 240
; IeeeMode: 1
; LDSByteSize: 0 bytes/workgroup (compile time only)
; SGPRBlocks: 0
; VGPRBlocks: 31
; NumSGPRsForWavesPerEU: 42
; NumVGPRsForWavesPerEU: 256
; Occupancy: 4
; WaveLimiterHint : 0
; COMPUTE_PGM_RSRC2:SCRATCH_EN: 1
; COMPUTE_PGM_RSRC2:USER_SGPR: 6
; COMPUTE_PGM_RSRC2:TRAP_HANDLER: 0
; COMPUTE_PGM_RSRC2:TGID_X_EN: 1
; COMPUTE_PGM_RSRC2:TGID_Y_EN: 1
; COMPUTE_PGM_RSRC2:TGID_Z_EN: 0
; COMPUTE_PGM_RSRC2:TIDIG_COMP_CNT: 1
	.section	.text._ZN2at6native12_GLOBAL__N_135GammaBetaBackwardCUDAKernelTemplateIN3c108BFloat16EfLj64ELj1ELj8ELb1ELb1ELb0EEEvllPKT_S7_PKT0_SA_PS5_SB_,"axG",@progbits,_ZN2at6native12_GLOBAL__N_135GammaBetaBackwardCUDAKernelTemplateIN3c108BFloat16EfLj64ELj1ELj8ELb1ELb1ELb0EEEvllPKT_S7_PKT0_SA_PS5_SB_,comdat
	.globl	_ZN2at6native12_GLOBAL__N_135GammaBetaBackwardCUDAKernelTemplateIN3c108BFloat16EfLj64ELj1ELj8ELb1ELb1ELb0EEEvllPKT_S7_PKT0_SA_PS5_SB_ ; -- Begin function _ZN2at6native12_GLOBAL__N_135GammaBetaBackwardCUDAKernelTemplateIN3c108BFloat16EfLj64ELj1ELj8ELb1ELb1ELb0EEEvllPKT_S7_PKT0_SA_PS5_SB_
	.p2align	8
	.type	_ZN2at6native12_GLOBAL__N_135GammaBetaBackwardCUDAKernelTemplateIN3c108BFloat16EfLj64ELj1ELj8ELb1ELb1ELb0EEEvllPKT_S7_PKT0_SA_PS5_SB_,@function
_ZN2at6native12_GLOBAL__N_135GammaBetaBackwardCUDAKernelTemplateIN3c108BFloat16EfLj64ELj1ELj8ELb1ELb1ELb0EEEvllPKT_S7_PKT0_SA_PS5_SB_: ; @_ZN2at6native12_GLOBAL__N_135GammaBetaBackwardCUDAKernelTemplateIN3c108BFloat16EfLj64ELj1ELj8ELb1ELb1ELb0EEEvllPKT_S7_PKT0_SA_PS5_SB_
; %bb.0:
	s_load_dwordx4 s[16:19], s[4:5], 0x0
	s_lshl_b32 s2, s7, 3
	s_mov_b32 s3, 0
	s_waitcnt lgkmcnt(0)
	v_cmp_gt_i64_e64 s0, s[16:17], s[2:3]
	s_and_b32 vcc_lo, exec_lo, s0
	s_cbranch_vccnz .LBB98_2
; %bb.1:
	s_add_u32 s24, s4, 64
	s_addc_u32 s25, s5, 0
	s_mov_b32 s0, s3
	s_branch .LBB98_3
.LBB98_2:
	s_mov_b32 s0, -1
                                        ; implicit-def: $sgpr24_sgpr25
.LBB98_3:
	s_load_dwordx4 s[20:23], s[4:5], 0x30
	v_mov_b32_e32 v9, 0
	v_mov_b32_e32 v11, 0
	s_andn2_b32 vcc_lo, exec_lo, s0
	s_cbranch_vccnz .LBB98_10
; %bb.4:
	s_clause 0x2
	s_load_dword s0, s[4:5], 0x4c
	s_load_dword s1, s[4:5], 0x44
	s_load_dwordx8 s[8:15], s[4:5], 0x10
	v_lshlrev_b32_e32 v2, 3, v1
	s_add_u32 s24, s4, 64
	s_addc_u32 s25, s5, 0
	v_mov_b32_e32 v3, 0
	v_mov_b32_e32 v8, 8
	v_add_co_u32 v4, s4, v2, s2
	v_add_co_ci_u32_e64 v5, null, 0, 0, s4
	v_lshl_or_b32 v2, s6, 6, v0
	v_mul_lo_u32 v9, s19, v4
	v_mad_u64_u32 v[6:7], null, s18, v4, 0
	v_mul_lo_u32 v11, s18, v5
	v_lshlrev_b64 v[17:18], 1, v[2:3]
	v_mov_b32_e32 v10, 4
	v_mov_b32_e32 v12, 12
	s_waitcnt lgkmcnt(0)
	s_and_b32 s0, s0, 0xffff
	s_lshl_b32 s26, s1, 3
	v_mad_u32_u24 v16, v1, s0, v0
	s_mul_i32 s1, s19, s26
	v_add3_u32 v7, v7, v11, v9
	s_mul_hi_u32 s4, s18, s26
	v_mov_b32_e32 v13, 16
	v_and_b32_e32 v21, 31, v16
	v_mov_b32_e32 v14, 20
	v_lshlrev_b64 v[19:20], 1, v[6:7]
	v_mov_b32_e32 v15, 24
	v_mov_b32_e32 v16, 28
	v_add_co_u32 v4, vcc_lo, v4, v21
	v_add_co_ci_u32_e64 v5, null, 0, v5, vcc_lo
	v_add_co_u32 v2, vcc_lo, v19, v17
	v_cmp_gt_u32_e64 s0, 8, v21
	v_lshlrev_b64 v[6:7], 2, v[4:5]
	v_add_co_ci_u32_e64 v17, null, v20, v18, vcc_lo
	v_mov_b32_e32 v11, 0
	v_mov_b32_e32 v9, 0
	s_mov_b32 s27, 0
	s_add_i32 s29, s4, s1
	s_mul_i32 s28, s18, s26
	s_lshl_b64 s[4:5], s[26:27], 2
	s_lshl_b64 s[28:29], s[28:29], 1
	;; [unrolled: 1-line block ×3, first 2 shown]
	s_branch .LBB98_7
.LBB98_5:                               ;   in Loop: Header=BB98_7 Depth=1
	s_or_b32 exec_lo, exec_lo, s27
.LBB98_6:                               ;   in Loop: Header=BB98_7 Depth=1
	s_or_b32 exec_lo, exec_lo, s1
	v_add_co_u32 v20, vcc_lo, s8, v2
	v_add_co_ci_u32_e64 v21, null, s9, v17, vcc_lo
	v_add_co_u32 v22, vcc_lo, s10, v2
	v_add_co_ci_u32_e64 v23, null, s11, v17, vcc_lo
	;; [unrolled: 2-line block ×5, first 2 shown]
	global_load_ushort v30, v[20:21], off
	global_load_ushort v31, v[22:23], off
	;; [unrolled: 1-line block ×5, first 2 shown]
	v_add_co_u32 v20, vcc_lo, v26, s30
	v_add_co_ci_u32_e64 v21, null, s31, v27, vcc_lo
	v_add_co_u32 v22, vcc_lo, v28, s30
	v_add_co_ci_u32_e64 v23, null, s31, v29, vcc_lo
	;; [unrolled: 2-line block ×5, first 2 shown]
	global_load_ushort v35, v[20:21], off
	global_load_ushort v36, v[22:23], off
	;; [unrolled: 1-line block ×5, first 2 shown]
	v_add_co_u32 v20, vcc_lo, v26, s30
	v_add_co_ci_u32_e64 v21, null, s31, v27, vcc_lo
	v_add_co_u32 v22, vcc_lo, v28, s30
	v_add_co_ci_u32_e64 v23, null, s31, v29, vcc_lo
	;; [unrolled: 2-line block ×4, first 2 shown]
	global_load_ushort v28, v[20:21], off
	global_load_ushort v29, v[22:23], off
	;; [unrolled: 1-line block ×4, first 2 shown]
	v_add_co_u32 v20, vcc_lo, v26, s30
	v_add_co_ci_u32_e64 v21, null, s31, v27, vcc_lo
	v_add_co_u32 v22, vcc_lo, v24, s30
	v_add_co_ci_u32_e64 v23, null, s31, v25, vcc_lo
	global_load_ushort v20, v[20:21], off
	global_load_ushort v21, v[22:23], off
	s_waitcnt vmcnt(17)
	ds_bpermute_b32 v22, v3, v18
	ds_bpermute_b32 v25, v10, v18
	s_waitcnt vmcnt(16)
	ds_bpermute_b32 v23, v3, v19
	ds_bpermute_b32 v27, v8, v18
	;; [unrolled: 1-line block ×14, first 2 shown]
	s_add_u32 s2, s2, s26
	v_add_co_u32 v6, vcc_lo, v6, s4
	s_addc_u32 s3, s3, 0
	v_add_co_ci_u32_e64 v7, null, s5, v7, vcc_lo
	v_add_co_u32 v4, vcc_lo, v4, s26
	v_cmp_lt_i64_e64 s1, s[2:3], s[16:17]
	v_add_co_ci_u32_e64 v5, null, 0, v5, vcc_lo
	v_add_co_u32 v2, vcc_lo, v2, s28
	v_add_co_ci_u32_e64 v17, null, s29, v17, vcc_lo
	s_and_b32 vcc_lo, exec_lo, s1
	s_waitcnt vmcnt(15)
	v_lshlrev_b32_e32 v30, 16, v30
	s_waitcnt vmcnt(14)
	v_lshlrev_b32_e32 v31, 16, v31
	;; [unrolled: 2-line block ×3, first 2 shown]
	v_add_f32_e32 v11, v11, v30
	s_waitcnt lgkmcnt(15)
	v_sub_f32_e32 v22, v31, v22
	v_lshlrev_b32_e32 v31, 16, v32
	s_waitcnt lgkmcnt(14)
	v_sub_f32_e32 v25, v33, v25
	v_mul_f32_e32 v22, v22, v30
	s_waitcnt vmcnt(11)
	v_lshlrev_b32_e32 v30, 16, v34
	v_add_f32_e32 v11, v11, v31
	s_waitcnt lgkmcnt(13)
	v_fmac_f32_e32 v9, v22, v23
	v_mul_f32_e32 v22, v25, v31
	v_add_f32_e32 v11, v11, v30
	s_waitcnt vmcnt(10)
	v_lshlrev_b32_e32 v32, 16, v35
	s_waitcnt lgkmcnt(11)
	v_fmac_f32_e32 v9, v22, v24
	s_waitcnt vmcnt(8)
	v_lshlrev_b32_e32 v25, 16, v37
	s_waitcnt vmcnt(6)
	v_lshlrev_b32_e32 v24, 16, v39
	v_sub_f32_e32 v23, v32, v27
	v_lshlrev_b32_e32 v27, 16, v36
	v_mul_f32_e32 v22, v23, v30
	s_waitcnt lgkmcnt(10)
	v_sub_f32_e32 v23, v25, v43
	v_lshlrev_b32_e32 v25, 16, v38
	v_add_f32_e32 v11, v11, v27
	s_waitcnt lgkmcnt(9)
	v_fmac_f32_e32 v9, v22, v26
	v_mul_f32_e32 v22, v23, v27
	s_waitcnt lgkmcnt(8)
	v_sub_f32_e32 v23, v24, v45
	s_waitcnt vmcnt(5)
	v_lshlrev_b32_e32 v26, 16, v28
	s_waitcnt vmcnt(4)
	v_lshlrev_b32_e32 v24, 16, v29
	v_add_f32_e32 v11, v11, v25
	s_waitcnt lgkmcnt(7)
	v_fmac_f32_e32 v9, v22, v42
	v_mul_f32_e32 v22, v23, v25
	s_waitcnt vmcnt(3)
	v_lshlrev_b32_e32 v25, 16, v40
	s_waitcnt lgkmcnt(6)
	v_sub_f32_e32 v23, v24, v47
	s_waitcnt vmcnt(2)
	v_lshlrev_b32_e32 v24, 16, v41
	v_add_f32_e32 v11, v11, v26
	s_waitcnt lgkmcnt(5)
	v_fmac_f32_e32 v9, v22, v44
	v_mul_f32_e32 v22, v23, v26
	s_waitcnt lgkmcnt(4)
	v_sub_f32_e32 v23, v24, v49
	s_waitcnt vmcnt(1)
	v_lshlrev_b32_e32 v20, 16, v20
	s_waitcnt vmcnt(0)
	v_lshlrev_b32_e32 v21, 16, v21
	v_add_f32_e32 v11, v11, v25
	s_waitcnt lgkmcnt(3)
	v_fmac_f32_e32 v9, v22, v46
	v_mul_f32_e32 v22, v23, v25
	s_waitcnt lgkmcnt(2)
	v_sub_f32_e32 v18, v20, v18
	v_add_f32_e32 v11, v11, v21
	s_waitcnt lgkmcnt(1)
	v_fmac_f32_e32 v9, v22, v48
	v_mul_f32_e32 v18, v18, v21
	s_waitcnt lgkmcnt(0)
	v_fmac_f32_e32 v9, v18, v19
	s_cbranch_vccz .LBB98_10
.LBB98_7:                               ; =>This Inner Loop Header: Depth=1
	v_mov_b32_e32 v19, 0
	v_mov_b32_e32 v18, 0
	s_and_saveexec_b32 s1, s0
	s_cbranch_execz .LBB98_6
; %bb.8:                                ;   in Loop: Header=BB98_7 Depth=1
	v_mov_b32_e32 v18, 0
	v_mov_b32_e32 v19, 0
	s_mov_b32 s27, exec_lo
	v_cmpx_gt_i64_e64 s[16:17], v[4:5]
	s_cbranch_execz .LBB98_5
; %bb.9:                                ;   in Loop: Header=BB98_7 Depth=1
	v_add_co_u32 v18, vcc_lo, s12, v6
	v_add_co_ci_u32_e64 v19, null, s13, v7, vcc_lo
	v_add_co_u32 v20, vcc_lo, s14, v6
	v_add_co_ci_u32_e64 v21, null, s15, v7, vcc_lo
	global_load_dword v18, v[18:19], off
	global_load_dword v19, v[20:21], off
	s_branch .LBB98_5
.LBB98_10:
	s_load_dword s0, s[24:25], 0xc
	v_mov_b32_e32 v2, 0
	s_waitcnt lgkmcnt(0)
	s_lshr_b32 s0, s0, 16
	v_mad_u64_u32 v[2:3], null, s0, s7, v[1:2]
	s_mov_b32 s7, 0
	s_lshl_b64 s[0:1], s[6:7], 6
	s_cmp_eq_u64 s[20:21], 0
	v_or_b32_e32 v0, s0, v0
	v_mov_b32_e32 v1, s1
	v_mul_lo_u32 v3, v3, s18
	v_mul_lo_u32 v4, v2, s19
	v_lshlrev_b64 v[0:1], 1, v[0:1]
	s_cbranch_scc1 .LBB98_12
; %bb.11:
	v_mad_u64_u32 v[5:6], null, v2, s18, 0
	v_bfe_u32 v7, v9, 16, 1
	v_cmp_o_f32_e32 vcc_lo, v9, v9
	v_mov_b32_e32 v8, 0x7fc0
	v_add3_u32 v7, v9, v7, 0x7fff
	v_add3_u32 v6, v6, v4, v3
	v_cndmask_b32_sdwa v7, v8, v7, vcc_lo dst_sel:DWORD dst_unused:UNUSED_PAD src0_sel:DWORD src1_sel:WORD_1
	v_lshlrev_b64 v[5:6], 1, v[5:6]
	v_add_co_u32 v5, s0, s20, v5
	v_add_co_ci_u32_e64 v6, null, s21, v6, s0
	v_add_co_u32 v5, vcc_lo, v5, v0
	v_add_co_ci_u32_e64 v6, null, v6, v1, vcc_lo
	global_store_short v[5:6], v7, off
.LBB98_12:
	s_cmp_eq_u64 s[22:23], 0
	s_cbranch_scc1 .LBB98_14
; %bb.13:
	v_mad_u64_u32 v[5:6], null, v2, s18, 0
	v_cmp_o_f32_e32 vcc_lo, v11, v11
	v_add3_u32 v6, v6, v4, v3
	v_bfe_u32 v4, v11, 16, 1
	v_lshlrev_b64 v[2:3], 1, v[5:6]
	v_mov_b32_e32 v5, 0x7fc0
	v_add3_u32 v4, v11, v4, 0x7fff
	v_add_co_u32 v2, s0, s22, v2
	v_add_co_ci_u32_e64 v3, null, s23, v3, s0
	v_cndmask_b32_sdwa v4, v5, v4, vcc_lo dst_sel:DWORD dst_unused:UNUSED_PAD src0_sel:DWORD src1_sel:WORD_1
	v_add_co_u32 v0, vcc_lo, v2, v0
	v_add_co_ci_u32_e64 v1, null, v3, v1, vcc_lo
	global_store_short v[0:1], v4, off
.LBB98_14:
	s_endpgm
	.section	.rodata,"a",@progbits
	.p2align	6, 0x0
	.amdhsa_kernel _ZN2at6native12_GLOBAL__N_135GammaBetaBackwardCUDAKernelTemplateIN3c108BFloat16EfLj64ELj1ELj8ELb1ELb1ELb0EEEvllPKT_S7_PKT0_SA_PS5_SB_
		.amdhsa_group_segment_fixed_size 0
		.amdhsa_private_segment_fixed_size 0
		.amdhsa_kernarg_size 320
		.amdhsa_user_sgpr_count 6
		.amdhsa_user_sgpr_private_segment_buffer 1
		.amdhsa_user_sgpr_dispatch_ptr 0
		.amdhsa_user_sgpr_queue_ptr 0
		.amdhsa_user_sgpr_kernarg_segment_ptr 1
		.amdhsa_user_sgpr_dispatch_id 0
		.amdhsa_user_sgpr_flat_scratch_init 0
		.amdhsa_user_sgpr_private_segment_size 0
		.amdhsa_wavefront_size32 1
		.amdhsa_uses_dynamic_stack 0
		.amdhsa_system_sgpr_private_segment_wavefront_offset 0
		.amdhsa_system_sgpr_workgroup_id_x 1
		.amdhsa_system_sgpr_workgroup_id_y 1
		.amdhsa_system_sgpr_workgroup_id_z 0
		.amdhsa_system_sgpr_workgroup_info 0
		.amdhsa_system_vgpr_workitem_id 1
		.amdhsa_next_free_vgpr 50
		.amdhsa_next_free_sgpr 32
		.amdhsa_reserve_vcc 1
		.amdhsa_reserve_flat_scratch 0
		.amdhsa_float_round_mode_32 0
		.amdhsa_float_round_mode_16_64 0
		.amdhsa_float_denorm_mode_32 3
		.amdhsa_float_denorm_mode_16_64 3
		.amdhsa_dx10_clamp 1
		.amdhsa_ieee_mode 1
		.amdhsa_fp16_overflow 0
		.amdhsa_workgroup_processor_mode 1
		.amdhsa_memory_ordered 1
		.amdhsa_forward_progress 1
		.amdhsa_shared_vgpr_count 0
		.amdhsa_exception_fp_ieee_invalid_op 0
		.amdhsa_exception_fp_denorm_src 0
		.amdhsa_exception_fp_ieee_div_zero 0
		.amdhsa_exception_fp_ieee_overflow 0
		.amdhsa_exception_fp_ieee_underflow 0
		.amdhsa_exception_fp_ieee_inexact 0
		.amdhsa_exception_int_div_zero 0
	.end_amdhsa_kernel
	.section	.text._ZN2at6native12_GLOBAL__N_135GammaBetaBackwardCUDAKernelTemplateIN3c108BFloat16EfLj64ELj1ELj8ELb1ELb1ELb0EEEvllPKT_S7_PKT0_SA_PS5_SB_,"axG",@progbits,_ZN2at6native12_GLOBAL__N_135GammaBetaBackwardCUDAKernelTemplateIN3c108BFloat16EfLj64ELj1ELj8ELb1ELb1ELb0EEEvllPKT_S7_PKT0_SA_PS5_SB_,comdat
.Lfunc_end98:
	.size	_ZN2at6native12_GLOBAL__N_135GammaBetaBackwardCUDAKernelTemplateIN3c108BFloat16EfLj64ELj1ELj8ELb1ELb1ELb0EEEvllPKT_S7_PKT0_SA_PS5_SB_, .Lfunc_end98-_ZN2at6native12_GLOBAL__N_135GammaBetaBackwardCUDAKernelTemplateIN3c108BFloat16EfLj64ELj1ELj8ELb1ELb1ELb0EEEvllPKT_S7_PKT0_SA_PS5_SB_
                                        ; -- End function
	.set _ZN2at6native12_GLOBAL__N_135GammaBetaBackwardCUDAKernelTemplateIN3c108BFloat16EfLj64ELj1ELj8ELb1ELb1ELb0EEEvllPKT_S7_PKT0_SA_PS5_SB_.num_vgpr, 50
	.set _ZN2at6native12_GLOBAL__N_135GammaBetaBackwardCUDAKernelTemplateIN3c108BFloat16EfLj64ELj1ELj8ELb1ELb1ELb0EEEvllPKT_S7_PKT0_SA_PS5_SB_.num_agpr, 0
	.set _ZN2at6native12_GLOBAL__N_135GammaBetaBackwardCUDAKernelTemplateIN3c108BFloat16EfLj64ELj1ELj8ELb1ELb1ELb0EEEvllPKT_S7_PKT0_SA_PS5_SB_.numbered_sgpr, 32
	.set _ZN2at6native12_GLOBAL__N_135GammaBetaBackwardCUDAKernelTemplateIN3c108BFloat16EfLj64ELj1ELj8ELb1ELb1ELb0EEEvllPKT_S7_PKT0_SA_PS5_SB_.num_named_barrier, 0
	.set _ZN2at6native12_GLOBAL__N_135GammaBetaBackwardCUDAKernelTemplateIN3c108BFloat16EfLj64ELj1ELj8ELb1ELb1ELb0EEEvllPKT_S7_PKT0_SA_PS5_SB_.private_seg_size, 0
	.set _ZN2at6native12_GLOBAL__N_135GammaBetaBackwardCUDAKernelTemplateIN3c108BFloat16EfLj64ELj1ELj8ELb1ELb1ELb0EEEvllPKT_S7_PKT0_SA_PS5_SB_.uses_vcc, 1
	.set _ZN2at6native12_GLOBAL__N_135GammaBetaBackwardCUDAKernelTemplateIN3c108BFloat16EfLj64ELj1ELj8ELb1ELb1ELb0EEEvllPKT_S7_PKT0_SA_PS5_SB_.uses_flat_scratch, 0
	.set _ZN2at6native12_GLOBAL__N_135GammaBetaBackwardCUDAKernelTemplateIN3c108BFloat16EfLj64ELj1ELj8ELb1ELb1ELb0EEEvllPKT_S7_PKT0_SA_PS5_SB_.has_dyn_sized_stack, 0
	.set _ZN2at6native12_GLOBAL__N_135GammaBetaBackwardCUDAKernelTemplateIN3c108BFloat16EfLj64ELj1ELj8ELb1ELb1ELb0EEEvllPKT_S7_PKT0_SA_PS5_SB_.has_recursion, 0
	.set _ZN2at6native12_GLOBAL__N_135GammaBetaBackwardCUDAKernelTemplateIN3c108BFloat16EfLj64ELj1ELj8ELb1ELb1ELb0EEEvllPKT_S7_PKT0_SA_PS5_SB_.has_indirect_call, 0
	.section	.AMDGPU.csdata,"",@progbits
; Kernel info:
; codeLenInByte = 1636
; TotalNumSgprs: 34
; NumVgprs: 50
; ScratchSize: 0
; MemoryBound: 0
; FloatMode: 240
; IeeeMode: 1
; LDSByteSize: 0 bytes/workgroup (compile time only)
; SGPRBlocks: 0
; VGPRBlocks: 6
; NumSGPRsForWavesPerEU: 34
; NumVGPRsForWavesPerEU: 50
; Occupancy: 16
; WaveLimiterHint : 0
; COMPUTE_PGM_RSRC2:SCRATCH_EN: 0
; COMPUTE_PGM_RSRC2:USER_SGPR: 6
; COMPUTE_PGM_RSRC2:TRAP_HANDLER: 0
; COMPUTE_PGM_RSRC2:TGID_X_EN: 1
; COMPUTE_PGM_RSRC2:TGID_Y_EN: 1
; COMPUTE_PGM_RSRC2:TGID_Z_EN: 0
; COMPUTE_PGM_RSRC2:TIDIG_COMP_CNT: 1
	.section	.text._ZN2at6native12_GLOBAL__N_135GammaBetaBackwardCUDAKernelTemplateIN3c108BFloat16EfLj64ELj1ELj8ELb1ELb0ELb0EEEvllPKT_S7_PKT0_SA_PS5_SB_,"axG",@progbits,_ZN2at6native12_GLOBAL__N_135GammaBetaBackwardCUDAKernelTemplateIN3c108BFloat16EfLj64ELj1ELj8ELb1ELb0ELb0EEEvllPKT_S7_PKT0_SA_PS5_SB_,comdat
	.globl	_ZN2at6native12_GLOBAL__N_135GammaBetaBackwardCUDAKernelTemplateIN3c108BFloat16EfLj64ELj1ELj8ELb1ELb0ELb0EEEvllPKT_S7_PKT0_SA_PS5_SB_ ; -- Begin function _ZN2at6native12_GLOBAL__N_135GammaBetaBackwardCUDAKernelTemplateIN3c108BFloat16EfLj64ELj1ELj8ELb1ELb0ELb0EEEvllPKT_S7_PKT0_SA_PS5_SB_
	.p2align	8
	.type	_ZN2at6native12_GLOBAL__N_135GammaBetaBackwardCUDAKernelTemplateIN3c108BFloat16EfLj64ELj1ELj8ELb1ELb0ELb0EEEvllPKT_S7_PKT0_SA_PS5_SB_,@function
_ZN2at6native12_GLOBAL__N_135GammaBetaBackwardCUDAKernelTemplateIN3c108BFloat16EfLj64ELj1ELj8ELb1ELb0ELb0EEEvllPKT_S7_PKT0_SA_PS5_SB_: ; @_ZN2at6native12_GLOBAL__N_135GammaBetaBackwardCUDAKernelTemplateIN3c108BFloat16EfLj64ELj1ELj8ELb1ELb0ELb0EEEvllPKT_S7_PKT0_SA_PS5_SB_
; %bb.0:
	s_clause 0x1
	s_load_dwordx8 s[8:15], s[4:5], 0x0
	s_load_dwordx4 s[16:19], s[4:5], 0x20
	s_mov_b32 s0, s7
	s_lshl_b32 s7, s6, 6
	s_mov_b32 s21, 0
	s_or_b32 s20, s7, 63
	s_waitcnt lgkmcnt(0)
	v_cmp_le_i64_e64 s1, s[10:11], s[20:21]
	s_lshl_b32 s20, s0, 3
	v_cmp_gt_i64_e64 s28, s[8:9], s[20:21]
	s_and_b32 vcc_lo, exec_lo, s1
	v_cndmask_b32_e64 v2, 0, 1, s28
	v_cmp_ne_u32_e64 s1, 1, v2
	s_cbranch_vccz .LBB99_49
; %bb.1:
	v_mov_b32_e32 v11, 0
	v_mov_b32_e32 v56, 0
	s_and_b32 vcc_lo, exec_lo, s1
	s_cbranch_vccnz .LBB99_50
; %bb.2:
	v_lshlrev_b32_e32 v23, 3, v1
	v_mov_b32_e32 v2, 0
	v_add_nc_u32_e32 v3, s7, v0
	s_load_dword s2, s[4:5], 0x44
	s_add_u32 s22, s4, 64
	v_add_co_u32 v11, s1, v23, s20
	v_add_co_ci_u32_e64 v12, null, 0, 0, s1
	v_mov_b32_e32 v4, v2
	v_mul_lo_u32 v7, s11, v11
	v_mad_u64_u32 v[5:6], null, s10, v11, 0
	v_mul_lo_u32 v8, s10, v12
	v_cmp_gt_i64_e64 s1, s[10:11], v[3:4]
	v_lshlrev_b64 v[19:20], 1, v[3:4]
	s_addc_u32 s23, s5, 0
	v_mov_b32_e32 v24, v2
	v_mov_b32_e32 v56, 0
	;; [unrolled: 1-line block ×3, first 2 shown]
	s_mov_b64 s[26:27], s[20:21]
	v_add3_u32 v6, v6, v8, v7
	v_add_co_u32 v7, vcc_lo, v11, 7
	v_add_co_ci_u32_e64 v8, null, 0, v12, vcc_lo
	v_add_co_u32 v9, vcc_lo, v11, 6
	v_add_co_ci_u32_e64 v10, null, 0, v12, vcc_lo
	v_lshlrev_b64 v[3:4], 1, v[5:6]
	v_mul_lo_u32 v13, s11, v7
	v_mul_lo_u32 v14, s10, v8
	v_mad_u64_u32 v[7:8], null, s10, v7, 0
	v_mul_lo_u32 v15, s11, v9
	v_mul_lo_u32 v16, s10, v10
	v_mad_u64_u32 v[9:10], null, s10, v9, 0
	v_add_co_u32 v25, vcc_lo, s12, v3
	v_add_co_ci_u32_e64 v26, null, s13, v4, vcc_lo
	v_add_co_u32 v27, vcc_lo, s14, v3
	v_add3_u32 v8, v8, v14, v13
	v_add_co_ci_u32_e64 v28, null, s15, v4, vcc_lo
	v_add_co_u32 v13, vcc_lo, v11, 5
	v_add3_u32 v10, v10, v16, v15
	v_add_co_ci_u32_e64 v14, null, 0, v12, vcc_lo
	v_lshlrev_b64 v[3:4], 1, v[7:8]
	v_mul_lo_u32 v15, s11, v13
	v_lshlrev_b64 v[7:8], 1, v[9:10]
	v_mul_lo_u32 v14, s10, v14
	v_mad_u64_u32 v[9:10], null, s10, v13, 0
	v_add_co_u32 v29, vcc_lo, s12, v3
	v_add_co_ci_u32_e64 v30, null, s13, v4, vcc_lo
	v_add_co_u32 v31, vcc_lo, s14, v3
	s_waitcnt lgkmcnt(0)
	s_lshl_b32 s29, s2, 3
	v_add_co_ci_u32_e64 v32, null, s15, v4, vcc_lo
	v_add_co_u32 v33, vcc_lo, s12, v7
	v_add3_u32 v10, v10, v14, v15
	s_mul_i32 s2, s11, s29
	s_mul_hi_u32 s3, s10, s29
	v_add_co_ci_u32_e64 v34, null, s13, v8, vcc_lo
	v_add_co_u32 v13, vcc_lo, v11, 4
	s_add_i32 s25, s3, s2
	v_add_co_u32 v35, s2, s14, v7
	v_add_co_ci_u32_e64 v7, null, 0, v12, vcc_lo
	v_lshlrev_b64 v[3:4], 1, v[9:10]
	v_add_co_u32 v9, vcc_lo, v11, 3
	v_add_co_ci_u32_e64 v10, null, 0, v12, vcc_lo
	v_add_co_ci_u32_e64 v36, null, s15, v8, s2
	v_mul_lo_u32 v14, s11, v13
	v_mul_lo_u32 v15, s10, v7
	v_mad_u64_u32 v[7:8], null, s10, v13, 0
	v_mul_lo_u32 v13, s11, v9
	v_mul_lo_u32 v16, s10, v10
	v_mad_u64_u32 v[9:10], null, s10, v9, 0
	v_add_co_u32 v37, vcc_lo, s12, v3
	v_add_co_ci_u32_e64 v38, null, s13, v4, vcc_lo
	v_add3_u32 v8, v8, v15, v14
	v_add_co_u32 v39, vcc_lo, s14, v3
	v_add_co_ci_u32_e64 v40, null, s15, v4, vcc_lo
	v_add_co_u32 v11, vcc_lo, v11, 2
	v_add3_u32 v10, v10, v16, v13
	v_add_co_ci_u32_e64 v12, null, 0, v12, vcc_lo
	v_lshlrev_b64 v[3:4], 1, v[7:8]
	v_mul_lo_u32 v13, s11, v11
	v_lshlrev_b64 v[7:8], 1, v[9:10]
	v_mul_lo_u32 v12, s10, v12
	v_mad_u64_u32 v[9:10], null, s10, v11, 0
	v_add_co_u32 v41, vcc_lo, s12, v3
	v_add_co_ci_u32_e64 v42, null, s13, v4, vcc_lo
	v_add_co_u32 v43, vcc_lo, s14, v3
	v_add_co_ci_u32_e64 v44, null, s15, v4, vcc_lo
	;; [unrolled: 2-line block ×3, first 2 shown]
	v_add3_u32 v10, v10, v12, v13
	v_add_co_u32 v47, vcc_lo, s14, v7
	v_add_co_ci_u32_e64 v48, null, s15, v8, vcc_lo
	v_add_co_u32 v5, vcc_lo, v5, s10
	v_add_co_ci_u32_e64 v6, null, s11, v6, vcc_lo
	v_lshlrev_b64 v[3:4], 1, v[9:10]
	s_mul_i32 s24, s10, s29
	v_lshlrev_b64 v[5:6], 1, v[5:6]
	s_lshl_b64 s[2:3], s[24:25], 1
	s_mov_b64 s[24:25], 7
	v_add_co_u32 v49, vcc_lo, s12, v3
	v_add_co_ci_u32_e64 v50, null, s13, v4, vcc_lo
	v_add_co_u32 v51, vcc_lo, s14, v3
	v_add_co_ci_u32_e64 v52, null, s15, v4, vcc_lo
	;; [unrolled: 2-line block ×4, first 2 shown]
.LBB99_3:                               ; =>This Inner Loop Header: Depth=1
	s_add_u32 s30, s20, s24
	s_addc_u32 s31, 0, s25
	v_add_co_u32 v21, vcc_lo, s20, v23
	v_cmp_ge_i64_e64 s30, s[30:31], s[8:9]
	v_add_co_ci_u32_e64 v22, null, 0, v24, vcc_lo
                                        ; implicit-def: $vgpr11_vgpr12_vgpr13_vgpr14_vgpr15_vgpr16_vgpr17_vgpr18
                                        ; implicit-def: $vgpr3_vgpr4_vgpr5_vgpr6_vgpr7_vgpr8_vgpr9_vgpr10
                                        ; implicit-def: $vgpr60
                                        ; implicit-def: $vgpr3
                                        ; implicit-def: $vgpr11
                                        ; implicit-def: $vgpr4
	s_and_b32 vcc_lo, exec_lo, s30
	s_mov_b32 s30, -1
	s_cbranch_vccz .LBB99_25
; %bb.4:                                ;   in Loop: Header=BB99_3 Depth=1
	s_load_dword s30, s[22:23], 0xc
	v_mov_b32_e32 v60, 0
	v_mov_b32_e32 v59, 0
	s_waitcnt lgkmcnt(0)
	s_and_b32 s30, s30, 0xffff
	v_mad_u32_u24 v3, v1, s30, v0
	s_mov_b32 s30, exec_lo
	v_and_b32_e32 v3, 31, v3
	v_cmpx_gt_u32_e32 8, v3
	s_cbranch_execz .LBB99_8
; %bb.5:                                ;   in Loop: Header=BB99_3 Depth=1
	v_add_co_u32 v3, vcc_lo, v21, v3
	v_add_co_ci_u32_e64 v4, null, 0, v22, vcc_lo
	v_mov_b32_e32 v59, 0
	v_mov_b32_e32 v60, 0
	s_mov_b32 s31, exec_lo
	v_cmpx_gt_i64_e64 s[8:9], v[3:4]
	s_cbranch_execz .LBB99_7
; %bb.6:                                ;   in Loop: Header=BB99_3 Depth=1
	v_lshlrev_b64 v[3:4], 2, v[3:4]
	v_add_co_u32 v5, vcc_lo, s16, v3
	v_add_co_ci_u32_e64 v6, null, s17, v4, vcc_lo
	v_add_co_u32 v3, vcc_lo, s18, v3
	v_add_co_ci_u32_e64 v4, null, s19, v4, vcc_lo
	global_load_dword v59, v[5:6], off
	global_load_dword v60, v[3:4], off
.LBB99_7:                               ;   in Loop: Header=BB99_3 Depth=1
	s_or_b32 exec_lo, exec_lo, s31
.LBB99_8:                               ;   in Loop: Header=BB99_3 Depth=1
	s_or_b32 exec_lo, exec_lo, s30
	v_mov_b32_e32 v9, v2
	v_mov_b32_e32 v3, v2
	;; [unrolled: 1-line block ×7, first 2 shown]
	v_cmp_gt_i64_e32 vcc_lo, s[8:9], v[21:22]
	v_mov_b32_e32 v18, v9
	v_mov_b32_e32 v15, v6
	;; [unrolled: 1-line block ×16, first 2 shown]
	s_and_b32 s31, s1, vcc_lo
	s_and_saveexec_b32 s30, s31
	s_cbranch_execz .LBB99_10
; %bb.9:                                ;   in Loop: Header=BB99_3 Depth=1
	v_add_co_u32 v3, vcc_lo, v25, v19
	v_add_co_ci_u32_e64 v4, null, v26, v20, vcc_lo
	v_add_co_u32 v5, vcc_lo, v27, v19
	v_add_co_ci_u32_e64 v6, null, v28, v20, vcc_lo
	global_load_ushort v3, v[3:4], off
	global_load_ushort v11, v[5:6], off
	v_mov_b32_e32 v4, v2
	v_mov_b32_e32 v5, v2
	;; [unrolled: 1-line block ×14, first 2 shown]
	s_waitcnt vmcnt(1)
	v_lshlrev_b32_e32 v3, 16, v3
	s_waitcnt vmcnt(0)
	v_lshlrev_b32_e32 v11, 16, v11
.LBB99_10:                              ;   in Loop: Header=BB99_3 Depth=1
	s_or_b32 exec_lo, exec_lo, s30
	v_add_co_u32 v61, vcc_lo, v21, 1
	v_add_co_ci_u32_e64 v62, null, 0, v22, vcc_lo
	v_cmp_gt_i64_e32 vcc_lo, s[8:9], v[61:62]
	s_and_b32 s31, s1, vcc_lo
	s_and_saveexec_b32 s30, s31
	s_cbranch_execz .LBB99_12
; %bb.11:                               ;   in Loop: Header=BB99_3 Depth=1
	v_add_co_u32 v61, vcc_lo, v53, v19
	v_add_co_ci_u32_e64 v62, null, v54, v20, vcc_lo
	v_add_co_u32 v63, vcc_lo, v55, v19
	v_add_co_ci_u32_e64 v64, null, v57, v20, vcc_lo
	global_load_ushort v4, v[61:62], off
	global_load_ushort v12, v[63:64], off
	s_waitcnt vmcnt(1)
	v_lshlrev_b32_e32 v4, 16, v4
	s_waitcnt vmcnt(0)
	v_lshlrev_b32_e32 v12, 16, v12
.LBB99_12:                              ;   in Loop: Header=BB99_3 Depth=1
	s_or_b32 exec_lo, exec_lo, s30
	v_add_co_u32 v61, vcc_lo, v21, 2
	v_add_co_ci_u32_e64 v62, null, 0, v22, vcc_lo
	v_cmp_gt_i64_e32 vcc_lo, s[8:9], v[61:62]
	s_and_b32 s31, s1, vcc_lo
	s_and_saveexec_b32 s30, s31
	s_cbranch_execz .LBB99_14
; %bb.13:                               ;   in Loop: Header=BB99_3 Depth=1
	v_add_co_u32 v61, vcc_lo, v49, v19
	v_add_co_ci_u32_e64 v62, null, v50, v20, vcc_lo
	v_add_co_u32 v63, vcc_lo, v51, v19
	v_add_co_ci_u32_e64 v64, null, v52, v20, vcc_lo
	global_load_ushort v5, v[61:62], off
	global_load_ushort v13, v[63:64], off
	s_waitcnt vmcnt(1)
	v_lshlrev_b32_e32 v5, 16, v5
	s_waitcnt vmcnt(0)
	v_lshlrev_b32_e32 v13, 16, v13
.LBB99_14:                              ;   in Loop: Header=BB99_3 Depth=1
	;; [unrolled: 19-line block ×7, first 2 shown]
	s_or_b32 exec_lo, exec_lo, s30
	s_waitcnt vmcnt(1)
	ds_bpermute_b32 v61, v2, v59
	ds_bpermute_b32 v62, v2, v59 offset:4
	ds_bpermute_b32 v63, v2, v59 offset:8
	s_waitcnt vmcnt(0)
	ds_bpermute_b32 v64, v2, v60
	ds_bpermute_b32 v65, v2, v59 offset:12
	ds_bpermute_b32 v66, v2, v60 offset:4
	;; [unrolled: 1-line block ×7, first 2 shown]
	s_mov_b32 s30, 0
	s_waitcnt lgkmcnt(10)
	v_sub_f32_e32 v11, v11, v61
	v_add_f32_e32 v61, v56, v3
	s_waitcnt lgkmcnt(9)
	v_sub_f32_e32 v12, v12, v62
	ds_bpermute_b32 v62, v2, v60 offset:16
	s_waitcnt lgkmcnt(9)
	v_sub_f32_e32 v13, v13, v63
	v_mul_f32_e32 v3, v3, v11
	ds_bpermute_b32 v63, v2, v60 offset:20
	v_mul_f32_e32 v12, v4, v12
	v_add_f32_e32 v4, v4, v61
	v_mul_f32_e32 v13, v5, v13
	s_waitcnt lgkmcnt(9)
	v_fma_f32 v11, v3, v64, v58
	s_waitcnt lgkmcnt(8)
	v_sub_f32_e32 v3, v14, v65
	ds_bpermute_b32 v64, v2, v60 offset:24
	v_add_f32_e32 v4, v5, v4
	ds_bpermute_b32 v60, v2, v60 offset:28
	s_waitcnt lgkmcnt(9)
	v_fmac_f32_e32 v11, v12, v66
	s_waitcnt lgkmcnt(8)
	v_sub_f32_e32 v12, v15, v67
	v_mul_f32_e32 v14, v6, v3
	ds_bpermute_b32 v3, v2, v59 offset:28
	s_waitcnt lgkmcnt(6)
	v_sub_f32_e32 v5, v16, v70
	v_fmac_f32_e32 v11, v13, v68
	v_mul_f32_e32 v12, v7, v12
	v_add_f32_e32 v4, v6, v4
	s_waitcnt lgkmcnt(5)
	v_sub_f32_e32 v6, v17, v71
	v_mul_f32_e32 v5, v8, v5
	v_fmac_f32_e32 v11, v14, v69
	v_add_f32_e32 v4, v7, v4
	v_mul_f32_e32 v6, v9, v6
	s_waitcnt lgkmcnt(4)
	v_fmac_f32_e32 v11, v12, v62
	v_add_f32_e32 v4, v8, v4
	s_waitcnt lgkmcnt(3)
	v_fmac_f32_e32 v11, v5, v63
	v_add_f32_e32 v4, v9, v4
	s_waitcnt lgkmcnt(2)
	v_fmac_f32_e32 v11, v6, v64
.LBB99_25:                              ;   in Loop: Header=BB99_3 Depth=1
	s_and_b32 vcc_lo, exec_lo, s30
	s_cbranch_vccz .LBB99_40
; %bb.26:                               ;   in Loop: Header=BB99_3 Depth=1
	s_load_dword s30, s[22:23], 0x0
	s_waitcnt lgkmcnt(0)
	v_mov_b32_e32 v60, 0
	v_mov_b32_e32 v59, 0
	s_cmp_lt_u32 s6, s30
	s_cselect_b32 s30, 12, 18
	s_add_u32 s30, s22, s30
	s_addc_u32 s31, s23, 0
	global_load_ushort v3, v2, s[30:31]
	s_mov_b32 s30, exec_lo
	s_waitcnt vmcnt(0)
	v_mad_u32_u24 v3, v1, v3, v0
	v_and_b32_e32 v3, 31, v3
	v_cmpx_gt_u32_e32 8, v3
	s_cbranch_execz .LBB99_30
; %bb.27:                               ;   in Loop: Header=BB99_3 Depth=1
	v_add_co_u32 v3, vcc_lo, v21, v3
	v_add_co_ci_u32_e64 v4, null, 0, v22, vcc_lo
	v_mov_b32_e32 v59, 0
	v_mov_b32_e32 v60, 0
	s_mov_b32 s31, exec_lo
	v_cmpx_gt_i64_e64 s[8:9], v[3:4]
	s_cbranch_execz .LBB99_29
; %bb.28:                               ;   in Loop: Header=BB99_3 Depth=1
	v_lshlrev_b64 v[3:4], 2, v[3:4]
	v_add_co_u32 v5, vcc_lo, s16, v3
	v_add_co_ci_u32_e64 v6, null, s17, v4, vcc_lo
	v_add_co_u32 v3, vcc_lo, s18, v3
	v_add_co_ci_u32_e64 v4, null, s19, v4, vcc_lo
	global_load_dword v59, v[5:6], off
	global_load_dword v60, v[3:4], off
.LBB99_29:                              ;   in Loop: Header=BB99_3 Depth=1
	s_or_b32 exec_lo, exec_lo, s31
.LBB99_30:                              ;   in Loop: Header=BB99_3 Depth=1
	s_or_b32 exec_lo, exec_lo, s30
	v_mov_b32_e32 v9, v2
	v_mov_b32_e32 v3, v2
	;; [unrolled: 1-line block ×23, first 2 shown]
	s_and_saveexec_b32 s30, s1
	s_cbranch_execnz .LBB99_42
; %bb.31:                               ;   in Loop: Header=BB99_3 Depth=1
	s_or_b32 exec_lo, exec_lo, s30
	s_and_saveexec_b32 s30, s1
	s_cbranch_execnz .LBB99_43
.LBB99_32:                              ;   in Loop: Header=BB99_3 Depth=1
	s_or_b32 exec_lo, exec_lo, s30
	s_and_saveexec_b32 s30, s1
	s_cbranch_execnz .LBB99_44
.LBB99_33:                              ;   in Loop: Header=BB99_3 Depth=1
	s_or_b32 exec_lo, exec_lo, s30
	s_and_saveexec_b32 s30, s1
	s_cbranch_execnz .LBB99_45
.LBB99_34:                              ;   in Loop: Header=BB99_3 Depth=1
	s_or_b32 exec_lo, exec_lo, s30
	s_and_saveexec_b32 s30, s1
	s_cbranch_execnz .LBB99_46
.LBB99_35:                              ;   in Loop: Header=BB99_3 Depth=1
	s_or_b32 exec_lo, exec_lo, s30
	s_and_saveexec_b32 s30, s1
	s_cbranch_execnz .LBB99_47
.LBB99_36:                              ;   in Loop: Header=BB99_3 Depth=1
	s_or_b32 exec_lo, exec_lo, s30
	s_and_saveexec_b32 s30, s1
	s_cbranch_execnz .LBB99_48
.LBB99_37:                              ;   in Loop: Header=BB99_3 Depth=1
	s_or_b32 exec_lo, exec_lo, s30
	s_and_saveexec_b32 s30, s1
	s_cbranch_execz .LBB99_39
.LBB99_38:                              ;   in Loop: Header=BB99_3 Depth=1
	v_add_co_u32 v21, vcc_lo, v29, v19
	v_add_co_ci_u32_e64 v22, null, v30, v20, vcc_lo
	v_add_co_u32 v61, vcc_lo, v31, v19
	v_add_co_ci_u32_e64 v62, null, v32, v20, vcc_lo
	global_load_ushort v10, v[21:22], off
	global_load_ushort v18, v[61:62], off
	s_waitcnt vmcnt(1)
	v_lshlrev_b32_e32 v10, 16, v10
	s_waitcnt vmcnt(0)
	v_lshlrev_b32_e32 v18, 16, v18
.LBB99_39:                              ;   in Loop: Header=BB99_3 Depth=1
	s_or_b32 exec_lo, exec_lo, s30
	s_waitcnt vmcnt(1)
	ds_bpermute_b32 v21, v2, v59
	ds_bpermute_b32 v22, v2, v59 offset:4
	ds_bpermute_b32 v61, v2, v59 offset:8
	s_waitcnt vmcnt(0)
	ds_bpermute_b32 v62, v2, v60
	ds_bpermute_b32 v63, v2, v59 offset:12
	ds_bpermute_b32 v64, v2, v60 offset:4
	;; [unrolled: 1-line block ×5, first 2 shown]
	s_waitcnt lgkmcnt(8)
	v_sub_f32_e32 v11, v11, v21
	ds_bpermute_b32 v21, v2, v60 offset:12
	s_waitcnt lgkmcnt(8)
	v_sub_f32_e32 v12, v12, v22
	ds_bpermute_b32 v22, v2, v60 offset:16
	s_waitcnt lgkmcnt(8)
	v_sub_f32_e32 v13, v13, v61
	v_mul_f32_e32 v11, v3, v11
	v_add_f32_e32 v3, v56, v3
	v_mul_f32_e32 v12, v4, v12
	ds_bpermute_b32 v56, v2, v60 offset:20
	s_waitcnt lgkmcnt(7)
	v_sub_f32_e32 v14, v14, v63
	v_fmac_f32_e32 v58, v11, v62
	ds_bpermute_b32 v11, v2, v59 offset:24
	v_mul_f32_e32 v13, v5, v13
	v_add_f32_e32 v3, v4, v3
	s_waitcnt lgkmcnt(6)
	v_sub_f32_e32 v4, v15, v65
	v_fmac_f32_e32 v58, v12, v64
	v_mul_f32_e32 v12, v6, v14
	s_waitcnt lgkmcnt(4)
	v_sub_f32_e32 v14, v16, v67
	v_add_f32_e32 v5, v5, v3
	v_mul_f32_e32 v4, v7, v4
	v_fmac_f32_e32 v58, v13, v66
	ds_bpermute_b32 v13, v2, v60 offset:24
	ds_bpermute_b32 v60, v2, v60 offset:28
	;; [unrolled: 1-line block ×3, first 2 shown]
	v_add_f32_e32 v5, v6, v5
	s_waitcnt lgkmcnt(6)
	v_fmac_f32_e32 v58, v12, v21
	v_mul_f32_e32 v6, v8, v14
	v_add_f32_e32 v5, v7, v5
	s_waitcnt lgkmcnt(5)
	v_fmac_f32_e32 v58, v4, v22
	s_waitcnt lgkmcnt(3)
	v_sub_f32_e32 v4, v17, v11
	v_add_f32_e32 v5, v8, v5
	v_fmac_f32_e32 v58, v6, v56
	v_mul_f32_e32 v4, v9, v4
	s_waitcnt lgkmcnt(2)
	v_fmac_f32_e32 v58, v4, v13
	v_add_f32_e32 v4, v9, v5
	v_mov_b32_e32 v11, v58
.LBB99_40:                              ;   in Loop: Header=BB99_3 Depth=1
	v_add_co_u32 v25, vcc_lo, v25, s2
	v_add_co_ci_u32_e64 v26, null, s3, v26, vcc_lo
	v_add_co_u32 v27, vcc_lo, v27, s2
	v_add_co_ci_u32_e64 v28, null, s3, v28, vcc_lo
	;; [unrolled: 2-line block ×11, first 2 shown]
	v_add_co_u32 v47, vcc_lo, v47, s2
	s_waitcnt lgkmcnt(0)
	v_sub_f32_e32 v3, v18, v3
	v_add_co_ci_u32_e64 v48, null, s3, v48, vcc_lo
	v_add_co_u32 v49, vcc_lo, v49, s2
	v_add_co_ci_u32_e64 v50, null, s3, v50, vcc_lo
	v_add_co_u32 v51, vcc_lo, v51, s2
	s_add_u32 s26, s26, s29
	v_add_co_ci_u32_e64 v52, null, s3, v52, vcc_lo
	v_add_co_u32 v53, vcc_lo, v53, s2
	v_mul_f32_e32 v3, v10, v3
	s_addc_u32 s27, s27, 0
	v_add_co_ci_u32_e64 v54, null, s3, v54, vcc_lo
	v_add_co_u32 v55, vcc_lo, v55, s2
	v_cmp_lt_i64_e64 s30, s[26:27], s[8:9]
	v_add_co_ci_u32_e64 v57, null, s3, v57, vcc_lo
	v_add_co_u32 v23, vcc_lo, v23, s29
	v_add_f32_e32 v56, v4, v10
	v_fmac_f32_e32 v11, v3, v60
	v_add_co_ci_u32_e64 v24, null, 0, v24, vcc_lo
	s_add_u32 s24, s24, s29
	s_addc_u32 s25, 0, s25
	s_and_b32 vcc_lo, exec_lo, s30
	s_cbranch_vccz .LBB99_50
; %bb.41:                               ;   in Loop: Header=BB99_3 Depth=1
	v_mov_b32_e32 v58, v11
	s_branch .LBB99_3
.LBB99_42:                              ;   in Loop: Header=BB99_3 Depth=1
	v_add_co_u32 v3, vcc_lo, v25, v19
	v_add_co_ci_u32_e64 v4, null, v26, v20, vcc_lo
	v_add_co_u32 v5, vcc_lo, v27, v19
	v_add_co_ci_u32_e64 v6, null, v28, v20, vcc_lo
	global_load_ushort v3, v[3:4], off
	global_load_ushort v11, v[5:6], off
	v_mov_b32_e32 v4, v2
	v_mov_b32_e32 v5, v2
	;; [unrolled: 1-line block ×14, first 2 shown]
	s_waitcnt vmcnt(1)
	v_lshlrev_b32_e32 v3, 16, v3
	s_waitcnt vmcnt(0)
	v_lshlrev_b32_e32 v11, 16, v11
	s_or_b32 exec_lo, exec_lo, s30
	s_and_saveexec_b32 s30, s1
	s_cbranch_execz .LBB99_32
.LBB99_43:                              ;   in Loop: Header=BB99_3 Depth=1
	v_add_co_u32 v21, vcc_lo, v53, v19
	v_add_co_ci_u32_e64 v22, null, v54, v20, vcc_lo
	v_add_co_u32 v61, vcc_lo, v55, v19
	v_add_co_ci_u32_e64 v62, null, v57, v20, vcc_lo
	global_load_ushort v4, v[21:22], off
	global_load_ushort v12, v[61:62], off
	s_waitcnt vmcnt(1)
	v_lshlrev_b32_e32 v4, 16, v4
	s_waitcnt vmcnt(0)
	v_lshlrev_b32_e32 v12, 16, v12
	s_or_b32 exec_lo, exec_lo, s30
	s_and_saveexec_b32 s30, s1
	s_cbranch_execz .LBB99_33
.LBB99_44:                              ;   in Loop: Header=BB99_3 Depth=1
	v_add_co_u32 v21, vcc_lo, v49, v19
	v_add_co_ci_u32_e64 v22, null, v50, v20, vcc_lo
	v_add_co_u32 v61, vcc_lo, v51, v19
	v_add_co_ci_u32_e64 v62, null, v52, v20, vcc_lo
	global_load_ushort v5, v[21:22], off
	global_load_ushort v13, v[61:62], off
	s_waitcnt vmcnt(1)
	v_lshlrev_b32_e32 v5, 16, v5
	s_waitcnt vmcnt(0)
	v_lshlrev_b32_e32 v13, 16, v13
	s_or_b32 exec_lo, exec_lo, s30
	s_and_saveexec_b32 s30, s1
	s_cbranch_execz .LBB99_34
.LBB99_45:                              ;   in Loop: Header=BB99_3 Depth=1
	v_add_co_u32 v21, vcc_lo, v45, v19
	v_add_co_ci_u32_e64 v22, null, v46, v20, vcc_lo
	v_add_co_u32 v61, vcc_lo, v47, v19
	v_add_co_ci_u32_e64 v62, null, v48, v20, vcc_lo
	global_load_ushort v6, v[21:22], off
	global_load_ushort v14, v[61:62], off
	s_waitcnt vmcnt(1)
	v_lshlrev_b32_e32 v6, 16, v6
	s_waitcnt vmcnt(0)
	v_lshlrev_b32_e32 v14, 16, v14
	s_or_b32 exec_lo, exec_lo, s30
	s_and_saveexec_b32 s30, s1
	s_cbranch_execz .LBB99_35
.LBB99_46:                              ;   in Loop: Header=BB99_3 Depth=1
	v_add_co_u32 v21, vcc_lo, v41, v19
	v_add_co_ci_u32_e64 v22, null, v42, v20, vcc_lo
	v_add_co_u32 v61, vcc_lo, v43, v19
	v_add_co_ci_u32_e64 v62, null, v44, v20, vcc_lo
	global_load_ushort v7, v[21:22], off
	global_load_ushort v15, v[61:62], off
	s_waitcnt vmcnt(1)
	v_lshlrev_b32_e32 v7, 16, v7
	s_waitcnt vmcnt(0)
	v_lshlrev_b32_e32 v15, 16, v15
	s_or_b32 exec_lo, exec_lo, s30
	s_and_saveexec_b32 s30, s1
	s_cbranch_execz .LBB99_36
.LBB99_47:                              ;   in Loop: Header=BB99_3 Depth=1
	v_add_co_u32 v21, vcc_lo, v37, v19
	v_add_co_ci_u32_e64 v22, null, v38, v20, vcc_lo
	v_add_co_u32 v61, vcc_lo, v39, v19
	v_add_co_ci_u32_e64 v62, null, v40, v20, vcc_lo
	global_load_ushort v8, v[21:22], off
	global_load_ushort v16, v[61:62], off
	s_waitcnt vmcnt(1)
	v_lshlrev_b32_e32 v8, 16, v8
	s_waitcnt vmcnt(0)
	v_lshlrev_b32_e32 v16, 16, v16
	s_or_b32 exec_lo, exec_lo, s30
	s_and_saveexec_b32 s30, s1
	s_cbranch_execz .LBB99_37
.LBB99_48:                              ;   in Loop: Header=BB99_3 Depth=1
	v_add_co_u32 v21, vcc_lo, v33, v19
	v_add_co_ci_u32_e64 v22, null, v34, v20, vcc_lo
	v_add_co_u32 v61, vcc_lo, v35, v19
	v_add_co_ci_u32_e64 v62, null, v36, v20, vcc_lo
	global_load_ushort v9, v[21:22], off
	global_load_ushort v17, v[61:62], off
	s_waitcnt vmcnt(1)
	v_lshlrev_b32_e32 v9, 16, v9
	s_waitcnt vmcnt(0)
	v_lshlrev_b32_e32 v17, 16, v17
	s_or_b32 exec_lo, exec_lo, s30
	s_and_saveexec_b32 s30, s1
	s_cbranch_execnz .LBB99_38
	s_branch .LBB99_39
.LBB99_49:
                                        ; implicit-def: $vgpr11
                                        ; implicit-def: $vgpr56
	s_branch .LBB99_51
.LBB99_50:
	s_cbranch_execnz .LBB99_83
.LBB99_51:
	v_mov_b32_e32 v11, 0
	v_mov_b32_e32 v56, 0
	s_andn2_b32 vcc_lo, exec_lo, s28
	s_cbranch_vccnz .LBB99_83
; %bb.52:
	v_lshlrev_b32_e32 v51, 3, v1
	v_lshlrev_b32_e32 v4, 4, v1
	s_add_u32 s2, s4, 64
	s_addc_u32 s3, s5, 0
	s_lshl_b64 s[22:23], s[20:21], 1
	v_add_co_u32 v10, s1, v51, s20
	v_add_co_ci_u32_e64 v11, null, 0, 0, s1
	v_add_co_u32 v7, s1, v4, s22
	v_mul_lo_u32 v5, s11, v10
	v_mul_lo_u32 v6, s10, v11
	v_mad_u64_u32 v[2:3], null, s10, v10, 0
	v_add_co_ci_u32_e64 v8, null, 0, s23, s1
	v_mov_b32_e32 v87, 0
	v_mov_b32_e32 v86, 0
	s_mov_b64 s[22:23], s[20:21]
	v_add3_u32 v3, v3, v6, v5
	v_add_co_u32 v6, vcc_lo, v7, 2
	v_add_co_ci_u32_e64 v9, null, 0, v8, vcc_lo
	v_lshlrev_b64 v[4:5], 1, v[2:3]
	v_mad_u64_u32 v[19:20], null, s10, v6, s[12:13]
	v_mul_lo_u32 v9, s10, v9
	v_mul_lo_u32 v12, s11, v6
	v_mad_u64_u32 v[33:34], null, s10, v6, s[14:15]
	v_add_co_u32 v52, vcc_lo, s12, v4
	v_add_co_ci_u32_e64 v53, null, s13, v5, vcc_lo
	v_add_co_u32 v54, vcc_lo, s14, v4
	v_add_co_ci_u32_e64 v55, null, s15, v5, vcc_lo
	;; [unrolled: 2-line block ×4, first 2 shown]
	v_add_co_u32 v16, vcc_lo, v7, 8
	v_mad_u64_u32 v[21:22], null, s10, v4, s[12:13]
	v_mul_lo_u32 v5, s10, v5
	v_mul_lo_u32 v15, s11, v4
	v_add_co_ci_u32_e64 v18, null, 0, v8, vcc_lo
	v_add_co_u32 v41, vcc_lo, v7, 10
	v_mad_u64_u32 v[35:36], null, s10, v4, s[14:15]
	v_add_co_ci_u32_e64 v29, null, 0, v8, vcc_lo
	v_add_co_u32 v44, vcc_lo, v7, 12
	v_add_co_ci_u32_e64 v31, null, 0, v8, vcc_lo
	v_add_co_u32 v7, vcc_lo, v7, 14
	;; [unrolled: 2-line block ×3, first 2 shown]
	v_add3_u32 v22, v15, v22, v5
	v_add3_u32 v36, v15, v36, v5
	v_add_co_ci_u32_e64 v5, null, 0, v11, vcc_lo
	v_add3_u32 v20, v12, v20, v9
	v_add3_u32 v34, v12, v34, v9
	v_mul_lo_u32 v6, s11, v4
	v_mul_lo_u32 v9, s10, v5
	v_mad_u64_u32 v[4:5], null, s10, v4, 0
	v_mul_lo_u32 v49, s10, v31
	v_mad_u64_u32 v[31:32], null, s10, v7, s[12:13]
	v_mul_lo_u32 v8, s10, v8
	v_mul_lo_u32 v56, s11, v7
	v_mad_u64_u32 v[45:46], null, s10, v7, s[14:15]
	v_add3_u32 v5, v5, v9, v6
	v_add_co_u32 v6, vcc_lo, v10, 6
	v_add_co_ci_u32_e64 v7, null, 0, v11, vcc_lo
	v_mad_u64_u32 v[23:24], null, s10, v13, s[12:13]
	v_mul_lo_u32 v14, s10, v14
	v_mul_lo_u32 v17, s11, v13
	v_add3_u32 v32, v56, v32, v8
	v_mad_u64_u32 v[37:38], null, s10, v13, s[14:15]
	v_add3_u32 v46, v56, v46, v8
	v_mul_lo_u32 v8, s11, v6
	v_mul_lo_u32 v9, s10, v7
	v_mad_u64_u32 v[6:7], null, s10, v6, 0
	v_lshlrev_b64 v[4:5], 1, v[4:5]
	v_add_co_u32 v12, vcc_lo, v10, 5
	v_add_co_ci_u32_e64 v13, null, 0, v11, vcc_lo
	v_add3_u32 v24, v17, v24, v14
	v_add_co_u32 v57, vcc_lo, s12, v4
	v_add3_u32 v38, v17, v38, v14
	v_add3_u32 v7, v7, v9, v8
	v_mul_lo_u32 v14, s11, v12
	v_mul_lo_u32 v13, s10, v13
	v_mad_u64_u32 v[8:9], null, s10, v12, 0
	v_add_co_ci_u32_e64 v58, null, s13, v5, vcc_lo
	v_add_co_u32 v12, vcc_lo, v10, 4
	v_add_co_ci_u32_e64 v15, null, 0, v11, vcc_lo
	v_add_co_u32 v59, vcc_lo, s14, v4
	v_add_co_ci_u32_e64 v60, null, s15, v5, vcc_lo
	v_lshlrev_b64 v[4:5], 1, v[6:7]
	v_add3_u32 v9, v9, v13, v14
	v_mul_lo_u32 v13, s11, v12
	v_mul_lo_u32 v14, s10, v15
	v_mad_u64_u32 v[6:7], null, s10, v12, 0
	v_lshlrev_b64 v[8:9], 1, v[8:9]
	v_add_co_u32 v61, vcc_lo, s12, v4
	v_add_co_ci_u32_e64 v62, null, s13, v5, vcc_lo
	v_add_co_u32 v63, vcc_lo, s14, v4
	v_add3_u32 v7, v7, v14, v13
	v_add_co_ci_u32_e64 v64, null, s15, v5, vcc_lo
	v_add_co_u32 v65, vcc_lo, s12, v8
	v_add_co_ci_u32_e64 v66, null, s13, v9, vcc_lo
	v_lshlrev_b64 v[4:5], 1, v[6:7]
	v_add_co_u32 v6, vcc_lo, v10, 3
	v_add_co_ci_u32_e64 v7, null, 0, v11, vcc_lo
	v_add_co_u32 v67, s1, s14, v8
	v_add_co_u32 v8, vcc_lo, v10, 2
	v_add_co_ci_u32_e64 v68, null, s15, v9, s1
	v_mul_lo_u32 v12, s11, v6
	v_add_co_ci_u32_e64 v9, null, 0, v11, vcc_lo
	v_mul_lo_u32 v10, s10, v7
	v_mad_u64_u32 v[6:7], null, s10, v6, 0
	v_mul_lo_u32 v11, s11, v8
	v_mul_lo_u32 v13, s10, v9
	v_mad_u64_u32 v[8:9], null, s10, v8, 0
	v_add_co_u32 v69, vcc_lo, s12, v4
	v_add3_u32 v7, v7, v10, v12
	s_load_dword s1, s[4:5], 0x44
	v_add_co_ci_u32_e64 v70, null, s13, v5, vcc_lo
	v_add_co_u32 v71, vcc_lo, s14, v4
	v_add_co_ci_u32_e64 v72, null, s15, v5, vcc_lo
	v_lshlrev_b64 v[4:5], 1, v[6:7]
	v_add3_u32 v9, v9, v13, v11
	v_add_co_u32 v2, vcc_lo, v2, s10
	v_mad_u64_u32 v[25:26], null, s10, v16, s[12:13]
	v_mul_lo_u32 v18, s10, v18
	v_mul_lo_u32 v43, s11, v16
	v_mad_u64_u32 v[39:40], null, s10, v16, s[14:15]
	v_add_co_ci_u32_e64 v3, null, s11, v3, vcc_lo
	v_lshlrev_b64 v[6:7], 1, v[8:9]
	v_add_co_u32 v73, vcc_lo, s12, v4
	v_add_co_ci_u32_e64 v74, null, s13, v5, vcc_lo
	v_add_co_u32 v75, vcc_lo, s14, v4
	v_lshlrev_b64 v[3:4], 1, v[2:3]
	v_mov_b32_e32 v2, 0
	v_mad_u64_u32 v[27:28], null, s10, v41, s[12:13]
	v_mul_lo_u32 v47, s10, v29
	v_mul_lo_u32 v48, s11, v41
	v_mad_u64_u32 v[41:42], null, s10, v41, s[14:15]
	v_mad_u64_u32 v[29:30], null, s10, v44, s[12:13]
	v_mul_lo_u32 v50, s11, v44
	v_add3_u32 v26, v43, v26, v18
	v_add3_u32 v40, v43, v40, v18
	v_mad_u64_u32 v[43:44], null, s10, v44, s[14:15]
	v_add_co_ci_u32_e64 v76, null, s15, v5, vcc_lo
	v_add_co_u32 v77, vcc_lo, s12, v6
	v_add_co_ci_u32_e64 v78, null, s13, v7, vcc_lo
	v_add_co_u32 v79, vcc_lo, s14, v6
	v_add_nc_u32_e32 v5, s7, v0
	v_mov_b32_e32 v6, v2
	v_add_co_ci_u32_e64 v80, null, s15, v7, vcc_lo
	v_add_co_u32 v81, vcc_lo, s12, v3
	s_waitcnt lgkmcnt(0)
	s_lshl_b32 s24, s1, 3
	v_add_co_ci_u32_e64 v82, null, s13, v4, vcc_lo
	v_add_co_u32 v83, vcc_lo, s14, v3
	v_add3_u32 v28, v48, v28, v47
	v_add3_u32 v42, v48, v42, v47
	s_mul_i32 s1, s11, s24
	s_mul_hi_u32 s7, s10, s24
	v_lshlrev_b64 v[47:48], 1, v[5:6]
	v_add3_u32 v30, v50, v30, v49
	v_add3_u32 v44, v50, v44, v49
	v_add_co_ci_u32_e64 v84, null, s15, v4, vcc_lo
	v_mov_b32_e32 v85, v2
	s_add_i32 s13, s7, s1
	s_mul_i32 s12, s10, s24
	s_mov_b64 s[14:15], 7
	s_lshl_b64 s[12:13], s[12:13], 1
.LBB99_53:                              ; =>This Inner Loop Header: Depth=1
	s_add_u32 s26, s20, s14
	s_addc_u32 s27, 0, s15
	v_add_co_u32 v49, vcc_lo, s20, v51
	v_cmp_ge_i64_e64 s1, s[26:27], s[8:9]
	v_add_co_ci_u32_e64 v50, null, 0, v85, vcc_lo
                                        ; implicit-def: $vgpr56
                                        ; implicit-def: $vgpr11
	s_and_b32 vcc_lo, exec_lo, s1
	s_mov_b32 s1, -1
	s_cbranch_vccz .LBB99_75
; %bb.54:                               ;   in Loop: Header=BB99_53 Depth=1
	s_load_dword s1, s[2:3], 0xc
	v_mov_b32_e32 v88, 0
	v_mov_b32_e32 v56, 0
	s_waitcnt lgkmcnt(0)
	s_and_b32 s1, s1, 0xffff
	v_mad_u32_u24 v3, v1, s1, v0
	s_mov_b32 s1, exec_lo
	v_and_b32_e32 v3, 31, v3
	v_cmpx_gt_u32_e32 8, v3
	s_cbranch_execz .LBB99_58
; %bb.55:                               ;   in Loop: Header=BB99_53 Depth=1
	v_add_co_u32 v3, vcc_lo, v49, v3
	v_add_co_ci_u32_e64 v4, null, 0, v50, vcc_lo
	v_mov_b32_e32 v56, 0
	v_mov_b32_e32 v88, 0
	s_mov_b32 s7, exec_lo
	v_cmpx_gt_i64_e64 s[8:9], v[3:4]
	s_cbranch_execz .LBB99_57
; %bb.56:                               ;   in Loop: Header=BB99_53 Depth=1
	v_lshlrev_b64 v[3:4], 2, v[3:4]
	v_add_co_u32 v5, vcc_lo, s16, v3
	v_add_co_ci_u32_e64 v6, null, s17, v4, vcc_lo
	v_add_co_u32 v3, vcc_lo, s18, v3
	v_add_co_ci_u32_e64 v4, null, s19, v4, vcc_lo
	global_load_dword v56, v[5:6], off
	global_load_dword v88, v[3:4], off
.LBB99_57:                              ;   in Loop: Header=BB99_53 Depth=1
	s_or_b32 exec_lo, exec_lo, s7
.LBB99_58:                              ;   in Loop: Header=BB99_53 Depth=1
	s_or_b32 exec_lo, exec_lo, s1
	v_mov_b32_e32 v9, v2
	v_mov_b32_e32 v3, v2
	;; [unrolled: 1-line block ×23, first 2 shown]
	s_mov_b32 s1, exec_lo
	v_cmpx_gt_i64_e64 s[8:9], v[49:50]
	s_cbranch_execz .LBB99_60
; %bb.59:                               ;   in Loop: Header=BB99_53 Depth=1
	v_add_co_u32 v3, vcc_lo, v52, v47
	v_add_co_ci_u32_e64 v4, null, v53, v48, vcc_lo
	v_add_co_u32 v5, vcc_lo, v54, v47
	v_add_co_ci_u32_e64 v6, null, v55, v48, vcc_lo
	global_load_ushort v3, v[3:4], off
	global_load_ushort v11, v[5:6], off
	v_mov_b32_e32 v4, v2
	v_mov_b32_e32 v5, v2
	;; [unrolled: 1-line block ×14, first 2 shown]
	s_waitcnt vmcnt(1)
	v_lshlrev_b32_e32 v3, 16, v3
	s_waitcnt vmcnt(0)
	v_lshlrev_b32_e32 v11, 16, v11
.LBB99_60:                              ;   in Loop: Header=BB99_53 Depth=1
	s_or_b32 exec_lo, exec_lo, s1
	v_add_co_u32 v89, vcc_lo, v49, 1
	v_add_co_ci_u32_e64 v90, null, 0, v50, vcc_lo
	s_mov_b32 s1, exec_lo
	v_cmpx_gt_i64_e64 s[8:9], v[89:90]
	s_cbranch_execz .LBB99_62
; %bb.61:                               ;   in Loop: Header=BB99_53 Depth=1
	v_add_co_u32 v89, vcc_lo, v81, v47
	v_add_co_ci_u32_e64 v90, null, v82, v48, vcc_lo
	v_add_co_u32 v91, vcc_lo, v83, v47
	v_add_co_ci_u32_e64 v92, null, v84, v48, vcc_lo
	global_load_ushort v4, v[89:90], off
	global_load_ushort v12, v[91:92], off
	s_waitcnt vmcnt(1)
	v_lshlrev_b32_e32 v4, 16, v4
	s_waitcnt vmcnt(0)
	v_lshlrev_b32_e32 v12, 16, v12
.LBB99_62:                              ;   in Loop: Header=BB99_53 Depth=1
	s_or_b32 exec_lo, exec_lo, s1
	v_add_co_u32 v89, vcc_lo, v49, 2
	v_add_co_ci_u32_e64 v90, null, 0, v50, vcc_lo
	s_mov_b32 s1, exec_lo
	v_cmpx_gt_i64_e64 s[8:9], v[89:90]
	s_cbranch_execz .LBB99_64
; %bb.63:                               ;   in Loop: Header=BB99_53 Depth=1
	v_add_co_u32 v89, vcc_lo, v77, v47
	v_add_co_ci_u32_e64 v90, null, v78, v48, vcc_lo
	v_add_co_u32 v91, vcc_lo, v79, v47
	v_add_co_ci_u32_e64 v92, null, v80, v48, vcc_lo
	global_load_ushort v5, v[89:90], off
	global_load_ushort v13, v[91:92], off
	s_waitcnt vmcnt(1)
	v_lshlrev_b32_e32 v5, 16, v5
	s_waitcnt vmcnt(0)
	v_lshlrev_b32_e32 v13, 16, v13
.LBB99_64:                              ;   in Loop: Header=BB99_53 Depth=1
	;; [unrolled: 18-line block ×7, first 2 shown]
	s_or_b32 exec_lo, exec_lo, s1
	s_waitcnt vmcnt(1)
	ds_bpermute_b32 v90, v2, v56
	s_waitcnt vmcnt(0)
	ds_bpermute_b32 v89, v2, v88
	s_mov_b32 s1, 0
	s_waitcnt lgkmcnt(1)
	v_sub_f32_e32 v11, v11, v90
	ds_bpermute_b32 v90, v2, v56 offset:4
	v_mul_f32_e32 v11, v3, v11
	v_add_f32_e32 v3, v87, v3
	s_waitcnt lgkmcnt(1)
	v_fma_f32 v11, v11, v89, v86
	ds_bpermute_b32 v89, v2, v88 offset:4
	v_add_f32_e32 v3, v4, v3
	v_add_f32_e32 v3, v5, v3
	s_waitcnt lgkmcnt(1)
	v_sub_f32_e32 v12, v12, v90
	v_add_f32_e32 v3, v6, v3
	v_mul_f32_e32 v12, v4, v12
	ds_bpermute_b32 v4, v2, v88 offset:8
	v_add_f32_e32 v3, v7, v3
	s_waitcnt lgkmcnt(1)
	v_fmac_f32_e32 v11, v12, v89
	ds_bpermute_b32 v12, v2, v56 offset:8
	v_add_f32_e32 v3, v8, v3
	v_add_f32_e32 v3, v9, v3
	s_waitcnt lgkmcnt(0)
	v_sub_f32_e32 v12, v13, v12
	v_mul_f32_e32 v12, v5, v12
	ds_bpermute_b32 v5, v2, v56 offset:12
	v_fmac_f32_e32 v11, v12, v4
	ds_bpermute_b32 v4, v2, v88 offset:12
	s_waitcnt lgkmcnt(1)
	v_sub_f32_e32 v5, v14, v5
	v_mul_f32_e32 v5, v6, v5
	s_waitcnt lgkmcnt(0)
	v_fmac_f32_e32 v11, v5, v4
	ds_bpermute_b32 v5, v2, v56 offset:16
	ds_bpermute_b32 v4, v2, v88 offset:16
	s_waitcnt lgkmcnt(1)
	v_sub_f32_e32 v5, v15, v5
	v_mul_f32_e32 v5, v7, v5
	s_waitcnt lgkmcnt(0)
	v_fmac_f32_e32 v11, v5, v4
	ds_bpermute_b32 v5, v2, v56 offset:20
	;; [unrolled: 7-line block ×4, first 2 shown]
	ds_bpermute_b32 v4, v2, v88 offset:28
	v_add_f32_e32 v56, v10, v3
	s_waitcnt lgkmcnt(1)
	v_sub_f32_e32 v5, v18, v5
	v_mul_f32_e32 v5, v10, v5
	s_waitcnt lgkmcnt(0)
	v_fmac_f32_e32 v11, v5, v4
.LBB99_75:                              ;   in Loop: Header=BB99_53 Depth=1
	s_and_b32 vcc_lo, exec_lo, s1
	s_cbranch_vccz .LBB99_81
; %bb.76:                               ;   in Loop: Header=BB99_53 Depth=1
	s_load_dword s1, s[2:3], 0x0
	v_mov_b32_e32 v6, 0
	v_mov_b32_e32 v5, 0
	s_waitcnt lgkmcnt(0)
	s_cmp_lt_u32 s6, s1
	s_cselect_b32 s1, 12, 18
	s_add_u32 s26, s2, s1
	s_addc_u32 s27, s3, 0
	s_mov_b32 s1, exec_lo
	global_load_ushort v3, v2, s[26:27]
	s_waitcnt vmcnt(0)
	v_mad_u32_u24 v3, v1, v3, v0
	v_and_b32_e32 v3, 31, v3
	v_cmpx_gt_u32_e32 8, v3
	s_cbranch_execz .LBB99_80
; %bb.77:                               ;   in Loop: Header=BB99_53 Depth=1
	v_add_co_u32 v3, vcc_lo, v49, v3
	v_add_co_ci_u32_e64 v4, null, 0, v50, vcc_lo
	v_mov_b32_e32 v5, 0
	v_mov_b32_e32 v6, 0
	s_mov_b32 s7, exec_lo
	v_cmpx_gt_i64_e64 s[8:9], v[3:4]
	s_cbranch_execz .LBB99_79
; %bb.78:                               ;   in Loop: Header=BB99_53 Depth=1
	v_lshlrev_b64 v[3:4], 2, v[3:4]
	v_add_co_u32 v5, vcc_lo, s16, v3
	v_add_co_ci_u32_e64 v6, null, s17, v4, vcc_lo
	v_add_co_u32 v3, vcc_lo, s18, v3
	v_add_co_ci_u32_e64 v4, null, s19, v4, vcc_lo
	global_load_dword v5, v[5:6], off
	global_load_dword v6, v[3:4], off
.LBB99_79:                              ;   in Loop: Header=BB99_53 Depth=1
	s_or_b32 exec_lo, exec_lo, s7
.LBB99_80:                              ;   in Loop: Header=BB99_53 Depth=1
	s_or_b32 exec_lo, exec_lo, s1
	v_add_co_u32 v3, vcc_lo, v52, v47
	v_add_co_ci_u32_e64 v4, null, v53, v48, vcc_lo
	v_add_co_u32 v7, vcc_lo, v54, v47
	v_add_co_ci_u32_e64 v8, null, v55, v48, vcc_lo
	global_load_ushort v15, v[3:4], off
	v_add_co_u32 v3, vcc_lo, v19, v47
	v_add_co_ci_u32_e64 v4, null, v20, v48, vcc_lo
	v_add_co_u32 v9, vcc_lo, v33, v47
	v_add_co_ci_u32_e64 v10, null, v34, v48, vcc_lo
	;; [unrolled: 2-line block ×4, first 2 shown]
	global_load_ushort v16, v[7:8], off
	global_load_ushort v17, v[3:4], off
	;; [unrolled: 1-line block ×5, first 2 shown]
	v_add_co_u32 v3, vcc_lo, v23, v47
	v_add_co_ci_u32_e64 v4, null, v24, v48, vcc_lo
	v_add_co_u32 v7, vcc_lo, v37, v47
	v_add_co_ci_u32_e64 v8, null, v38, v48, vcc_lo
	;; [unrolled: 2-line block ×5, first 2 shown]
	global_load_ushort v56, v[7:8], off
	global_load_ushort v88, v[3:4], off
	;; [unrolled: 1-line block ×5, first 2 shown]
	v_add_co_u32 v3, vcc_lo, v41, v47
	v_add_co_ci_u32_e64 v4, null, v42, v48, vcc_lo
	v_add_co_u32 v7, vcc_lo, v29, v47
	v_add_co_ci_u32_e64 v8, null, v30, v48, vcc_lo
	;; [unrolled: 2-line block ×3, first 2 shown]
	global_load_ushort v13, v[3:4], off
	global_load_ushort v14, v[7:8], off
	;; [unrolled: 1-line block ×3, first 2 shown]
	v_add_co_u32 v7, s1, v45, v47
	v_add_co_u32 v3, vcc_lo, v31, v47
	v_add_co_ci_u32_e64 v8, null, v46, v48, s1
	v_add_co_ci_u32_e64 v4, null, v32, v48, vcc_lo
	global_load_ushort v7, v[7:8], off
	global_load_ushort v3, v[3:4], off
	s_waitcnt vmcnt(17)
	ds_bpermute_b32 v4, v2, v5
	s_waitcnt vmcnt(16)
	ds_bpermute_b32 v8, v2, v6
	ds_bpermute_b32 v90, v2, v5 offset:8
	ds_bpermute_b32 v91, v2, v6 offset:4
	;; [unrolled: 1-line block ×4, first 2 shown]
	s_waitcnt vmcnt(15)
	v_lshlrev_b32_e32 v15, 16, v15
	s_waitcnt vmcnt(14)
	v_lshlrev_b32_e32 v10, 16, v16
	ds_bpermute_b32 v16, v2, v5 offset:4
	s_waitcnt vmcnt(12)
	v_lshlrev_b32_e32 v18, 16, v18
	v_lshlrev_b32_e32 v17, 16, v17
	s_waitcnt vmcnt(10)
	v_lshlrev_b32_e32 v50, 16, v50
	s_waitcnt lgkmcnt(6)
	v_sub_f32_e32 v4, v10, v4
	ds_bpermute_b32 v10, v2, v5 offset:12
	v_lshlrev_b32_e32 v49, 16, v49
	s_waitcnt lgkmcnt(5)
	v_sub_f32_e32 v50, v50, v90
	v_mul_f32_e32 v4, v4, v15
	v_add_f32_e32 v15, v87, v15
	ds_bpermute_b32 v87, v2, v6 offset:20
	ds_bpermute_b32 v90, v2, v6 offset:24
	v_mul_f32_e32 v50, v50, v49
	v_fmac_f32_e32 v86, v4, v8
	ds_bpermute_b32 v8, v2, v5 offset:16
	ds_bpermute_b32 v4, v2, v6 offset:16
	;; [unrolled: 1-line block ×3, first 2 shown]
	s_waitcnt vmcnt(9)
	v_lshlrev_b32_e32 v56, 16, v56
	s_waitcnt lgkmcnt(6)
	v_sub_f32_e32 v16, v18, v16
	ds_bpermute_b32 v18, v2, v5 offset:20
	s_waitcnt vmcnt(8)
	v_lshlrev_b32_e32 v88, 16, v88
	s_waitcnt vmcnt(6)
	v_lshlrev_b32_e32 v11, 16, v11
	s_waitcnt lgkmcnt(6)
	v_sub_f32_e32 v10, v56, v10
	ds_bpermute_b32 v56, v2, v5 offset:24
	v_mul_f32_e32 v16, v16, v17
	ds_bpermute_b32 v5, v2, v5 offset:28
	v_lshlrev_b32_e32 v89, 16, v89
	v_mul_f32_e32 v10, v10, v88
	s_waitcnt vmcnt(5)
	v_lshlrev_b32_e32 v12, 16, v12
	v_fmac_f32_e32 v86, v16, v91
	s_waitcnt lgkmcnt(5)
	v_sub_f32_e32 v8, v11, v8
	s_waitcnt vmcnt(4)
	v_lshlrev_b32_e32 v13, 16, v13
	v_add_f32_e32 v11, v15, v17
	v_fmac_f32_e32 v86, v50, v92
	s_waitcnt vmcnt(2)
	v_lshlrev_b32_e32 v9, 16, v9
	v_mul_f32_e32 v8, v8, v89
	s_waitcnt lgkmcnt(2)
	v_sub_f32_e32 v13, v13, v18
	v_add_f32_e32 v11, v11, v49
	v_fmac_f32_e32 v86, v10, v93
	v_lshlrev_b32_e32 v10, 16, v14
	s_waitcnt lgkmcnt(1)
	v_sub_f32_e32 v9, v9, v56
	v_mul_f32_e32 v13, v13, v12
	v_add_f32_e32 v11, v11, v88
	v_fmac_f32_e32 v86, v8, v4
	s_waitcnt vmcnt(1)
	v_lshlrev_b32_e32 v4, 16, v7
	s_waitcnt vmcnt(0)
	v_lshlrev_b32_e32 v3, 16, v3
	v_mul_f32_e32 v7, v9, v10
	v_add_f32_e32 v8, v11, v89
	v_fmac_f32_e32 v86, v13, v87
	s_waitcnt lgkmcnt(0)
	v_sub_f32_e32 v4, v4, v5
	v_add_f32_e32 v5, v8, v12
	v_fmac_f32_e32 v86, v7, v90
	v_mul_f32_e32 v4, v4, v3
	v_add_f32_e32 v5, v5, v10
	v_fmac_f32_e32 v86, v4, v6
	v_add_f32_e32 v56, v5, v3
	v_mov_b32_e32 v11, v86
.LBB99_81:                              ;   in Loop: Header=BB99_53 Depth=1
	v_add_co_u32 v52, vcc_lo, v52, s12
	v_add_co_ci_u32_e64 v53, null, s13, v53, vcc_lo
	v_add_co_u32 v54, vcc_lo, v54, s12
	v_add_co_ci_u32_e64 v55, null, s13, v55, vcc_lo
	;; [unrolled: 2-line block ×27, first 2 shown]
	v_add_co_u32 v77, vcc_lo, v77, s12
	s_add_u32 s22, s22, s24
	v_add_co_ci_u32_e64 v78, null, s13, v78, vcc_lo
	v_add_co_u32 v79, vcc_lo, v79, s12
	s_addc_u32 s23, s23, 0
	v_add_co_ci_u32_e64 v80, null, s13, v80, vcc_lo
	v_add_co_u32 v81, vcc_lo, v81, s12
	v_cmp_ge_i64_e64 s1, s[22:23], s[8:9]
	v_add_co_ci_u32_e64 v82, null, s13, v82, vcc_lo
	v_add_co_u32 v83, vcc_lo, v83, s12
	v_add_co_ci_u32_e64 v84, null, s13, v84, vcc_lo
	s_add_u32 s14, s14, s24
	s_addc_u32 s15, 0, s15
	s_and_b32 vcc_lo, exec_lo, s1
	s_cbranch_vccnz .LBB99_83
; %bb.82:                               ;   in Loop: Header=BB99_53 Depth=1
	v_mov_b32_e32 v87, v56
	v_mov_b32_e32 v86, v11
	s_branch .LBB99_53
.LBB99_83:
	s_mov_b32 s7, 0
	s_mov_b32 s1, exec_lo
	s_lshl_b64 s[2:3], s[6:7], 6
	v_or_b32_e32 v4, s2, v0
	v_mov_b32_e32 v5, s3
	v_cmpx_gt_i64_e64 s[10:11], v[4:5]
	s_cbranch_execz .LBB99_88
; %bb.84:
	s_clause 0x1
	s_load_dword s1, s[4:5], 0x4c
	s_load_dwordx4 s[4:7], s[4:5], 0x30
	v_mov_b32_e32 v2, 0
	s_waitcnt lgkmcnt(0)
	s_lshr_b32 s1, s1, 16
	s_cmp_eq_u64 s[4:5], 0
	v_mad_u64_u32 v[2:3], null, s1, s0, v[1:2]
	v_lshlrev_b64 v[0:1], 1, v[4:5]
	v_mul_lo_u32 v3, v3, s10
	v_mul_lo_u32 v6, v2, s11
	s_cbranch_scc1 .LBB99_86
; %bb.85:
	v_mad_u64_u32 v[4:5], null, v2, s10, 0
	v_bfe_u32 v7, v11, 16, 1
	v_cmp_o_f32_e32 vcc_lo, v11, v11
	v_mov_b32_e32 v8, 0x7fc0
	v_add3_u32 v7, v11, v7, 0x7fff
	v_add3_u32 v5, v5, v6, v3
	v_cndmask_b32_sdwa v7, v8, v7, vcc_lo dst_sel:DWORD dst_unused:UNUSED_PAD src0_sel:DWORD src1_sel:WORD_1
	v_lshlrev_b64 v[4:5], 1, v[4:5]
	v_add_co_u32 v4, s0, s4, v4
	v_add_co_ci_u32_e64 v5, null, s5, v5, s0
	v_add_co_u32 v4, vcc_lo, v4, v0
	v_add_co_ci_u32_e64 v5, null, v5, v1, vcc_lo
	global_store_short v[4:5], v7, off
.LBB99_86:
	s_cmp_eq_u64 s[6:7], 0
	s_cbranch_scc1 .LBB99_88
; %bb.87:
	v_mad_u64_u32 v[4:5], null, v2, s10, 0
	v_cmp_o_f32_e32 vcc_lo, v56, v56
	v_add3_u32 v5, v5, v6, v3
	v_bfe_u32 v6, v56, 16, 1
	v_lshlrev_b64 v[2:3], 1, v[4:5]
	v_mov_b32_e32 v4, 0x7fc0
	v_add3_u32 v5, v56, v6, 0x7fff
	v_add_co_u32 v2, s0, s6, v2
	v_add_co_ci_u32_e64 v3, null, s7, v3, s0
	v_cndmask_b32_sdwa v4, v4, v5, vcc_lo dst_sel:DWORD dst_unused:UNUSED_PAD src0_sel:DWORD src1_sel:WORD_1
	v_add_co_u32 v0, vcc_lo, v2, v0
	v_add_co_ci_u32_e64 v1, null, v3, v1, vcc_lo
	global_store_short v[0:1], v4, off
.LBB99_88:
	s_endpgm
	.section	.rodata,"a",@progbits
	.p2align	6, 0x0
	.amdhsa_kernel _ZN2at6native12_GLOBAL__N_135GammaBetaBackwardCUDAKernelTemplateIN3c108BFloat16EfLj64ELj1ELj8ELb1ELb0ELb0EEEvllPKT_S7_PKT0_SA_PS5_SB_
		.amdhsa_group_segment_fixed_size 0
		.amdhsa_private_segment_fixed_size 0
		.amdhsa_kernarg_size 320
		.amdhsa_user_sgpr_count 6
		.amdhsa_user_sgpr_private_segment_buffer 1
		.amdhsa_user_sgpr_dispatch_ptr 0
		.amdhsa_user_sgpr_queue_ptr 0
		.amdhsa_user_sgpr_kernarg_segment_ptr 1
		.amdhsa_user_sgpr_dispatch_id 0
		.amdhsa_user_sgpr_flat_scratch_init 0
		.amdhsa_user_sgpr_private_segment_size 0
		.amdhsa_wavefront_size32 1
		.amdhsa_uses_dynamic_stack 0
		.amdhsa_system_sgpr_private_segment_wavefront_offset 0
		.amdhsa_system_sgpr_workgroup_id_x 1
		.amdhsa_system_sgpr_workgroup_id_y 1
		.amdhsa_system_sgpr_workgroup_id_z 0
		.amdhsa_system_sgpr_workgroup_info 0
		.amdhsa_system_vgpr_workitem_id 1
		.amdhsa_next_free_vgpr 94
		.amdhsa_next_free_sgpr 32
		.amdhsa_reserve_vcc 1
		.amdhsa_reserve_flat_scratch 0
		.amdhsa_float_round_mode_32 0
		.amdhsa_float_round_mode_16_64 0
		.amdhsa_float_denorm_mode_32 3
		.amdhsa_float_denorm_mode_16_64 3
		.amdhsa_dx10_clamp 1
		.amdhsa_ieee_mode 1
		.amdhsa_fp16_overflow 0
		.amdhsa_workgroup_processor_mode 1
		.amdhsa_memory_ordered 1
		.amdhsa_forward_progress 1
		.amdhsa_shared_vgpr_count 0
		.amdhsa_exception_fp_ieee_invalid_op 0
		.amdhsa_exception_fp_denorm_src 0
		.amdhsa_exception_fp_ieee_div_zero 0
		.amdhsa_exception_fp_ieee_overflow 0
		.amdhsa_exception_fp_ieee_underflow 0
		.amdhsa_exception_fp_ieee_inexact 0
		.amdhsa_exception_int_div_zero 0
	.end_amdhsa_kernel
	.section	.text._ZN2at6native12_GLOBAL__N_135GammaBetaBackwardCUDAKernelTemplateIN3c108BFloat16EfLj64ELj1ELj8ELb1ELb0ELb0EEEvllPKT_S7_PKT0_SA_PS5_SB_,"axG",@progbits,_ZN2at6native12_GLOBAL__N_135GammaBetaBackwardCUDAKernelTemplateIN3c108BFloat16EfLj64ELj1ELj8ELb1ELb0ELb0EEEvllPKT_S7_PKT0_SA_PS5_SB_,comdat
.Lfunc_end99:
	.size	_ZN2at6native12_GLOBAL__N_135GammaBetaBackwardCUDAKernelTemplateIN3c108BFloat16EfLj64ELj1ELj8ELb1ELb0ELb0EEEvllPKT_S7_PKT0_SA_PS5_SB_, .Lfunc_end99-_ZN2at6native12_GLOBAL__N_135GammaBetaBackwardCUDAKernelTemplateIN3c108BFloat16EfLj64ELj1ELj8ELb1ELb0ELb0EEEvllPKT_S7_PKT0_SA_PS5_SB_
                                        ; -- End function
	.set _ZN2at6native12_GLOBAL__N_135GammaBetaBackwardCUDAKernelTemplateIN3c108BFloat16EfLj64ELj1ELj8ELb1ELb0ELb0EEEvllPKT_S7_PKT0_SA_PS5_SB_.num_vgpr, 94
	.set _ZN2at6native12_GLOBAL__N_135GammaBetaBackwardCUDAKernelTemplateIN3c108BFloat16EfLj64ELj1ELj8ELb1ELb0ELb0EEEvllPKT_S7_PKT0_SA_PS5_SB_.num_agpr, 0
	.set _ZN2at6native12_GLOBAL__N_135GammaBetaBackwardCUDAKernelTemplateIN3c108BFloat16EfLj64ELj1ELj8ELb1ELb0ELb0EEEvllPKT_S7_PKT0_SA_PS5_SB_.numbered_sgpr, 32
	.set _ZN2at6native12_GLOBAL__N_135GammaBetaBackwardCUDAKernelTemplateIN3c108BFloat16EfLj64ELj1ELj8ELb1ELb0ELb0EEEvllPKT_S7_PKT0_SA_PS5_SB_.num_named_barrier, 0
	.set _ZN2at6native12_GLOBAL__N_135GammaBetaBackwardCUDAKernelTemplateIN3c108BFloat16EfLj64ELj1ELj8ELb1ELb0ELb0EEEvllPKT_S7_PKT0_SA_PS5_SB_.private_seg_size, 0
	.set _ZN2at6native12_GLOBAL__N_135GammaBetaBackwardCUDAKernelTemplateIN3c108BFloat16EfLj64ELj1ELj8ELb1ELb0ELb0EEEvllPKT_S7_PKT0_SA_PS5_SB_.uses_vcc, 1
	.set _ZN2at6native12_GLOBAL__N_135GammaBetaBackwardCUDAKernelTemplateIN3c108BFloat16EfLj64ELj1ELj8ELb1ELb0ELb0EEEvllPKT_S7_PKT0_SA_PS5_SB_.uses_flat_scratch, 0
	.set _ZN2at6native12_GLOBAL__N_135GammaBetaBackwardCUDAKernelTemplateIN3c108BFloat16EfLj64ELj1ELj8ELb1ELb0ELb0EEEvllPKT_S7_PKT0_SA_PS5_SB_.has_dyn_sized_stack, 0
	.set _ZN2at6native12_GLOBAL__N_135GammaBetaBackwardCUDAKernelTemplateIN3c108BFloat16EfLj64ELj1ELj8ELb1ELb0ELb0EEEvllPKT_S7_PKT0_SA_PS5_SB_.has_recursion, 0
	.set _ZN2at6native12_GLOBAL__N_135GammaBetaBackwardCUDAKernelTemplateIN3c108BFloat16EfLj64ELj1ELj8ELb1ELb0ELb0EEEvllPKT_S7_PKT0_SA_PS5_SB_.has_indirect_call, 0
	.section	.AMDGPU.csdata,"",@progbits
; Kernel info:
; codeLenInByte = 8520
; TotalNumSgprs: 34
; NumVgprs: 94
; ScratchSize: 0
; MemoryBound: 0
; FloatMode: 240
; IeeeMode: 1
; LDSByteSize: 0 bytes/workgroup (compile time only)
; SGPRBlocks: 0
; VGPRBlocks: 11
; NumSGPRsForWavesPerEU: 34
; NumVGPRsForWavesPerEU: 94
; Occupancy: 10
; WaveLimiterHint : 0
; COMPUTE_PGM_RSRC2:SCRATCH_EN: 0
; COMPUTE_PGM_RSRC2:USER_SGPR: 6
; COMPUTE_PGM_RSRC2:TRAP_HANDLER: 0
; COMPUTE_PGM_RSRC2:TGID_X_EN: 1
; COMPUTE_PGM_RSRC2:TGID_Y_EN: 1
; COMPUTE_PGM_RSRC2:TGID_Z_EN: 0
; COMPUTE_PGM_RSRC2:TIDIG_COMP_CNT: 1
	.section	.text._ZN2at6native12_GLOBAL__N_135GammaBetaBackwardCUDAKernelTemplateIN3c108BFloat16EfLj64ELj8ELj64ELb0ELb1ELb0EEEvllPKT_S7_PKT0_SA_PS5_SB_,"axG",@progbits,_ZN2at6native12_GLOBAL__N_135GammaBetaBackwardCUDAKernelTemplateIN3c108BFloat16EfLj64ELj8ELj64ELb0ELb1ELb0EEEvllPKT_S7_PKT0_SA_PS5_SB_,comdat
	.globl	_ZN2at6native12_GLOBAL__N_135GammaBetaBackwardCUDAKernelTemplateIN3c108BFloat16EfLj64ELj8ELj64ELb0ELb1ELb0EEEvllPKT_S7_PKT0_SA_PS5_SB_ ; -- Begin function _ZN2at6native12_GLOBAL__N_135GammaBetaBackwardCUDAKernelTemplateIN3c108BFloat16EfLj64ELj8ELj64ELb0ELb1ELb0EEEvllPKT_S7_PKT0_SA_PS5_SB_
	.p2align	8
	.type	_ZN2at6native12_GLOBAL__N_135GammaBetaBackwardCUDAKernelTemplateIN3c108BFloat16EfLj64ELj8ELj64ELb0ELb1ELb0EEEvllPKT_S7_PKT0_SA_PS5_SB_,@function
_ZN2at6native12_GLOBAL__N_135GammaBetaBackwardCUDAKernelTemplateIN3c108BFloat16EfLj64ELj8ELj64ELb0ELb1ELb0EEEvllPKT_S7_PKT0_SA_PS5_SB_: ; @_ZN2at6native12_GLOBAL__N_135GammaBetaBackwardCUDAKernelTemplateIN3c108BFloat16EfLj64ELj8ELj64ELb0ELb1ELb0EEEvllPKT_S7_PKT0_SA_PS5_SB_
; %bb.0:
	s_load_dwordx4 s[20:23], s[4:5], 0x0
	s_lshl_b32 s2, s7, 6
	s_mov_b32 s3, 0
	s_waitcnt lgkmcnt(0)
	v_cmp_gt_i64_e64 s0, s[20:21], s[2:3]
	s_and_b32 vcc_lo, exec_lo, s0
	s_cbranch_vccnz .LBB100_2
; %bb.1:
	s_mov_b32 s0, s3
	s_branch .LBB100_3
.LBB100_2:
	s_mov_b32 s0, -1
.LBB100_3:
	s_load_dwordx4 s[16:19], s[4:5], 0x30
	v_mov_b32_e32 v2, 0
	v_mov_b32_e32 v17, 0
	s_andn2_b32 vcc_lo, exec_lo, s0
	s_cbranch_vccnz .LBB100_10
; %bb.4:
	s_clause 0x2
	s_load_dword s0, s[4:5], 0x4c
	s_load_dword s1, s[4:5], 0x44
	s_load_dwordx8 s[8:15], s[4:5], 0x10
	v_lshlrev_b32_e32 v2, 3, v1
	v_mov_b32_e32 v3, 0
	v_mov_b32_e32 v8, 8
	;; [unrolled: 1-line block ×4, first 2 shown]
	v_add_co_u32 v4, s4, v2, s2
	v_add_co_ci_u32_e64 v5, null, 0, 0, s4
	v_lshl_add_u32 v2, s6, 6, v0
	v_mul_lo_u32 v17, s23, v4
	v_mad_u64_u32 v[6:7], null, s22, v4, 0
	v_mul_lo_u32 v18, s22, v5
	v_mov_b32_e32 v11, 16
	v_mov_b32_e32 v12, 20
	v_mov_b32_e32 v13, 24
	s_waitcnt lgkmcnt(0)
	s_and_b32 s0, s0, 0xffff
	s_lshl_b32 s4, s1, 6
	v_mad_u32_u24 v15, v1, s0, v0
	s_mul_i32 s1, s23, s4
	v_add3_u32 v7, v7, v18, v17
	s_mul_hi_u32 s7, s22, s4
	v_mov_b32_e32 v14, 28
	v_and_b32_e32 v19, 31, v15
	v_lshlrev_b64 v[15:16], 1, v[2:3]
	v_lshlrev_b64 v[17:18], 1, v[6:7]
	v_mov_b32_e32 v2, 0
	s_mov_b32 s5, 0
	v_add_co_u32 v4, vcc_lo, v4, v19
	v_add_co_ci_u32_e64 v5, null, 0, v5, vcc_lo
	v_add_co_u32 v15, vcc_lo, v17, v15
	v_cmp_gt_u32_e64 s0, 8, v19
	v_lshlrev_b64 v[6:7], 2, v[4:5]
	v_add_co_ci_u32_e64 v16, null, v18, v16, vcc_lo
	v_mov_b32_e32 v17, 0
	s_add_i32 s27, s7, s1
	s_mul_i32 s26, s22, s4
	s_lshl_b64 s[24:25], s[4:5], 2
	s_lshl_b64 s[26:27], s[26:27], 1
	;; [unrolled: 1-line block ×3, first 2 shown]
	s_branch .LBB100_7
.LBB100_5:                              ;   in Loop: Header=BB100_7 Depth=1
	s_or_b32 exec_lo, exec_lo, s5
.LBB100_6:                              ;   in Loop: Header=BB100_7 Depth=1
	s_or_b32 exec_lo, exec_lo, s1
	v_add_co_u32 v20, vcc_lo, s8, v15
	v_add_co_ci_u32_e64 v21, null, s9, v16, vcc_lo
	v_add_co_u32 v22, vcc_lo, s10, v15
	v_add_co_ci_u32_e64 v23, null, s11, v16, vcc_lo
	;; [unrolled: 2-line block ×5, first 2 shown]
	global_load_ushort v30, v[20:21], off
	global_load_ushort v31, v[22:23], off
	;; [unrolled: 1-line block ×5, first 2 shown]
	v_add_co_u32 v20, vcc_lo, v26, s22
	v_add_co_ci_u32_e64 v21, null, s23, v27, vcc_lo
	v_add_co_u32 v22, vcc_lo, v28, s22
	v_add_co_ci_u32_e64 v23, null, s23, v29, vcc_lo
	;; [unrolled: 2-line block ×5, first 2 shown]
	global_load_ushort v35, v[20:21], off
	global_load_ushort v36, v[22:23], off
	;; [unrolled: 1-line block ×5, first 2 shown]
	v_add_co_u32 v20, vcc_lo, v26, s22
	v_add_co_ci_u32_e64 v21, null, s23, v27, vcc_lo
	v_add_co_u32 v22, vcc_lo, v28, s22
	v_add_co_ci_u32_e64 v23, null, s23, v29, vcc_lo
	;; [unrolled: 2-line block ×4, first 2 shown]
	global_load_ushort v28, v[20:21], off
	global_load_ushort v29, v[22:23], off
	;; [unrolled: 1-line block ×4, first 2 shown]
	v_add_co_u32 v20, vcc_lo, v26, s22
	v_add_co_ci_u32_e64 v21, null, s23, v27, vcc_lo
	v_add_co_u32 v22, vcc_lo, v24, s22
	v_add_co_ci_u32_e64 v23, null, s23, v25, vcc_lo
	global_load_ushort v20, v[20:21], off
	global_load_ushort v21, v[22:23], off
	s_waitcnt vmcnt(17)
	ds_bpermute_b32 v22, v3, v18
	ds_bpermute_b32 v25, v9, v18
	s_waitcnt vmcnt(16)
	ds_bpermute_b32 v23, v3, v19
	ds_bpermute_b32 v27, v8, v18
	;; [unrolled: 1-line block ×14, first 2 shown]
	s_add_u32 s2, s2, s4
	v_add_co_u32 v6, vcc_lo, v6, s24
	s_addc_u32 s3, s3, 0
	v_add_co_ci_u32_e64 v7, null, s25, v7, vcc_lo
	v_add_co_u32 v4, vcc_lo, v4, s4
	v_cmp_lt_i64_e64 s1, s[2:3], s[20:21]
	v_add_co_ci_u32_e64 v5, null, 0, v5, vcc_lo
	v_add_co_u32 v15, vcc_lo, v15, s26
	v_add_co_ci_u32_e64 v16, null, s27, v16, vcc_lo
	s_and_b32 vcc_lo, exec_lo, s1
	s_waitcnt vmcnt(15)
	v_lshlrev_b32_e32 v30, 16, v30
	s_waitcnt vmcnt(14)
	v_lshlrev_b32_e32 v31, 16, v31
	;; [unrolled: 2-line block ×3, first 2 shown]
	v_add_f32_e32 v17, v17, v30
	s_waitcnt lgkmcnt(15)
	v_sub_f32_e32 v22, v31, v22
	v_lshlrev_b32_e32 v31, 16, v32
	s_waitcnt lgkmcnt(14)
	v_sub_f32_e32 v25, v33, v25
	v_mul_f32_e32 v22, v22, v30
	s_waitcnt vmcnt(11)
	v_lshlrev_b32_e32 v30, 16, v34
	v_add_f32_e32 v17, v17, v31
	s_waitcnt lgkmcnt(13)
	v_fmac_f32_e32 v2, v22, v23
	v_mul_f32_e32 v22, v25, v31
	v_add_f32_e32 v17, v17, v30
	s_waitcnt vmcnt(10)
	v_lshlrev_b32_e32 v32, 16, v35
	s_waitcnt lgkmcnt(11)
	v_fmac_f32_e32 v2, v22, v24
	s_waitcnt vmcnt(8)
	v_lshlrev_b32_e32 v25, 16, v37
	s_waitcnt vmcnt(6)
	v_lshlrev_b32_e32 v24, 16, v39
	v_sub_f32_e32 v23, v32, v27
	v_lshlrev_b32_e32 v27, 16, v36
	v_mul_f32_e32 v22, v23, v30
	s_waitcnt lgkmcnt(10)
	v_sub_f32_e32 v23, v25, v43
	v_lshlrev_b32_e32 v25, 16, v38
	v_add_f32_e32 v17, v17, v27
	s_waitcnt lgkmcnt(9)
	v_fmac_f32_e32 v2, v22, v26
	v_mul_f32_e32 v22, v23, v27
	s_waitcnt lgkmcnt(8)
	v_sub_f32_e32 v23, v24, v45
	s_waitcnt vmcnt(5)
	v_lshlrev_b32_e32 v26, 16, v28
	s_waitcnt vmcnt(4)
	v_lshlrev_b32_e32 v24, 16, v29
	v_add_f32_e32 v17, v17, v25
	s_waitcnt lgkmcnt(7)
	v_fmac_f32_e32 v2, v22, v42
	v_mul_f32_e32 v22, v23, v25
	s_waitcnt vmcnt(3)
	v_lshlrev_b32_e32 v25, 16, v40
	s_waitcnt lgkmcnt(6)
	v_sub_f32_e32 v23, v24, v47
	s_waitcnt vmcnt(2)
	v_lshlrev_b32_e32 v24, 16, v41
	v_add_f32_e32 v17, v17, v26
	s_waitcnt lgkmcnt(5)
	v_fmac_f32_e32 v2, v22, v44
	v_mul_f32_e32 v22, v23, v26
	s_waitcnt lgkmcnt(4)
	v_sub_f32_e32 v23, v24, v49
	s_waitcnt vmcnt(1)
	v_lshlrev_b32_e32 v20, 16, v20
	s_waitcnt vmcnt(0)
	v_lshlrev_b32_e32 v21, 16, v21
	v_add_f32_e32 v17, v17, v25
	s_waitcnt lgkmcnt(3)
	v_fmac_f32_e32 v2, v22, v46
	v_mul_f32_e32 v22, v23, v25
	s_waitcnt lgkmcnt(2)
	v_sub_f32_e32 v18, v20, v18
	v_add_f32_e32 v17, v17, v21
	s_waitcnt lgkmcnt(1)
	v_fmac_f32_e32 v2, v22, v48
	v_mul_f32_e32 v18, v18, v21
	s_waitcnt lgkmcnt(0)
	v_fmac_f32_e32 v2, v18, v19
	s_cbranch_vccz .LBB100_10
.LBB100_7:                              ; =>This Inner Loop Header: Depth=1
	v_mov_b32_e32 v19, 0
	v_mov_b32_e32 v18, 0
	s_and_saveexec_b32 s1, s0
	s_cbranch_execz .LBB100_6
; %bb.8:                                ;   in Loop: Header=BB100_7 Depth=1
	v_mov_b32_e32 v18, 0
	v_mov_b32_e32 v19, 0
	s_mov_b32 s5, exec_lo
	v_cmpx_gt_i64_e64 s[20:21], v[4:5]
	s_cbranch_execz .LBB100_5
; %bb.9:                                ;   in Loop: Header=BB100_7 Depth=1
	v_add_co_u32 v18, vcc_lo, s12, v6
	v_add_co_ci_u32_e64 v19, null, s13, v7, vcc_lo
	v_add_co_u32 v20, vcc_lo, s14, v6
	v_add_co_ci_u32_e64 v21, null, s15, v7, vcc_lo
	global_load_dword v18, v[18:19], off
	global_load_dword v19, v[20:21], off
	s_branch .LBB100_5
.LBB100_10:
	v_mad_u32_u24 v3, 0x41, v1, v0
	s_mov_b32 s0, exec_lo
	v_lshl_add_u32 v4, v3, 2, 0
	v_sub_nc_u32_e32 v3, v3, v1
	ds_write_b32 v4, v2
	ds_write_b32 v4, v17 offset:2080
	s_waitcnt lgkmcnt(0)
	s_barrier
	buffer_gl0_inv
	v_cmpx_gt_u32_e32 0x800, v3
	s_cbranch_execz .LBB100_42
; %bb.11:
	v_and_b32_e32 v1, 31, v0
	v_lshrrev_b32_e32 v2, 5, v3
                                        ; implicit-def: $vgpr7
	v_cmp_gt_u32_e64 s0, 8, v1
	v_mul_u32_u24_e32 v4, 0x41, v1
                                        ; implicit-def: $vgpr1
	s_and_saveexec_b32 s1, s0
	s_cbranch_execz .LBB100_13
; %bb.12:
	v_add_nc_u32_e32 v1, v2, v4
	v_lshl_add_u32 v1, v1, 2, 0
	ds_read_b32 v7, v1
	ds_read_b32 v1, v1 offset:2080
.LBB100_13:
	s_or_b32 exec_lo, exec_lo, s1
	v_mbcnt_lo_u32_b32 v8, -1, 0
	s_mov_b32 s7, 0
	v_cmp_eq_u32_e64 s1, 0, v0
	s_lshl_b64 s[2:3], s[6:7], 6
	s_cmp_lg_u64 s[16:17], 0
	v_xor_b32_e32 v5, 4, v8
	v_xor_b32_e32 v6, 2, v8
	s_cselect_b32 s5, -1, 0
	s_cmp_lg_u64 s[18:19], 0
	s_cselect_b32 s4, -1, 0
	v_cmp_gt_i32_e32 vcc_lo, 32, v5
	v_cndmask_b32_e32 v5, v8, v5, vcc_lo
	v_cmp_gt_i32_e32 vcc_lo, 32, v6
	v_lshlrev_b32_e32 v5, 2, v5
	v_cndmask_b32_e32 v6, v8, v6, vcc_lo
	s_waitcnt lgkmcnt(1)
	ds_bpermute_b32 v9, v5, v7
	s_waitcnt lgkmcnt(1)
	ds_bpermute_b32 v10, v5, v1
	v_lshlrev_b32_e32 v6, 2, v6
	s_waitcnt lgkmcnt(1)
	v_add_f32_e32 v9, v7, v9
	s_waitcnt lgkmcnt(0)
	v_add_f32_e32 v1, v1, v10
	v_xor_b32_e32 v7, 1, v8
	ds_bpermute_b32 v10, v6, v9
	ds_bpermute_b32 v11, v6, v1
	v_cmp_gt_i32_e32 vcc_lo, 32, v7
	v_cndmask_b32_e32 v7, v8, v7, vcc_lo
	v_lshlrev_b32_e32 v7, 2, v7
	s_waitcnt lgkmcnt(1)
	v_add_f32_e32 v8, v9, v10
	s_waitcnt lgkmcnt(0)
	v_add_f32_e32 v1, v1, v11
	ds_bpermute_b32 v9, v7, v8
	ds_bpermute_b32 v10, v7, v1
	s_waitcnt lgkmcnt(1)
	v_add_f32_e32 v8, v8, v9
	s_waitcnt lgkmcnt(0)
	v_add_f32_e32 v9, v1, v10
	s_and_saveexec_b32 s6, s1
	s_cbranch_execz .LBB100_18
; %bb.14:
	v_mov_b32_e32 v1, s3
	v_or_b32_e32 v0, s2, v2
	s_andn2_b32 vcc_lo, exec_lo, s5
	v_lshlrev_b64 v[0:1], 1, v[0:1]
	s_cbranch_vccnz .LBB100_16
; %bb.15:
	v_bfe_u32 v10, v8, 16, 1
	v_cmp_o_f32_e32 vcc_lo, v8, v8
	v_mov_b32_e32 v11, 0x7fc0
	v_add3_u32 v10, v8, v10, 0x7fff
	v_cndmask_b32_sdwa v12, v11, v10, vcc_lo dst_sel:DWORD dst_unused:UNUSED_PAD src0_sel:DWORD src1_sel:WORD_1
	v_add_co_u32 v10, vcc_lo, s16, v0
	v_add_co_ci_u32_e64 v11, null, s17, v1, vcc_lo
	global_store_short v[10:11], v12, off
.LBB100_16:
	s_andn2_b32 vcc_lo, exec_lo, s4
	s_cbranch_vccnz .LBB100_18
; %bb.17:
	v_bfe_u32 v10, v9, 16, 1
	v_cmp_o_f32_e32 vcc_lo, v9, v9
	v_mov_b32_e32 v11, 0x7fc0
	v_add3_u32 v10, v9, v10, 0x7fff
	v_cndmask_b32_sdwa v10, v11, v10, vcc_lo dst_sel:DWORD dst_unused:UNUSED_PAD src0_sel:DWORD src1_sel:WORD_1
	v_add_co_u32 v0, vcc_lo, s18, v0
	v_add_co_ci_u32_e64 v1, null, s19, v1, vcc_lo
	global_store_short v[0:1], v10, off
.LBB100_18:
	s_or_b32 exec_lo, exec_lo, s6
	v_cmp_gt_u32_e32 vcc_lo, 0x600, v3
	s_and_b32 exec_lo, exec_lo, vcc_lo
	s_cbranch_execz .LBB100_42
; %bb.19:
	s_and_saveexec_b32 s6, s0
	s_cbranch_execz .LBB100_21
; %bb.20:
	v_add_nc_u32_e32 v0, v2, v4
	v_lshl_add_u32 v0, v0, 2, 0
	ds_read_b32 v8, v0 offset:64
	ds_read_b32 v9, v0 offset:2144
.LBB100_21:
	s_or_b32 exec_lo, exec_lo, s6
	s_waitcnt lgkmcnt(1)
	ds_bpermute_b32 v0, v5, v8
	s_waitcnt lgkmcnt(1)
	ds_bpermute_b32 v1, v5, v9
	s_waitcnt lgkmcnt(1)
	v_add_f32_e32 v0, v8, v0
	s_waitcnt lgkmcnt(0)
	v_add_f32_e32 v1, v9, v1
	ds_bpermute_b32 v8, v6, v0
	ds_bpermute_b32 v9, v6, v1
	s_waitcnt lgkmcnt(1)
	v_add_f32_e32 v0, v0, v8
	s_waitcnt lgkmcnt(0)
	v_add_f32_e32 v1, v1, v9
	ds_bpermute_b32 v8, v7, v0
	ds_bpermute_b32 v9, v7, v1
	s_waitcnt lgkmcnt(1)
	v_add_f32_e32 v0, v0, v8
	s_waitcnt lgkmcnt(0)
	v_add_f32_e32 v1, v1, v9
	s_and_saveexec_b32 s6, s1
	s_cbranch_execz .LBB100_26
; %bb.22:
	s_andn2_b32 vcc_lo, exec_lo, s5
	s_cbranch_vccnz .LBB100_24
; %bb.23:
	v_add_co_u32 v8, s7, s2, v2
	v_add_co_ci_u32_e64 v9, null, s3, 0, s7
	v_bfe_u32 v10, v0, 16, 1
	v_cmp_o_f32_e32 vcc_lo, v0, v0
	v_mov_b32_e32 v11, 0x7fc0
	v_lshlrev_b64 v[8:9], 1, v[8:9]
	v_add3_u32 v10, v0, v10, 0x7fff
	v_cndmask_b32_sdwa v10, v11, v10, vcc_lo dst_sel:DWORD dst_unused:UNUSED_PAD src0_sel:DWORD src1_sel:WORD_1
	v_add_co_u32 v8, vcc_lo, s16, v8
	v_add_co_ci_u32_e64 v9, null, s17, v9, vcc_lo
	global_store_short v[8:9], v10, off offset:32
.LBB100_24:
	s_andn2_b32 vcc_lo, exec_lo, s4
	s_cbranch_vccnz .LBB100_26
; %bb.25:
	v_add_co_u32 v8, s7, s2, v2
	v_add_co_ci_u32_e64 v9, null, s3, 0, s7
	v_bfe_u32 v10, v1, 16, 1
	v_cmp_o_f32_e32 vcc_lo, v1, v1
	v_mov_b32_e32 v11, 0x7fc0
	v_lshlrev_b64 v[8:9], 1, v[8:9]
	v_add3_u32 v10, v1, v10, 0x7fff
	v_cndmask_b32_sdwa v10, v11, v10, vcc_lo dst_sel:DWORD dst_unused:UNUSED_PAD src0_sel:DWORD src1_sel:WORD_1
	v_add_co_u32 v8, vcc_lo, s18, v8
	v_add_co_ci_u32_e64 v9, null, s19, v9, vcc_lo
	global_store_short v[8:9], v10, off offset:32
.LBB100_26:
	s_or_b32 exec_lo, exec_lo, s6
	v_cmp_gt_u32_e32 vcc_lo, 0x400, v3
	s_and_b32 exec_lo, exec_lo, vcc_lo
	s_cbranch_execz .LBB100_42
; %bb.27:
	s_and_saveexec_b32 s6, s0
	s_cbranch_execz .LBB100_29
; %bb.28:
	v_add_nc_u32_e32 v0, v2, v4
	v_lshl_add_u32 v1, v0, 2, 0
	ds_read_b32 v0, v1 offset:128
	ds_read_b32 v1, v1 offset:2208
.LBB100_29:
	s_or_b32 exec_lo, exec_lo, s6
	s_waitcnt lgkmcnt(1)
	ds_bpermute_b32 v8, v5, v0
	s_waitcnt lgkmcnt(1)
	ds_bpermute_b32 v9, v5, v1
	s_waitcnt lgkmcnt(1)
	v_add_f32_e32 v0, v0, v8
	s_waitcnt lgkmcnt(0)
	v_add_f32_e32 v1, v1, v9
	ds_bpermute_b32 v8, v6, v0
	ds_bpermute_b32 v9, v6, v1
	s_waitcnt lgkmcnt(1)
	v_add_f32_e32 v0, v0, v8
	s_waitcnt lgkmcnt(0)
	v_add_f32_e32 v1, v1, v9
	ds_bpermute_b32 v8, v7, v0
	ds_bpermute_b32 v9, v7, v1
	s_waitcnt lgkmcnt(1)
	v_add_f32_e32 v0, v0, v8
	s_waitcnt lgkmcnt(0)
	v_add_f32_e32 v1, v1, v9
	s_and_saveexec_b32 s6, s1
	s_cbranch_execz .LBB100_34
; %bb.30:
	s_andn2_b32 vcc_lo, exec_lo, s5
	s_cbranch_vccnz .LBB100_32
; %bb.31:
	v_add_co_u32 v8, s7, s2, v2
	v_add_co_ci_u32_e64 v9, null, s3, 0, s7
	v_bfe_u32 v10, v0, 16, 1
	v_cmp_o_f32_e32 vcc_lo, v0, v0
	v_mov_b32_e32 v11, 0x7fc0
	v_lshlrev_b64 v[8:9], 1, v[8:9]
	v_add3_u32 v10, v0, v10, 0x7fff
	v_cndmask_b32_sdwa v10, v11, v10, vcc_lo dst_sel:DWORD dst_unused:UNUSED_PAD src0_sel:DWORD src1_sel:WORD_1
	v_add_co_u32 v8, vcc_lo, s16, v8
	v_add_co_ci_u32_e64 v9, null, s17, v9, vcc_lo
	global_store_short v[8:9], v10, off offset:64
.LBB100_32:
	s_andn2_b32 vcc_lo, exec_lo, s4
	s_cbranch_vccnz .LBB100_34
; %bb.33:
	v_add_co_u32 v8, s7, s2, v2
	v_add_co_ci_u32_e64 v9, null, s3, 0, s7
	v_bfe_u32 v10, v1, 16, 1
	v_cmp_o_f32_e32 vcc_lo, v1, v1
	v_mov_b32_e32 v11, 0x7fc0
	v_lshlrev_b64 v[8:9], 1, v[8:9]
	v_add3_u32 v10, v1, v10, 0x7fff
	v_cndmask_b32_sdwa v10, v11, v10, vcc_lo dst_sel:DWORD dst_unused:UNUSED_PAD src0_sel:DWORD src1_sel:WORD_1
	v_add_co_u32 v8, vcc_lo, s18, v8
	v_add_co_ci_u32_e64 v9, null, s19, v9, vcc_lo
	global_store_short v[8:9], v10, off offset:64
.LBB100_34:
	s_or_b32 exec_lo, exec_lo, s6
	v_cmp_gt_u32_e32 vcc_lo, 0x200, v3
	s_and_b32 exec_lo, exec_lo, vcc_lo
	s_cbranch_execz .LBB100_42
; %bb.35:
	s_and_saveexec_b32 s6, s0
	s_cbranch_execz .LBB100_37
; %bb.36:
	v_add_nc_u32_e32 v0, v2, v4
	v_lshl_add_u32 v1, v0, 2, 0
	ds_read_b32 v0, v1 offset:192
	ds_read_b32 v1, v1 offset:2272
.LBB100_37:
	s_or_b32 exec_lo, exec_lo, s6
	s_waitcnt lgkmcnt(1)
	ds_bpermute_b32 v3, v5, v0
	s_waitcnt lgkmcnt(1)
	ds_bpermute_b32 v4, v5, v1
	s_waitcnt lgkmcnt(1)
	v_add_f32_e32 v0, v0, v3
	s_waitcnt lgkmcnt(0)
	v_add_f32_e32 v1, v1, v4
	ds_bpermute_b32 v3, v6, v0
	ds_bpermute_b32 v4, v6, v1
	s_waitcnt lgkmcnt(1)
	v_add_f32_e32 v3, v0, v3
	s_waitcnt lgkmcnt(0)
	v_add_f32_e32 v0, v1, v4
	ds_bpermute_b32 v4, v7, v3
	ds_bpermute_b32 v1, v7, v0
	s_and_b32 exec_lo, exec_lo, s1
	s_cbranch_execz .LBB100_42
; %bb.38:
	s_andn2_b32 vcc_lo, exec_lo, s5
	s_cbranch_vccnz .LBB100_40
; %bb.39:
	s_waitcnt lgkmcnt(1)
	v_add_f32_e32 v5, v3, v4
	v_add_co_u32 v3, s0, s2, v2
	v_add_co_ci_u32_e64 v4, null, s3, 0, s0
	v_bfe_u32 v6, v5, 16, 1
	v_cmp_o_f32_e32 vcc_lo, v5, v5
	v_mov_b32_e32 v7, 0x7fc0
	v_lshlrev_b64 v[3:4], 1, v[3:4]
	v_add3_u32 v5, v5, v6, 0x7fff
	v_cndmask_b32_sdwa v5, v7, v5, vcc_lo dst_sel:DWORD dst_unused:UNUSED_PAD src0_sel:DWORD src1_sel:WORD_1
	v_add_co_u32 v3, vcc_lo, s16, v3
	v_add_co_ci_u32_e64 v4, null, s17, v4, vcc_lo
	global_store_short v[3:4], v5, off offset:96
.LBB100_40:
	s_andn2_b32 vcc_lo, exec_lo, s4
	s_cbranch_vccnz .LBB100_42
; %bb.41:
	s_waitcnt lgkmcnt(0)
	v_add_f32_e32 v3, v0, v1
	v_add_co_u32 v0, s0, s2, v2
	v_add_co_ci_u32_e64 v1, null, s3, 0, s0
	v_bfe_u32 v4, v3, 16, 1
	v_cmp_o_f32_e32 vcc_lo, v3, v3
	v_mov_b32_e32 v2, 0x7fc0
	v_lshlrev_b64 v[0:1], 1, v[0:1]
	v_add3_u32 v3, v3, v4, 0x7fff
	v_cndmask_b32_sdwa v2, v2, v3, vcc_lo dst_sel:DWORD dst_unused:UNUSED_PAD src0_sel:DWORD src1_sel:WORD_1
	v_add_co_u32 v0, vcc_lo, s18, v0
	v_add_co_ci_u32_e64 v1, null, s19, v1, vcc_lo
	global_store_short v[0:1], v2, off offset:96
.LBB100_42:
	s_endpgm
	.section	.rodata,"a",@progbits
	.p2align	6, 0x0
	.amdhsa_kernel _ZN2at6native12_GLOBAL__N_135GammaBetaBackwardCUDAKernelTemplateIN3c108BFloat16EfLj64ELj8ELj64ELb0ELb1ELb0EEEvllPKT_S7_PKT0_SA_PS5_SB_
		.amdhsa_group_segment_fixed_size 0
		.amdhsa_private_segment_fixed_size 0
		.amdhsa_kernarg_size 320
		.amdhsa_user_sgpr_count 6
		.amdhsa_user_sgpr_private_segment_buffer 1
		.amdhsa_user_sgpr_dispatch_ptr 0
		.amdhsa_user_sgpr_queue_ptr 0
		.amdhsa_user_sgpr_kernarg_segment_ptr 1
		.amdhsa_user_sgpr_dispatch_id 0
		.amdhsa_user_sgpr_flat_scratch_init 0
		.amdhsa_user_sgpr_private_segment_size 0
		.amdhsa_wavefront_size32 1
		.amdhsa_uses_dynamic_stack 0
		.amdhsa_system_sgpr_private_segment_wavefront_offset 0
		.amdhsa_system_sgpr_workgroup_id_x 1
		.amdhsa_system_sgpr_workgroup_id_y 1
		.amdhsa_system_sgpr_workgroup_id_z 0
		.amdhsa_system_sgpr_workgroup_info 0
		.amdhsa_system_vgpr_workitem_id 1
		.amdhsa_next_free_vgpr 50
		.amdhsa_next_free_sgpr 28
		.amdhsa_reserve_vcc 1
		.amdhsa_reserve_flat_scratch 0
		.amdhsa_float_round_mode_32 0
		.amdhsa_float_round_mode_16_64 0
		.amdhsa_float_denorm_mode_32 3
		.amdhsa_float_denorm_mode_16_64 3
		.amdhsa_dx10_clamp 1
		.amdhsa_ieee_mode 1
		.amdhsa_fp16_overflow 0
		.amdhsa_workgroup_processor_mode 1
		.amdhsa_memory_ordered 1
		.amdhsa_forward_progress 1
		.amdhsa_shared_vgpr_count 0
		.amdhsa_exception_fp_ieee_invalid_op 0
		.amdhsa_exception_fp_denorm_src 0
		.amdhsa_exception_fp_ieee_div_zero 0
		.amdhsa_exception_fp_ieee_overflow 0
		.amdhsa_exception_fp_ieee_underflow 0
		.amdhsa_exception_fp_ieee_inexact 0
		.amdhsa_exception_int_div_zero 0
	.end_amdhsa_kernel
	.section	.text._ZN2at6native12_GLOBAL__N_135GammaBetaBackwardCUDAKernelTemplateIN3c108BFloat16EfLj64ELj8ELj64ELb0ELb1ELb0EEEvllPKT_S7_PKT0_SA_PS5_SB_,"axG",@progbits,_ZN2at6native12_GLOBAL__N_135GammaBetaBackwardCUDAKernelTemplateIN3c108BFloat16EfLj64ELj8ELj64ELb0ELb1ELb0EEEvllPKT_S7_PKT0_SA_PS5_SB_,comdat
.Lfunc_end100:
	.size	_ZN2at6native12_GLOBAL__N_135GammaBetaBackwardCUDAKernelTemplateIN3c108BFloat16EfLj64ELj8ELj64ELb0ELb1ELb0EEEvllPKT_S7_PKT0_SA_PS5_SB_, .Lfunc_end100-_ZN2at6native12_GLOBAL__N_135GammaBetaBackwardCUDAKernelTemplateIN3c108BFloat16EfLj64ELj8ELj64ELb0ELb1ELb0EEEvllPKT_S7_PKT0_SA_PS5_SB_
                                        ; -- End function
	.set _ZN2at6native12_GLOBAL__N_135GammaBetaBackwardCUDAKernelTemplateIN3c108BFloat16EfLj64ELj8ELj64ELb0ELb1ELb0EEEvllPKT_S7_PKT0_SA_PS5_SB_.num_vgpr, 50
	.set _ZN2at6native12_GLOBAL__N_135GammaBetaBackwardCUDAKernelTemplateIN3c108BFloat16EfLj64ELj8ELj64ELb0ELb1ELb0EEEvllPKT_S7_PKT0_SA_PS5_SB_.num_agpr, 0
	.set _ZN2at6native12_GLOBAL__N_135GammaBetaBackwardCUDAKernelTemplateIN3c108BFloat16EfLj64ELj8ELj64ELb0ELb1ELb0EEEvllPKT_S7_PKT0_SA_PS5_SB_.numbered_sgpr, 28
	.set _ZN2at6native12_GLOBAL__N_135GammaBetaBackwardCUDAKernelTemplateIN3c108BFloat16EfLj64ELj8ELj64ELb0ELb1ELb0EEEvllPKT_S7_PKT0_SA_PS5_SB_.num_named_barrier, 0
	.set _ZN2at6native12_GLOBAL__N_135GammaBetaBackwardCUDAKernelTemplateIN3c108BFloat16EfLj64ELj8ELj64ELb0ELb1ELb0EEEvllPKT_S7_PKT0_SA_PS5_SB_.private_seg_size, 0
	.set _ZN2at6native12_GLOBAL__N_135GammaBetaBackwardCUDAKernelTemplateIN3c108BFloat16EfLj64ELj8ELj64ELb0ELb1ELb0EEEvllPKT_S7_PKT0_SA_PS5_SB_.uses_vcc, 1
	.set _ZN2at6native12_GLOBAL__N_135GammaBetaBackwardCUDAKernelTemplateIN3c108BFloat16EfLj64ELj8ELj64ELb0ELb1ELb0EEEvllPKT_S7_PKT0_SA_PS5_SB_.uses_flat_scratch, 0
	.set _ZN2at6native12_GLOBAL__N_135GammaBetaBackwardCUDAKernelTemplateIN3c108BFloat16EfLj64ELj8ELj64ELb0ELb1ELb0EEEvllPKT_S7_PKT0_SA_PS5_SB_.has_dyn_sized_stack, 0
	.set _ZN2at6native12_GLOBAL__N_135GammaBetaBackwardCUDAKernelTemplateIN3c108BFloat16EfLj64ELj8ELj64ELb0ELb1ELb0EEEvllPKT_S7_PKT0_SA_PS5_SB_.has_recursion, 0
	.set _ZN2at6native12_GLOBAL__N_135GammaBetaBackwardCUDAKernelTemplateIN3c108BFloat16EfLj64ELj8ELj64ELb0ELb1ELb0EEEvllPKT_S7_PKT0_SA_PS5_SB_.has_indirect_call, 0
	.section	.AMDGPU.csdata,"",@progbits
; Kernel info:
; codeLenInByte = 2916
; TotalNumSgprs: 30
; NumVgprs: 50
; ScratchSize: 0
; MemoryBound: 0
; FloatMode: 240
; IeeeMode: 1
; LDSByteSize: 0 bytes/workgroup (compile time only)
; SGPRBlocks: 0
; VGPRBlocks: 6
; NumSGPRsForWavesPerEU: 30
; NumVGPRsForWavesPerEU: 50
; Occupancy: 16
; WaveLimiterHint : 0
; COMPUTE_PGM_RSRC2:SCRATCH_EN: 0
; COMPUTE_PGM_RSRC2:USER_SGPR: 6
; COMPUTE_PGM_RSRC2:TRAP_HANDLER: 0
; COMPUTE_PGM_RSRC2:TGID_X_EN: 1
; COMPUTE_PGM_RSRC2:TGID_Y_EN: 1
; COMPUTE_PGM_RSRC2:TGID_Z_EN: 0
; COMPUTE_PGM_RSRC2:TIDIG_COMP_CNT: 1
	.section	.text._ZN2at6native12_GLOBAL__N_135GammaBetaBackwardCUDAKernelTemplateIN3c108BFloat16EfLj64ELj8ELj64ELb0ELb0ELb0EEEvllPKT_S7_PKT0_SA_PS5_SB_,"axG",@progbits,_ZN2at6native12_GLOBAL__N_135GammaBetaBackwardCUDAKernelTemplateIN3c108BFloat16EfLj64ELj8ELj64ELb0ELb0ELb0EEEvllPKT_S7_PKT0_SA_PS5_SB_,comdat
	.globl	_ZN2at6native12_GLOBAL__N_135GammaBetaBackwardCUDAKernelTemplateIN3c108BFloat16EfLj64ELj8ELj64ELb0ELb0ELb0EEEvllPKT_S7_PKT0_SA_PS5_SB_ ; -- Begin function _ZN2at6native12_GLOBAL__N_135GammaBetaBackwardCUDAKernelTemplateIN3c108BFloat16EfLj64ELj8ELj64ELb0ELb0ELb0EEEvllPKT_S7_PKT0_SA_PS5_SB_
	.p2align	8
	.type	_ZN2at6native12_GLOBAL__N_135GammaBetaBackwardCUDAKernelTemplateIN3c108BFloat16EfLj64ELj8ELj64ELb0ELb0ELb0EEEvllPKT_S7_PKT0_SA_PS5_SB_,@function
_ZN2at6native12_GLOBAL__N_135GammaBetaBackwardCUDAKernelTemplateIN3c108BFloat16EfLj64ELj8ELj64ELb0ELb0ELb0EEEvllPKT_S7_PKT0_SA_PS5_SB_: ; @_ZN2at6native12_GLOBAL__N_135GammaBetaBackwardCUDAKernelTemplateIN3c108BFloat16EfLj64ELj8ELj64ELb0ELb0ELb0EEEvllPKT_S7_PKT0_SA_PS5_SB_
; %bb.0:
	s_clause 0x1
	s_load_dwordx8 s[8:15], s[4:5], 0x0
	s_load_dwordx4 s[16:19], s[4:5], 0x20
	s_lshl_b32 s28, s6, 6
	s_mov_b32 s3, 0
	s_or_b32 s2, s28, 63
	s_waitcnt lgkmcnt(0)
	v_cmp_le_i64_e64 s0, s[10:11], s[2:3]
	s_lshl_b32 s2, s7, 6
	v_cmp_gt_i64_e64 s7, s[8:9], s[2:3]
	s_and_b32 vcc_lo, exec_lo, s0
	v_cndmask_b32_e64 v2, 0, 1, s7
	v_cmp_ne_u32_e64 s0, 1, v2
	s_cbranch_vccz .LBB101_49
; %bb.1:
	v_mov_b32_e32 v11, 0
	v_mov_b32_e32 v62, 0
	s_and_b32 vcc_lo, exec_lo, s0
	s_cbranch_vccnz .LBB101_50
; %bb.2:
	v_lshlrev_b32_e32 v21, 3, v1
	v_mov_b32_e32 v2, 0
	v_add_nc_u32_e32 v5, s28, v0
	s_load_dword s1, s[4:5], 0x44
	s_add_u32 s20, s4, 64
	v_add_co_u32 v11, s0, v21, s2
	v_add_co_ci_u32_e64 v12, null, 0, 0, s0
	v_mov_b32_e32 v6, v2
	v_mul_lo_u32 v7, s11, v11
	v_mad_u64_u32 v[3:4], null, s10, v11, 0
	v_mul_lo_u32 v8, s10, v12
	v_cmp_gt_i64_e64 s0, s[10:11], v[5:6]
	v_lshlrev_b64 v[19:20], 1, v[5:6]
	s_addc_u32 s21, s5, 0
	v_mov_b32_e32 v62, 0
	v_mov_b32_e32 v54, 0
	s_mov_b64 s[26:27], s[2:3]
	v_add3_u32 v4, v4, v8, v7
	v_add_co_u32 v7, vcc_lo, v11, 7
	v_add_co_ci_u32_e64 v8, null, 0, v12, vcc_lo
	v_lshlrev_b64 v[5:6], 1, v[3:4]
	v_mul_lo_u32 v13, s11, v7
	s_waitcnt lgkmcnt(0)
	s_lshl_b32 s29, s1, 6
	v_mul_lo_u32 v14, s10, v8
	v_mad_u64_u32 v[7:8], null, s10, v7, 0
	v_add_co_u32 v22, vcc_lo, s12, v5
	v_add_co_ci_u32_e64 v23, null, s13, v6, vcc_lo
	v_add_co_u32 v9, vcc_lo, v11, 6
	v_add_co_ci_u32_e64 v10, null, 0, v12, vcc_lo
	v_add_co_u32 v24, vcc_lo, s14, v5
	v_mul_lo_u32 v15, s11, v9
	v_mul_lo_u32 v16, s10, v10
	v_mad_u64_u32 v[9:10], null, s10, v9, 0
	v_add3_u32 v8, v8, v14, v13
	v_add_co_ci_u32_e64 v25, null, s15, v6, vcc_lo
	v_add_co_u32 v13, vcc_lo, v11, 5
	v_add_co_ci_u32_e64 v14, null, 0, v12, vcc_lo
	v_add3_u32 v10, v10, v16, v15
	v_lshlrev_b64 v[5:6], 1, v[7:8]
	v_mul_lo_u32 v15, s11, v13
	v_mul_lo_u32 v14, s10, v14
	s_mul_i32 s1, s11, s29
	v_lshlrev_b64 v[7:8], 1, v[9:10]
	v_mad_u64_u32 v[9:10], null, s10, v13, 0
	v_add_co_u32 v26, vcc_lo, s12, v5
	v_add_co_ci_u32_e64 v27, null, s13, v6, vcc_lo
	v_add_co_u32 v28, vcc_lo, s14, v5
	v_add_co_ci_u32_e64 v29, null, s15, v6, vcc_lo
	v_add_co_u32 v30, vcc_lo, s12, v7
	v_add3_u32 v10, v10, v14, v15
	s_mul_hi_u32 s22, s10, s29
	v_add_co_ci_u32_e64 v31, null, s13, v8, vcc_lo
	v_add_co_u32 v13, vcc_lo, v11, 4
	s_add_i32 s23, s22, s1
	v_add_co_u32 v32, s1, s14, v7
	v_add_co_ci_u32_e64 v7, null, 0, v12, vcc_lo
	v_lshlrev_b64 v[5:6], 1, v[9:10]
	v_add_co_u32 v9, vcc_lo, v11, 3
	v_add_co_ci_u32_e64 v10, null, 0, v12, vcc_lo
	v_add_co_ci_u32_e64 v33, null, s15, v8, s1
	v_mul_lo_u32 v14, s11, v13
	v_mul_lo_u32 v15, s10, v7
	v_mad_u64_u32 v[7:8], null, s10, v13, 0
	v_mul_lo_u32 v13, s11, v9
	v_mul_lo_u32 v16, s10, v10
	v_mad_u64_u32 v[9:10], null, s10, v9, 0
	v_add_co_u32 v34, vcc_lo, s12, v5
	v_add_co_ci_u32_e64 v35, null, s13, v6, vcc_lo
	v_add3_u32 v8, v8, v15, v14
	v_add_co_u32 v36, vcc_lo, s14, v5
	v_add_co_ci_u32_e64 v37, null, s15, v6, vcc_lo
	v_add_co_u32 v11, vcc_lo, v11, 2
	v_add3_u32 v10, v10, v16, v13
	v_add_co_ci_u32_e64 v12, null, 0, v12, vcc_lo
	v_lshlrev_b64 v[5:6], 1, v[7:8]
	v_mul_lo_u32 v13, s11, v11
	v_lshlrev_b64 v[7:8], 1, v[9:10]
	v_mul_lo_u32 v12, s10, v12
	v_mad_u64_u32 v[9:10], null, s10, v11, 0
	v_add_co_u32 v38, vcc_lo, s12, v5
	v_add_co_ci_u32_e64 v39, null, s13, v6, vcc_lo
	v_add_co_u32 v40, vcc_lo, s14, v5
	v_add_co_ci_u32_e64 v41, null, s15, v6, vcc_lo
	;; [unrolled: 2-line block ×3, first 2 shown]
	v_add3_u32 v10, v10, v12, v13
	v_add_co_u32 v44, vcc_lo, s14, v7
	v_add_co_ci_u32_e64 v45, null, s15, v8, vcc_lo
	v_add_co_u32 v3, vcc_lo, v3, s10
	v_add_co_ci_u32_e64 v4, null, s11, v4, vcc_lo
	v_lshlrev_b64 v[5:6], 1, v[9:10]
	s_mul_i32 s22, s10, s29
	v_lshlrev_b64 v[3:4], 1, v[3:4]
	s_lshl_b64 s[22:23], s[22:23], 1
	s_add_u32 s24, s2, 63
	v_add_co_u32 v46, vcc_lo, s12, v5
	v_add_co_ci_u32_e64 v47, null, s13, v6, vcc_lo
	v_add_co_u32 v48, vcc_lo, s14, v5
	v_add_co_ci_u32_e64 v49, null, s15, v6, vcc_lo
	;; [unrolled: 2-line block ×4, first 2 shown]
	s_addc_u32 s25, 0, 0
.LBB101_3:                              ; =>This Inner Loop Header: Depth=1
	v_cmp_ge_i64_e64 s1, s[24:25], s[8:9]
	v_add_co_u32 v55, s30, v21, s24
	v_add_co_ci_u32_e64 v56, null, 0, s25, s30
                                        ; implicit-def: $vgpr11_vgpr12_vgpr13_vgpr14_vgpr15_vgpr16_vgpr17_vgpr18
                                        ; implicit-def: $vgpr3_vgpr4_vgpr5_vgpr6_vgpr7_vgpr8_vgpr9_vgpr10
                                        ; implicit-def: $vgpr58
                                        ; implicit-def: $vgpr3
	s_and_b32 vcc_lo, exec_lo, s1
	s_mov_b32 s1, -1
                                        ; implicit-def: $vgpr11
                                        ; implicit-def: $vgpr4
	s_cbranch_vccz .LBB101_25
; %bb.4:                                ;   in Loop: Header=BB101_3 Depth=1
	s_load_dword s1, s[20:21], 0xc
	v_mov_b32_e32 v58, 0
	v_mov_b32_e32 v57, 0
	s_waitcnt lgkmcnt(0)
	s_and_b32 s1, s1, 0xffff
	v_mad_u32_u24 v3, v1, s1, v0
	s_mov_b32 s1, exec_lo
	v_and_b32_e32 v3, 31, v3
	v_cmpx_gt_u32_e32 8, v3
	s_cbranch_execz .LBB101_8
; %bb.5:                                ;   in Loop: Header=BB101_3 Depth=1
	v_add_co_u32 v3, vcc_lo, v55, v3
	v_add_co_ci_u32_e64 v4, null, 0, v56, vcc_lo
	v_mov_b32_e32 v57, 0
	v_add_co_u32 v3, vcc_lo, 0xffffffc1, v3
	v_add_co_ci_u32_e64 v4, null, -1, v4, vcc_lo
	v_mov_b32_e32 v58, 0
	s_mov_b32 s30, exec_lo
	v_cmpx_gt_i64_e64 s[8:9], v[3:4]
	s_cbranch_execz .LBB101_7
; %bb.6:                                ;   in Loop: Header=BB101_3 Depth=1
	v_lshlrev_b64 v[3:4], 2, v[3:4]
	v_add_co_u32 v5, vcc_lo, s16, v3
	v_add_co_ci_u32_e64 v6, null, s17, v4, vcc_lo
	v_add_co_u32 v3, vcc_lo, s18, v3
	v_add_co_ci_u32_e64 v4, null, s19, v4, vcc_lo
	global_load_dword v57, v[5:6], off
	global_load_dword v58, v[3:4], off
.LBB101_7:                              ;   in Loop: Header=BB101_3 Depth=1
	s_or_b32 exec_lo, exec_lo, s30
.LBB101_8:                              ;   in Loop: Header=BB101_3 Depth=1
	s_or_b32 exec_lo, exec_lo, s1
	v_add_co_u32 v10, vcc_lo, 0xffffffc1, v55
	v_add_co_ci_u32_e64 v11, null, -1, v56, vcc_lo
	v_mov_b32_e32 v9, v2
	v_mov_b32_e32 v3, v2
	;; [unrolled: 1-line block ×7, first 2 shown]
	v_cmp_gt_i64_e32 vcc_lo, s[8:9], v[10:11]
	v_mov_b32_e32 v18, v9
	v_mov_b32_e32 v15, v6
	v_mov_b32_e32 v16, v7
	v_mov_b32_e32 v17, v8
	v_mov_b32_e32 v14, v5
	v_mov_b32_e32 v13, v4
	v_mov_b32_e32 v12, v3
	v_mov_b32_e32 v11, v2
	v_mov_b32_e32 v10, v9
	v_mov_b32_e32 v9, v8
	v_mov_b32_e32 v8, v7
	v_mov_b32_e32 v7, v6
	v_mov_b32_e32 v6, v5
	v_mov_b32_e32 v5, v4
	v_mov_b32_e32 v4, v3
	v_mov_b32_e32 v3, v2
	s_and_b32 s30, s0, vcc_lo
	s_and_saveexec_b32 s1, s30
	s_cbranch_execz .LBB101_10
; %bb.9:                                ;   in Loop: Header=BB101_3 Depth=1
	v_add_co_u32 v3, vcc_lo, v22, v19
	v_add_co_ci_u32_e64 v4, null, v23, v20, vcc_lo
	v_add_co_u32 v5, vcc_lo, v24, v19
	v_add_co_ci_u32_e64 v6, null, v25, v20, vcc_lo
	global_load_ushort v3, v[3:4], off
	global_load_ushort v11, v[5:6], off
	v_mov_b32_e32 v4, v2
	v_mov_b32_e32 v5, v2
	;; [unrolled: 1-line block ×14, first 2 shown]
	s_waitcnt vmcnt(1)
	v_lshlrev_b32_e32 v3, 16, v3
	s_waitcnt vmcnt(0)
	v_lshlrev_b32_e32 v11, 16, v11
.LBB101_10:                             ;   in Loop: Header=BB101_3 Depth=1
	s_or_b32 exec_lo, exec_lo, s1
	v_add_co_u32 v59, vcc_lo, 0xffffffc2, v55
	v_add_co_ci_u32_e64 v60, null, -1, v56, vcc_lo
	v_cmp_gt_i64_e32 vcc_lo, s[8:9], v[59:60]
	s_and_b32 s30, s0, vcc_lo
	s_and_saveexec_b32 s1, s30
	s_cbranch_execz .LBB101_12
; %bb.11:                               ;   in Loop: Header=BB101_3 Depth=1
	v_add_co_u32 v59, vcc_lo, v50, v19
	v_add_co_ci_u32_e64 v60, null, v51, v20, vcc_lo
	v_add_co_u32 v63, vcc_lo, v52, v19
	v_add_co_ci_u32_e64 v64, null, v53, v20, vcc_lo
	global_load_ushort v4, v[59:60], off
	global_load_ushort v12, v[63:64], off
	s_waitcnt vmcnt(1)
	v_lshlrev_b32_e32 v4, 16, v4
	s_waitcnt vmcnt(0)
	v_lshlrev_b32_e32 v12, 16, v12
.LBB101_12:                             ;   in Loop: Header=BB101_3 Depth=1
	s_or_b32 exec_lo, exec_lo, s1
	v_add_co_u32 v59, vcc_lo, 0xffffffc3, v55
	v_add_co_ci_u32_e64 v60, null, -1, v56, vcc_lo
	v_cmp_gt_i64_e32 vcc_lo, s[8:9], v[59:60]
	s_and_b32 s30, s0, vcc_lo
	s_and_saveexec_b32 s1, s30
	s_cbranch_execz .LBB101_14
; %bb.13:                               ;   in Loop: Header=BB101_3 Depth=1
	v_add_co_u32 v59, vcc_lo, v46, v19
	v_add_co_ci_u32_e64 v60, null, v47, v20, vcc_lo
	v_add_co_u32 v63, vcc_lo, v48, v19
	v_add_co_ci_u32_e64 v64, null, v49, v20, vcc_lo
	global_load_ushort v5, v[59:60], off
	global_load_ushort v13, v[63:64], off
	s_waitcnt vmcnt(1)
	v_lshlrev_b32_e32 v5, 16, v5
	s_waitcnt vmcnt(0)
	v_lshlrev_b32_e32 v13, 16, v13
.LBB101_14:                             ;   in Loop: Header=BB101_3 Depth=1
	;; [unrolled: 19-line block ×7, first 2 shown]
	s_or_b32 exec_lo, exec_lo, s1
	s_waitcnt vmcnt(1)
	ds_bpermute_b32 v59, v2, v57
	ds_bpermute_b32 v60, v2, v57 offset:4
	ds_bpermute_b32 v61, v2, v57 offset:8
	s_waitcnt vmcnt(0)
	ds_bpermute_b32 v63, v2, v58
	ds_bpermute_b32 v64, v2, v57 offset:12
	ds_bpermute_b32 v65, v2, v58 offset:4
	;; [unrolled: 1-line block ×7, first 2 shown]
	s_mov_b32 s1, 0
	s_waitcnt lgkmcnt(10)
	v_sub_f32_e32 v11, v11, v59
	v_add_f32_e32 v59, v62, v3
	s_waitcnt lgkmcnt(9)
	v_sub_f32_e32 v12, v12, v60
	ds_bpermute_b32 v60, v2, v58 offset:16
	s_waitcnt lgkmcnt(9)
	v_sub_f32_e32 v13, v13, v61
	v_mul_f32_e32 v3, v3, v11
	ds_bpermute_b32 v61, v2, v58 offset:20
	v_mul_f32_e32 v12, v4, v12
	v_add_f32_e32 v4, v4, v59
	v_mul_f32_e32 v13, v5, v13
	s_waitcnt lgkmcnt(9)
	v_fma_f32 v11, v3, v63, v54
	s_waitcnt lgkmcnt(8)
	v_sub_f32_e32 v3, v14, v64
	ds_bpermute_b32 v63, v2, v58 offset:24
	v_add_f32_e32 v4, v5, v4
	ds_bpermute_b32 v58, v2, v58 offset:28
	s_waitcnt lgkmcnt(9)
	v_fmac_f32_e32 v11, v12, v65
	s_waitcnt lgkmcnt(8)
	v_sub_f32_e32 v12, v15, v66
	v_mul_f32_e32 v14, v6, v3
	ds_bpermute_b32 v3, v2, v57 offset:28
	s_waitcnt lgkmcnt(6)
	v_sub_f32_e32 v5, v16, v69
	v_fmac_f32_e32 v11, v13, v67
	v_mul_f32_e32 v12, v7, v12
	v_add_f32_e32 v4, v6, v4
	s_waitcnt lgkmcnt(5)
	v_sub_f32_e32 v6, v17, v70
	v_mul_f32_e32 v5, v8, v5
	v_fmac_f32_e32 v11, v14, v68
	v_add_f32_e32 v4, v7, v4
	v_mul_f32_e32 v6, v9, v6
	s_waitcnt lgkmcnt(4)
	v_fmac_f32_e32 v11, v12, v60
	v_add_f32_e32 v4, v8, v4
	s_waitcnt lgkmcnt(3)
	v_fmac_f32_e32 v11, v5, v61
	v_add_f32_e32 v4, v9, v4
	s_waitcnt lgkmcnt(2)
	v_fmac_f32_e32 v11, v6, v63
.LBB101_25:                             ;   in Loop: Header=BB101_3 Depth=1
	s_and_b32 vcc_lo, exec_lo, s1
	s_cbranch_vccz .LBB101_40
; %bb.26:                               ;   in Loop: Header=BB101_3 Depth=1
	s_load_dword s1, s[20:21], 0x0
	s_waitcnt lgkmcnt(0)
	v_mov_b32_e32 v58, 0
	v_mov_b32_e32 v57, 0
	s_cmp_lt_u32 s6, s1
	s_cselect_b32 s1, 12, 18
	s_add_u32 s30, s20, s1
	s_addc_u32 s31, s21, 0
	s_mov_b32 s1, exec_lo
	global_load_ushort v3, v2, s[30:31]
	s_waitcnt vmcnt(0)
	v_mad_u32_u24 v3, v1, v3, v0
	v_and_b32_e32 v3, 31, v3
	v_cmpx_gt_u32_e32 8, v3
	s_cbranch_execz .LBB101_30
; %bb.27:                               ;   in Loop: Header=BB101_3 Depth=1
	v_add_co_u32 v3, vcc_lo, v55, v3
	v_add_co_ci_u32_e64 v4, null, 0, v56, vcc_lo
	v_mov_b32_e32 v57, 0
	v_add_co_u32 v3, vcc_lo, 0xffffffc1, v3
	v_add_co_ci_u32_e64 v4, null, -1, v4, vcc_lo
	v_mov_b32_e32 v58, 0
	s_mov_b32 s30, exec_lo
	v_cmpx_gt_i64_e64 s[8:9], v[3:4]
	s_cbranch_execz .LBB101_29
; %bb.28:                               ;   in Loop: Header=BB101_3 Depth=1
	v_lshlrev_b64 v[3:4], 2, v[3:4]
	v_add_co_u32 v5, vcc_lo, s16, v3
	v_add_co_ci_u32_e64 v6, null, s17, v4, vcc_lo
	v_add_co_u32 v3, vcc_lo, s18, v3
	v_add_co_ci_u32_e64 v4, null, s19, v4, vcc_lo
	global_load_dword v57, v[5:6], off
	global_load_dword v58, v[3:4], off
.LBB101_29:                             ;   in Loop: Header=BB101_3 Depth=1
	s_or_b32 exec_lo, exec_lo, s30
.LBB101_30:                             ;   in Loop: Header=BB101_3 Depth=1
	s_or_b32 exec_lo, exec_lo, s1
	v_mov_b32_e32 v9, v2
	v_mov_b32_e32 v3, v2
	;; [unrolled: 1-line block ×23, first 2 shown]
	s_and_saveexec_b32 s1, s0
	s_cbranch_execnz .LBB101_42
; %bb.31:                               ;   in Loop: Header=BB101_3 Depth=1
	s_or_b32 exec_lo, exec_lo, s1
	s_and_saveexec_b32 s1, s0
	s_cbranch_execnz .LBB101_43
.LBB101_32:                             ;   in Loop: Header=BB101_3 Depth=1
	s_or_b32 exec_lo, exec_lo, s1
	s_and_saveexec_b32 s1, s0
	s_cbranch_execnz .LBB101_44
.LBB101_33:                             ;   in Loop: Header=BB101_3 Depth=1
	s_or_b32 exec_lo, exec_lo, s1
	s_and_saveexec_b32 s1, s0
	s_cbranch_execnz .LBB101_45
.LBB101_34:                             ;   in Loop: Header=BB101_3 Depth=1
	s_or_b32 exec_lo, exec_lo, s1
	s_and_saveexec_b32 s1, s0
	s_cbranch_execnz .LBB101_46
.LBB101_35:                             ;   in Loop: Header=BB101_3 Depth=1
	s_or_b32 exec_lo, exec_lo, s1
	s_and_saveexec_b32 s1, s0
	s_cbranch_execnz .LBB101_47
.LBB101_36:                             ;   in Loop: Header=BB101_3 Depth=1
	s_or_b32 exec_lo, exec_lo, s1
	s_and_saveexec_b32 s1, s0
	s_cbranch_execnz .LBB101_48
.LBB101_37:                             ;   in Loop: Header=BB101_3 Depth=1
	s_or_b32 exec_lo, exec_lo, s1
	s_and_saveexec_b32 s1, s0
	s_cbranch_execz .LBB101_39
.LBB101_38:                             ;   in Loop: Header=BB101_3 Depth=1
	v_add_co_u32 v55, vcc_lo, v26, v19
	v_add_co_ci_u32_e64 v56, null, v27, v20, vcc_lo
	v_add_co_u32 v59, vcc_lo, v28, v19
	v_add_co_ci_u32_e64 v60, null, v29, v20, vcc_lo
	global_load_ushort v10, v[55:56], off
	global_load_ushort v18, v[59:60], off
	s_waitcnt vmcnt(1)
	v_lshlrev_b32_e32 v10, 16, v10
	s_waitcnt vmcnt(0)
	v_lshlrev_b32_e32 v18, 16, v18
.LBB101_39:                             ;   in Loop: Header=BB101_3 Depth=1
	s_or_b32 exec_lo, exec_lo, s1
	s_waitcnt vmcnt(1)
	ds_bpermute_b32 v55, v2, v57
	ds_bpermute_b32 v56, v2, v57 offset:4
	ds_bpermute_b32 v59, v2, v57 offset:8
	s_waitcnt vmcnt(0)
	ds_bpermute_b32 v60, v2, v58
	ds_bpermute_b32 v61, v2, v57 offset:12
	ds_bpermute_b32 v63, v2, v58 offset:4
	;; [unrolled: 1-line block ×5, first 2 shown]
	s_waitcnt lgkmcnt(8)
	v_sub_f32_e32 v11, v11, v55
	ds_bpermute_b32 v55, v2, v58 offset:12
	s_waitcnt lgkmcnt(8)
	v_sub_f32_e32 v12, v12, v56
	ds_bpermute_b32 v56, v2, v58 offset:16
	s_waitcnt lgkmcnt(8)
	v_sub_f32_e32 v13, v13, v59
	v_mul_f32_e32 v11, v3, v11
	v_add_f32_e32 v3, v62, v3
	v_mul_f32_e32 v12, v4, v12
	ds_bpermute_b32 v59, v2, v58 offset:20
	s_waitcnt lgkmcnt(7)
	v_sub_f32_e32 v14, v14, v61
	v_fmac_f32_e32 v54, v11, v60
	ds_bpermute_b32 v11, v2, v57 offset:24
	v_mul_f32_e32 v13, v5, v13
	v_add_f32_e32 v3, v4, v3
	s_waitcnt lgkmcnt(6)
	v_sub_f32_e32 v4, v15, v64
	v_fmac_f32_e32 v54, v12, v63
	v_mul_f32_e32 v12, v6, v14
	s_waitcnt lgkmcnt(4)
	v_sub_f32_e32 v14, v16, v66
	v_add_f32_e32 v5, v5, v3
	v_mul_f32_e32 v4, v7, v4
	v_fmac_f32_e32 v54, v13, v65
	ds_bpermute_b32 v13, v2, v58 offset:24
	ds_bpermute_b32 v58, v2, v58 offset:28
	;; [unrolled: 1-line block ×3, first 2 shown]
	v_add_f32_e32 v5, v6, v5
	s_waitcnt lgkmcnt(6)
	v_fmac_f32_e32 v54, v12, v55
	v_mul_f32_e32 v6, v8, v14
	v_add_f32_e32 v5, v7, v5
	s_waitcnt lgkmcnt(5)
	v_fmac_f32_e32 v54, v4, v56
	s_waitcnt lgkmcnt(3)
	v_sub_f32_e32 v4, v17, v11
	v_add_f32_e32 v5, v8, v5
	v_fmac_f32_e32 v54, v6, v59
	v_mul_f32_e32 v4, v9, v4
	s_waitcnt lgkmcnt(2)
	v_fmac_f32_e32 v54, v4, v13
	v_add_f32_e32 v4, v9, v5
	v_mov_b32_e32 v11, v54
.LBB101_40:                             ;   in Loop: Header=BB101_3 Depth=1
	v_add_co_u32 v22, vcc_lo, v22, s22
	v_add_co_ci_u32_e64 v23, null, s23, v23, vcc_lo
	v_add_co_u32 v24, vcc_lo, v24, s22
	v_add_co_ci_u32_e64 v25, null, s23, v25, vcc_lo
	;; [unrolled: 2-line block ×10, first 2 shown]
	v_add_co_u32 v42, vcc_lo, v42, s22
	s_waitcnt lgkmcnt(0)
	v_sub_f32_e32 v3, v18, v3
	v_add_co_ci_u32_e64 v43, null, s23, v43, vcc_lo
	v_add_co_u32 v44, vcc_lo, v44, s22
	v_add_co_ci_u32_e64 v45, null, s23, v45, vcc_lo
	v_add_co_u32 v46, vcc_lo, v46, s22
	s_add_u32 s26, s26, s29
	v_add_co_ci_u32_e64 v47, null, s23, v47, vcc_lo
	v_add_co_u32 v48, vcc_lo, v48, s22
	v_mul_f32_e32 v3, v10, v3
	s_addc_u32 s27, s27, 0
	v_add_co_ci_u32_e64 v49, null, s23, v49, vcc_lo
	v_add_co_u32 v50, vcc_lo, v50, s22
	v_cmp_lt_i64_e64 s1, s[26:27], s[8:9]
	v_add_co_ci_u32_e64 v51, null, s23, v51, vcc_lo
	v_add_co_u32 v52, vcc_lo, v52, s22
	v_add_f32_e32 v62, v4, v10
	v_fmac_f32_e32 v11, v3, v58
	v_add_co_ci_u32_e64 v53, null, s23, v53, vcc_lo
	s_add_u32 s24, s24, s29
	s_addc_u32 s25, s25, 0
	s_and_b32 vcc_lo, exec_lo, s1
	s_cbranch_vccz .LBB101_50
; %bb.41:                               ;   in Loop: Header=BB101_3 Depth=1
	v_mov_b32_e32 v54, v11
	s_branch .LBB101_3
.LBB101_42:                             ;   in Loop: Header=BB101_3 Depth=1
	v_add_co_u32 v3, vcc_lo, v22, v19
	v_add_co_ci_u32_e64 v4, null, v23, v20, vcc_lo
	v_add_co_u32 v5, vcc_lo, v24, v19
	v_add_co_ci_u32_e64 v6, null, v25, v20, vcc_lo
	global_load_ushort v3, v[3:4], off
	global_load_ushort v11, v[5:6], off
	v_mov_b32_e32 v4, v2
	v_mov_b32_e32 v5, v2
	v_mov_b32_e32 v6, v2
	v_mov_b32_e32 v7, v2
	v_mov_b32_e32 v8, v2
	v_mov_b32_e32 v9, v2
	v_mov_b32_e32 v10, v2
	v_mov_b32_e32 v12, v2
	v_mov_b32_e32 v13, v2
	v_mov_b32_e32 v14, v2
	v_mov_b32_e32 v15, v2
	v_mov_b32_e32 v16, v2
	v_mov_b32_e32 v17, v2
	v_mov_b32_e32 v18, v2
	s_waitcnt vmcnt(1)
	v_lshlrev_b32_e32 v3, 16, v3
	s_waitcnt vmcnt(0)
	v_lshlrev_b32_e32 v11, 16, v11
	s_or_b32 exec_lo, exec_lo, s1
	s_and_saveexec_b32 s1, s0
	s_cbranch_execz .LBB101_32
.LBB101_43:                             ;   in Loop: Header=BB101_3 Depth=1
	v_add_co_u32 v55, vcc_lo, v50, v19
	v_add_co_ci_u32_e64 v56, null, v51, v20, vcc_lo
	v_add_co_u32 v59, vcc_lo, v52, v19
	v_add_co_ci_u32_e64 v60, null, v53, v20, vcc_lo
	global_load_ushort v4, v[55:56], off
	global_load_ushort v12, v[59:60], off
	s_waitcnt vmcnt(1)
	v_lshlrev_b32_e32 v4, 16, v4
	s_waitcnt vmcnt(0)
	v_lshlrev_b32_e32 v12, 16, v12
	s_or_b32 exec_lo, exec_lo, s1
	s_and_saveexec_b32 s1, s0
	s_cbranch_execz .LBB101_33
.LBB101_44:                             ;   in Loop: Header=BB101_3 Depth=1
	v_add_co_u32 v55, vcc_lo, v46, v19
	v_add_co_ci_u32_e64 v56, null, v47, v20, vcc_lo
	v_add_co_u32 v59, vcc_lo, v48, v19
	v_add_co_ci_u32_e64 v60, null, v49, v20, vcc_lo
	global_load_ushort v5, v[55:56], off
	global_load_ushort v13, v[59:60], off
	s_waitcnt vmcnt(1)
	v_lshlrev_b32_e32 v5, 16, v5
	s_waitcnt vmcnt(0)
	v_lshlrev_b32_e32 v13, 16, v13
	s_or_b32 exec_lo, exec_lo, s1
	s_and_saveexec_b32 s1, s0
	s_cbranch_execz .LBB101_34
.LBB101_45:                             ;   in Loop: Header=BB101_3 Depth=1
	v_add_co_u32 v55, vcc_lo, v42, v19
	v_add_co_ci_u32_e64 v56, null, v43, v20, vcc_lo
	v_add_co_u32 v59, vcc_lo, v44, v19
	v_add_co_ci_u32_e64 v60, null, v45, v20, vcc_lo
	global_load_ushort v6, v[55:56], off
	global_load_ushort v14, v[59:60], off
	s_waitcnt vmcnt(1)
	v_lshlrev_b32_e32 v6, 16, v6
	s_waitcnt vmcnt(0)
	v_lshlrev_b32_e32 v14, 16, v14
	s_or_b32 exec_lo, exec_lo, s1
	s_and_saveexec_b32 s1, s0
	s_cbranch_execz .LBB101_35
.LBB101_46:                             ;   in Loop: Header=BB101_3 Depth=1
	v_add_co_u32 v55, vcc_lo, v38, v19
	v_add_co_ci_u32_e64 v56, null, v39, v20, vcc_lo
	v_add_co_u32 v59, vcc_lo, v40, v19
	v_add_co_ci_u32_e64 v60, null, v41, v20, vcc_lo
	global_load_ushort v7, v[55:56], off
	global_load_ushort v15, v[59:60], off
	s_waitcnt vmcnt(1)
	v_lshlrev_b32_e32 v7, 16, v7
	s_waitcnt vmcnt(0)
	v_lshlrev_b32_e32 v15, 16, v15
	s_or_b32 exec_lo, exec_lo, s1
	s_and_saveexec_b32 s1, s0
	s_cbranch_execz .LBB101_36
.LBB101_47:                             ;   in Loop: Header=BB101_3 Depth=1
	v_add_co_u32 v55, vcc_lo, v34, v19
	v_add_co_ci_u32_e64 v56, null, v35, v20, vcc_lo
	v_add_co_u32 v59, vcc_lo, v36, v19
	v_add_co_ci_u32_e64 v60, null, v37, v20, vcc_lo
	global_load_ushort v8, v[55:56], off
	global_load_ushort v16, v[59:60], off
	s_waitcnt vmcnt(1)
	v_lshlrev_b32_e32 v8, 16, v8
	s_waitcnt vmcnt(0)
	v_lshlrev_b32_e32 v16, 16, v16
	s_or_b32 exec_lo, exec_lo, s1
	s_and_saveexec_b32 s1, s0
	s_cbranch_execz .LBB101_37
.LBB101_48:                             ;   in Loop: Header=BB101_3 Depth=1
	v_add_co_u32 v55, vcc_lo, v30, v19
	v_add_co_ci_u32_e64 v56, null, v31, v20, vcc_lo
	v_add_co_u32 v59, vcc_lo, v32, v19
	v_add_co_ci_u32_e64 v60, null, v33, v20, vcc_lo
	global_load_ushort v9, v[55:56], off
	global_load_ushort v17, v[59:60], off
	s_waitcnt vmcnt(1)
	v_lshlrev_b32_e32 v9, 16, v9
	s_waitcnt vmcnt(0)
	v_lshlrev_b32_e32 v17, 16, v17
	s_or_b32 exec_lo, exec_lo, s1
	s_and_saveexec_b32 s1, s0
	s_cbranch_execnz .LBB101_38
	s_branch .LBB101_39
.LBB101_49:
                                        ; implicit-def: $vgpr11
                                        ; implicit-def: $vgpr62
	s_branch .LBB101_51
.LBB101_50:
	s_cbranch_execnz .LBB101_83
.LBB101_51:
	v_mov_b32_e32 v11, 0
	v_mov_b32_e32 v62, 0
	s_andn2_b32 vcc_lo, exec_lo, s7
	s_cbranch_vccnz .LBB101_83
; %bb.52:
	s_load_dword s0, s[4:5], 0x44
	v_lshlrev_b32_e32 v49, 3, v1
	s_add_u32 s20, s4, 64
	s_addc_u32 s21, s5, 0
	v_lshlrev_b32_e32 v6, 4, v1
	v_mov_b32_e32 v84, 0
	v_add_co_u32 v10, s1, v49, s2
	v_add_co_ci_u32_e64 v11, null, 0, 0, s1
	v_mov_b32_e32 v83, 0
	v_mul_lo_u32 v4, s11, v10
	v_mad_u64_u32 v[2:3], null, s10, v10, 0
	v_mul_lo_u32 v5, s10, v11
	s_waitcnt lgkmcnt(0)
	s_lshl_b32 s1, s0, 6
	v_add3_u32 v3, v3, v5, v4
	s_mul_i32 s0, s11, s1
	s_mul_hi_u32 s7, s10, s1
	s_mul_i32 s22, s10, s1
	s_add_i32 s23, s7, s0
	v_lshlrev_b64 v[4:5], 1, v[2:3]
	s_lshl_b64 s[22:23], s[22:23], 1
	s_add_u32 s24, s2, 63
	s_addc_u32 s25, 0, 0
	s_lshl_b64 s[26:27], s[2:3], 1
	v_add_co_u32 v6, s0, v6, s26
	v_add_co_ci_u32_e64 v7, null, 0, s27, s0
	v_add_co_u32 v8, vcc_lo, v6, 2
	v_add_co_ci_u32_e64 v9, null, 0, v7, vcc_lo
	v_add_co_u32 v50, vcc_lo, s12, v4
	v_add_co_ci_u32_e64 v51, null, s13, v5, vcc_lo
	;; [unrolled: 2-line block ×6, first 2 shown]
	v_add_co_u32 v41, vcc_lo, v6, 10
	v_mad_u64_u32 v[21:22], null, s10, v4, s[12:13]
	v_mul_lo_u32 v5, s10, v5
	v_mul_lo_u32 v15, s11, v4
	v_mad_u64_u32 v[35:36], null, s10, v4, s[14:15]
	v_add_co_ci_u32_e64 v29, null, 0, v7, vcc_lo
	v_add_co_u32 v43, vcc_lo, v6, 12
	v_add_co_ci_u32_e64 v31, null, 0, v7, vcc_lo
	v_add_co_u32 v6, vcc_lo, v6, 14
	v_mad_u64_u32 v[19:20], null, s10, v8, s[12:13]
	v_mul_lo_u32 v9, s10, v9
	v_mul_lo_u32 v12, s11, v8
	v_mad_u64_u32 v[33:34], null, s10, v8, s[14:15]
	v_add_co_ci_u32_e64 v7, null, 0, v7, vcc_lo
	v_add_co_u32 v4, vcc_lo, v10, 7
	v_add3_u32 v22, v15, v22, v5
	v_add3_u32 v36, v15, v36, v5
	v_add_co_ci_u32_e64 v5, null, 0, v11, vcc_lo
	v_mul_lo_u32 v57, s10, v7
	v_add_co_u32 v7, vcc_lo, v10, 6
	v_add3_u32 v20, v12, v20, v9
	v_add3_u32 v34, v12, v34, v9
	v_add_co_ci_u32_e64 v12, null, 0, v11, vcc_lo
	v_mul_lo_u32 v8, s11, v4
	v_mul_lo_u32 v9, s10, v5
	v_mad_u64_u32 v[4:5], null, s10, v4, 0
	v_mad_u64_u32 v[23:24], null, s10, v13, s[12:13]
	v_mul_lo_u32 v17, s11, v13
	v_mul_lo_u32 v55, s10, v31
	v_mad_u64_u32 v[31:32], null, s10, v6, s[12:13]
	v_mul_lo_u32 v58, s11, v6
	v_mad_u64_u32 v[37:38], null, s10, v13, s[14:15]
	v_mad_u64_u32 v[45:46], null, s10, v6, s[14:15]
	v_mul_lo_u32 v13, s11, v7
	v_mul_lo_u32 v12, s10, v12
	v_mad_u64_u32 v[6:7], null, s10, v7, 0
	v_add3_u32 v5, v5, v9, v8
	v_add_co_u32 v8, vcc_lo, v10, 5
	v_mad_u64_u32 v[27:28], null, s10, v41, s[12:13]
	v_mul_lo_u32 v48, s10, v29
	v_mul_lo_u32 v54, s11, v41
	v_mad_u64_u32 v[41:42], null, s10, v41, s[14:15]
	v_add3_u32 v7, v7, v12, v13
	v_add_co_ci_u32_e64 v9, null, 0, v11, vcc_lo
	v_mad_u64_u32 v[29:30], null, s10, v43, s[12:13]
	v_mul_lo_u32 v56, s11, v43
	v_mad_u64_u32 v[43:44], null, s10, v43, s[14:15]
	v_lshlrev_b64 v[4:5], 1, v[4:5]
	v_lshlrev_b64 v[6:7], 1, v[6:7]
	v_mul_lo_u32 v12, s11, v8
	v_mul_lo_u32 v13, s10, v9
	v_mad_u64_u32 v[8:9], null, s10, v8, 0
	v_add3_u32 v28, v54, v28, v48
	v_add3_u32 v42, v54, v42, v48
	v_add_co_u32 v54, vcc_lo, s12, v4
	v_add3_u32 v30, v56, v30, v55
	v_add3_u32 v44, v56, v44, v55
	v_add_co_ci_u32_e64 v55, null, s13, v5, vcc_lo
	v_add_co_u32 v56, vcc_lo, s14, v4
	v_add3_u32 v32, v58, v32, v57
	v_add3_u32 v46, v58, v46, v57
	v_add_co_ci_u32_e64 v57, null, s15, v5, vcc_lo
	v_add_co_u32 v58, vcc_lo, s12, v6
	v_add_co_ci_u32_e64 v59, null, s13, v7, vcc_lo
	v_add3_u32 v9, v9, v13, v12
	v_add_co_u32 v12, vcc_lo, v10, 4
	v_add_co_ci_u32_e64 v13, null, 0, v11, vcc_lo
	v_add_co_u32 v60, vcc_lo, s14, v6
	v_add_co_ci_u32_e64 v61, null, s15, v7, vcc_lo
	v_lshlrev_b64 v[4:5], 1, v[8:9]
	v_mul_lo_u32 v8, s11, v12
	v_mul_lo_u32 v9, s10, v13
	v_mad_u64_u32 v[6:7], null, s10, v12, 0
	v_mul_lo_u32 v14, s10, v14
	v_add_co_u32 v12, vcc_lo, v10, 3
	v_add_co_ci_u32_e64 v13, null, 0, v11, vcc_lo
	v_add_co_u32 v63, vcc_lo, s12, v4
	v_add_co_ci_u32_e64 v64, null, s13, v5, vcc_lo
	v_add3_u32 v7, v7, v9, v8
	v_add_co_u32 v10, vcc_lo, v10, 2
	v_add3_u32 v24, v17, v24, v14
	v_add3_u32 v38, v17, v38, v14
	v_mul_lo_u32 v14, s11, v12
	v_mul_lo_u32 v13, s10, v13
	v_mad_u64_u32 v[8:9], null, s10, v12, 0
	v_add_co_ci_u32_e64 v11, null, 0, v11, vcc_lo
	v_add_co_u32 v65, vcc_lo, s14, v4
	v_add_co_ci_u32_e64 v66, null, s15, v5, vcc_lo
	v_lshlrev_b64 v[4:5], 1, v[6:7]
	v_mul_lo_u32 v12, s11, v10
	v_mul_lo_u32 v11, s10, v11
	v_mad_u64_u32 v[6:7], null, s10, v10, 0
	v_add3_u32 v9, v9, v13, v14
	v_add_co_u32 v67, vcc_lo, s12, v4
	v_add_co_ci_u32_e64 v68, null, s13, v5, vcc_lo
	v_add_co_u32 v69, vcc_lo, s14, v4
	v_add_co_ci_u32_e64 v70, null, s15, v5, vcc_lo
	v_lshlrev_b64 v[4:5], 1, v[8:9]
	v_add3_u32 v7, v7, v11, v12
	v_add_co_u32 v2, vcc_lo, v2, s10
	v_add_co_ci_u32_e64 v3, null, s11, v3, vcc_lo
	v_lshlrev_b64 v[6:7], 1, v[6:7]
	v_add_co_u32 v71, vcc_lo, s12, v4
	v_add_co_ci_u32_e64 v72, null, s13, v5, vcc_lo
	v_add_co_u32 v73, vcc_lo, s14, v4
	v_lshlrev_b64 v[3:4], 1, v[2:3]
	v_mov_b32_e32 v2, 0
	v_mad_u64_u32 v[25:26], null, s10, v16, s[12:13]
	v_mul_lo_u32 v18, s10, v18
	v_mul_lo_u32 v47, s11, v16
	v_mad_u64_u32 v[39:40], null, s10, v16, s[14:15]
	v_add_co_ci_u32_e64 v74, null, s15, v5, vcc_lo
	v_add_co_u32 v75, vcc_lo, s12, v6
	v_add_co_ci_u32_e64 v76, null, s13, v7, vcc_lo
	v_add_co_u32 v77, vcc_lo, s14, v6
	v_add_nc_u32_e32 v5, s28, v0
	v_mov_b32_e32 v6, v2
	v_add_co_ci_u32_e64 v78, null, s15, v7, vcc_lo
	v_add_co_u32 v79, vcc_lo, s12, v3
	v_add_co_ci_u32_e64 v80, null, s13, v4, vcc_lo
	v_add_co_u32 v81, vcc_lo, s14, v3
	v_add3_u32 v26, v47, v26, v18
	v_add3_u32 v40, v47, v40, v18
	v_lshlrev_b64 v[47:48], 1, v[5:6]
	v_add_co_ci_u32_e64 v82, null, s15, v4, vcc_lo
.LBB101_53:                             ; =>This Inner Loop Header: Depth=1
	v_cmp_ge_i64_e64 s0, s[24:25], s[8:9]
	v_add_co_u32 v85, s7, v49, s24
	v_add_co_ci_u32_e64 v86, null, 0, s25, s7
                                        ; implicit-def: $vgpr62
                                        ; implicit-def: $vgpr11
	s_and_b32 vcc_lo, exec_lo, s0
	s_mov_b32 s0, -1
	s_cbranch_vccz .LBB101_75
; %bb.54:                               ;   in Loop: Header=BB101_53 Depth=1
	s_load_dword s0, s[20:21], 0xc
	v_mov_b32_e32 v87, 0
	v_mov_b32_e32 v62, 0
	s_waitcnt lgkmcnt(0)
	s_and_b32 s0, s0, 0xffff
	v_mad_u32_u24 v3, v1, s0, v0
	s_mov_b32 s0, exec_lo
	v_and_b32_e32 v3, 31, v3
	v_cmpx_gt_u32_e32 8, v3
	s_cbranch_execz .LBB101_58
; %bb.55:                               ;   in Loop: Header=BB101_53 Depth=1
	v_add_co_u32 v3, vcc_lo, v85, v3
	v_add_co_ci_u32_e64 v4, null, 0, v86, vcc_lo
	v_mov_b32_e32 v62, 0
	v_add_co_u32 v3, vcc_lo, 0xffffffc1, v3
	v_add_co_ci_u32_e64 v4, null, -1, v4, vcc_lo
	v_mov_b32_e32 v87, 0
	s_mov_b32 s7, exec_lo
	v_cmpx_gt_i64_e64 s[8:9], v[3:4]
	s_cbranch_execz .LBB101_57
; %bb.56:                               ;   in Loop: Header=BB101_53 Depth=1
	v_lshlrev_b64 v[3:4], 2, v[3:4]
	v_add_co_u32 v5, vcc_lo, s16, v3
	v_add_co_ci_u32_e64 v6, null, s17, v4, vcc_lo
	v_add_co_u32 v3, vcc_lo, s18, v3
	v_add_co_ci_u32_e64 v4, null, s19, v4, vcc_lo
	global_load_dword v62, v[5:6], off
	global_load_dword v87, v[3:4], off
.LBB101_57:                             ;   in Loop: Header=BB101_53 Depth=1
	s_or_b32 exec_lo, exec_lo, s7
.LBB101_58:                             ;   in Loop: Header=BB101_53 Depth=1
	s_or_b32 exec_lo, exec_lo, s0
	v_add_co_u32 v10, vcc_lo, 0xffffffc1, v85
	v_add_co_ci_u32_e64 v11, null, -1, v86, vcc_lo
	v_mov_b32_e32 v9, v2
	v_mov_b32_e32 v3, v2
	;; [unrolled: 1-line block ×7, first 2 shown]
	v_cmp_gt_i64_e32 vcc_lo, s[8:9], v[10:11]
	v_mov_b32_e32 v18, v9
	v_mov_b32_e32 v15, v6
	;; [unrolled: 1-line block ×16, first 2 shown]
	s_and_saveexec_b32 s0, vcc_lo
	s_cbranch_execz .LBB101_60
; %bb.59:                               ;   in Loop: Header=BB101_53 Depth=1
	v_add_co_u32 v3, vcc_lo, v50, v47
	v_add_co_ci_u32_e64 v4, null, v51, v48, vcc_lo
	v_add_co_u32 v5, vcc_lo, v52, v47
	v_add_co_ci_u32_e64 v6, null, v53, v48, vcc_lo
	global_load_ushort v3, v[3:4], off
	global_load_ushort v11, v[5:6], off
	v_mov_b32_e32 v4, v2
	v_mov_b32_e32 v5, v2
	;; [unrolled: 1-line block ×14, first 2 shown]
	s_waitcnt vmcnt(1)
	v_lshlrev_b32_e32 v3, 16, v3
	s_waitcnt vmcnt(0)
	v_lshlrev_b32_e32 v11, 16, v11
.LBB101_60:                             ;   in Loop: Header=BB101_53 Depth=1
	s_or_b32 exec_lo, exec_lo, s0
	v_add_co_u32 v88, vcc_lo, 0xffffffc2, v85
	v_add_co_ci_u32_e64 v89, null, -1, v86, vcc_lo
	s_mov_b32 s0, exec_lo
	v_cmpx_gt_i64_e64 s[8:9], v[88:89]
	s_cbranch_execz .LBB101_62
; %bb.61:                               ;   in Loop: Header=BB101_53 Depth=1
	v_add_co_u32 v88, vcc_lo, v79, v47
	v_add_co_ci_u32_e64 v89, null, v80, v48, vcc_lo
	v_add_co_u32 v90, vcc_lo, v81, v47
	v_add_co_ci_u32_e64 v91, null, v82, v48, vcc_lo
	global_load_ushort v4, v[88:89], off
	global_load_ushort v12, v[90:91], off
	s_waitcnt vmcnt(1)
	v_lshlrev_b32_e32 v4, 16, v4
	s_waitcnt vmcnt(0)
	v_lshlrev_b32_e32 v12, 16, v12
.LBB101_62:                             ;   in Loop: Header=BB101_53 Depth=1
	s_or_b32 exec_lo, exec_lo, s0
	v_add_co_u32 v88, vcc_lo, 0xffffffc3, v85
	v_add_co_ci_u32_e64 v89, null, -1, v86, vcc_lo
	s_mov_b32 s0, exec_lo
	v_cmpx_gt_i64_e64 s[8:9], v[88:89]
	s_cbranch_execz .LBB101_64
; %bb.63:                               ;   in Loop: Header=BB101_53 Depth=1
	v_add_co_u32 v88, vcc_lo, v75, v47
	v_add_co_ci_u32_e64 v89, null, v76, v48, vcc_lo
	v_add_co_u32 v90, vcc_lo, v77, v47
	v_add_co_ci_u32_e64 v91, null, v78, v48, vcc_lo
	global_load_ushort v5, v[88:89], off
	global_load_ushort v13, v[90:91], off
	s_waitcnt vmcnt(1)
	v_lshlrev_b32_e32 v5, 16, v5
	s_waitcnt vmcnt(0)
	v_lshlrev_b32_e32 v13, 16, v13
.LBB101_64:                             ;   in Loop: Header=BB101_53 Depth=1
	;; [unrolled: 18-line block ×7, first 2 shown]
	s_or_b32 exec_lo, exec_lo, s0
	s_waitcnt vmcnt(1)
	ds_bpermute_b32 v89, v2, v62
	s_waitcnt vmcnt(0)
	ds_bpermute_b32 v88, v2, v87
	s_mov_b32 s0, 0
	s_waitcnt lgkmcnt(1)
	v_sub_f32_e32 v11, v11, v89
	ds_bpermute_b32 v89, v2, v62 offset:4
	v_mul_f32_e32 v11, v3, v11
	v_add_f32_e32 v3, v84, v3
	s_waitcnt lgkmcnt(1)
	v_fma_f32 v11, v11, v88, v83
	ds_bpermute_b32 v88, v2, v87 offset:4
	v_add_f32_e32 v3, v4, v3
	v_add_f32_e32 v3, v5, v3
	s_waitcnt lgkmcnt(1)
	v_sub_f32_e32 v12, v12, v89
	v_add_f32_e32 v3, v6, v3
	v_mul_f32_e32 v12, v4, v12
	ds_bpermute_b32 v4, v2, v87 offset:8
	v_add_f32_e32 v3, v7, v3
	s_waitcnt lgkmcnt(1)
	v_fmac_f32_e32 v11, v12, v88
	ds_bpermute_b32 v12, v2, v62 offset:8
	v_add_f32_e32 v3, v8, v3
	v_add_f32_e32 v3, v9, v3
	s_waitcnt lgkmcnt(0)
	v_sub_f32_e32 v12, v13, v12
	v_mul_f32_e32 v12, v5, v12
	ds_bpermute_b32 v5, v2, v62 offset:12
	v_fmac_f32_e32 v11, v12, v4
	ds_bpermute_b32 v4, v2, v87 offset:12
	s_waitcnt lgkmcnt(1)
	v_sub_f32_e32 v5, v14, v5
	v_mul_f32_e32 v5, v6, v5
	s_waitcnt lgkmcnt(0)
	v_fmac_f32_e32 v11, v5, v4
	ds_bpermute_b32 v5, v2, v62 offset:16
	ds_bpermute_b32 v4, v2, v87 offset:16
	s_waitcnt lgkmcnt(1)
	v_sub_f32_e32 v5, v15, v5
	v_mul_f32_e32 v5, v7, v5
	s_waitcnt lgkmcnt(0)
	v_fmac_f32_e32 v11, v5, v4
	ds_bpermute_b32 v5, v2, v62 offset:20
	;; [unrolled: 7-line block ×4, first 2 shown]
	ds_bpermute_b32 v4, v2, v87 offset:28
	v_add_f32_e32 v62, v10, v3
	s_waitcnt lgkmcnt(1)
	v_sub_f32_e32 v5, v18, v5
	v_mul_f32_e32 v5, v10, v5
	s_waitcnt lgkmcnt(0)
	v_fmac_f32_e32 v11, v5, v4
.LBB101_75:                             ;   in Loop: Header=BB101_53 Depth=1
	s_and_b32 vcc_lo, exec_lo, s0
	s_cbranch_vccz .LBB101_81
; %bb.76:                               ;   in Loop: Header=BB101_53 Depth=1
	s_load_dword s0, s[20:21], 0x0
	v_mov_b32_e32 v6, 0
	v_mov_b32_e32 v5, 0
	s_waitcnt lgkmcnt(0)
	s_cmp_lt_u32 s6, s0
	s_cselect_b32 s0, 12, 18
	s_add_u32 s12, s20, s0
	s_addc_u32 s13, s21, 0
	s_mov_b32 s0, exec_lo
	global_load_ushort v3, v2, s[12:13]
	s_waitcnt vmcnt(0)
	v_mad_u32_u24 v3, v1, v3, v0
	v_and_b32_e32 v3, 31, v3
	v_cmpx_gt_u32_e32 8, v3
	s_cbranch_execz .LBB101_80
; %bb.77:                               ;   in Loop: Header=BB101_53 Depth=1
	v_add_co_u32 v3, vcc_lo, v85, v3
	v_add_co_ci_u32_e64 v4, null, 0, v86, vcc_lo
	v_mov_b32_e32 v5, 0
	v_add_co_u32 v3, vcc_lo, 0xffffffc1, v3
	v_add_co_ci_u32_e64 v4, null, -1, v4, vcc_lo
	v_mov_b32_e32 v6, 0
	s_mov_b32 s7, exec_lo
	v_cmpx_gt_i64_e64 s[8:9], v[3:4]
	s_cbranch_execz .LBB101_79
; %bb.78:                               ;   in Loop: Header=BB101_53 Depth=1
	v_lshlrev_b64 v[3:4], 2, v[3:4]
	v_add_co_u32 v5, vcc_lo, s16, v3
	v_add_co_ci_u32_e64 v6, null, s17, v4, vcc_lo
	v_add_co_u32 v3, vcc_lo, s18, v3
	v_add_co_ci_u32_e64 v4, null, s19, v4, vcc_lo
	global_load_dword v5, v[5:6], off
	global_load_dword v6, v[3:4], off
.LBB101_79:                             ;   in Loop: Header=BB101_53 Depth=1
	s_or_b32 exec_lo, exec_lo, s7
.LBB101_80:                             ;   in Loop: Header=BB101_53 Depth=1
	s_or_b32 exec_lo, exec_lo, s0
	v_add_co_u32 v3, vcc_lo, v50, v47
	v_add_co_ci_u32_e64 v4, null, v51, v48, vcc_lo
	v_add_co_u32 v7, vcc_lo, v52, v47
	v_add_co_ci_u32_e64 v8, null, v53, v48, vcc_lo
	global_load_ushort v15, v[3:4], off
	v_add_co_u32 v3, vcc_lo, v19, v47
	v_add_co_ci_u32_e64 v4, null, v20, v48, vcc_lo
	v_add_co_u32 v9, vcc_lo, v33, v47
	v_add_co_ci_u32_e64 v10, null, v34, v48, vcc_lo
	;; [unrolled: 2-line block ×4, first 2 shown]
	global_load_ushort v16, v[7:8], off
	global_load_ushort v17, v[3:4], off
	;; [unrolled: 1-line block ×5, first 2 shown]
	v_add_co_u32 v3, vcc_lo, v23, v47
	v_add_co_ci_u32_e64 v4, null, v24, v48, vcc_lo
	v_add_co_u32 v7, vcc_lo, v37, v47
	v_add_co_ci_u32_e64 v8, null, v38, v48, vcc_lo
	;; [unrolled: 2-line block ×5, first 2 shown]
	global_load_ushort v86, v[7:8], off
	global_load_ushort v87, v[3:4], off
	;; [unrolled: 1-line block ×5, first 2 shown]
	v_add_co_u32 v3, vcc_lo, v41, v47
	v_add_co_ci_u32_e64 v4, null, v42, v48, vcc_lo
	v_add_co_u32 v7, vcc_lo, v29, v47
	v_add_co_ci_u32_e64 v8, null, v30, v48, vcc_lo
	;; [unrolled: 2-line block ×3, first 2 shown]
	global_load_ushort v13, v[3:4], off
	global_load_ushort v14, v[7:8], off
	;; [unrolled: 1-line block ×3, first 2 shown]
	v_add_co_u32 v7, s0, v45, v47
	v_add_co_u32 v3, vcc_lo, v31, v47
	v_add_co_ci_u32_e64 v8, null, v46, v48, s0
	v_add_co_ci_u32_e64 v4, null, v32, v48, vcc_lo
	global_load_ushort v7, v[7:8], off
	global_load_ushort v3, v[3:4], off
	s_waitcnt vmcnt(17)
	ds_bpermute_b32 v4, v2, v5
	s_waitcnt vmcnt(16)
	ds_bpermute_b32 v8, v2, v6
	ds_bpermute_b32 v89, v2, v5 offset:8
	ds_bpermute_b32 v90, v2, v6 offset:4
	;; [unrolled: 1-line block ×4, first 2 shown]
	s_waitcnt vmcnt(15)
	v_lshlrev_b32_e32 v15, 16, v15
	s_waitcnt vmcnt(14)
	v_lshlrev_b32_e32 v10, 16, v16
	ds_bpermute_b32 v16, v2, v5 offset:4
	s_waitcnt vmcnt(12)
	v_lshlrev_b32_e32 v18, 16, v18
	v_lshlrev_b32_e32 v17, 16, v17
	s_waitcnt vmcnt(10)
	v_lshlrev_b32_e32 v85, 16, v85
	s_waitcnt lgkmcnt(6)
	v_sub_f32_e32 v4, v10, v4
	ds_bpermute_b32 v10, v2, v5 offset:12
	v_lshlrev_b32_e32 v62, 16, v62
	s_waitcnt lgkmcnt(5)
	v_sub_f32_e32 v85, v85, v89
	v_mul_f32_e32 v4, v4, v15
	v_add_f32_e32 v15, v84, v15
	ds_bpermute_b32 v84, v2, v6 offset:20
	ds_bpermute_b32 v89, v2, v6 offset:24
	v_mul_f32_e32 v85, v85, v62
	v_fmac_f32_e32 v83, v4, v8
	ds_bpermute_b32 v8, v2, v5 offset:16
	ds_bpermute_b32 v4, v2, v6 offset:16
	;; [unrolled: 1-line block ×3, first 2 shown]
	s_waitcnt vmcnt(9)
	v_lshlrev_b32_e32 v86, 16, v86
	s_waitcnt lgkmcnt(6)
	v_sub_f32_e32 v16, v18, v16
	ds_bpermute_b32 v18, v2, v5 offset:20
	s_waitcnt vmcnt(8)
	v_lshlrev_b32_e32 v87, 16, v87
	s_waitcnt vmcnt(6)
	v_lshlrev_b32_e32 v11, 16, v11
	s_waitcnt lgkmcnt(6)
	v_sub_f32_e32 v10, v86, v10
	ds_bpermute_b32 v86, v2, v5 offset:24
	v_mul_f32_e32 v16, v16, v17
	ds_bpermute_b32 v5, v2, v5 offset:28
	v_lshlrev_b32_e32 v88, 16, v88
	v_mul_f32_e32 v10, v10, v87
	s_waitcnt vmcnt(5)
	v_lshlrev_b32_e32 v12, 16, v12
	v_fmac_f32_e32 v83, v16, v90
	s_waitcnt lgkmcnt(5)
	v_sub_f32_e32 v8, v11, v8
	s_waitcnt vmcnt(4)
	v_lshlrev_b32_e32 v13, 16, v13
	v_add_f32_e32 v11, v15, v17
	v_fmac_f32_e32 v83, v85, v91
	s_waitcnt vmcnt(2)
	v_lshlrev_b32_e32 v9, 16, v9
	v_mul_f32_e32 v8, v8, v88
	s_waitcnt lgkmcnt(2)
	v_sub_f32_e32 v13, v13, v18
	v_add_f32_e32 v11, v11, v62
	v_fmac_f32_e32 v83, v10, v92
	v_lshlrev_b32_e32 v10, 16, v14
	s_waitcnt lgkmcnt(1)
	v_sub_f32_e32 v9, v9, v86
	v_mul_f32_e32 v13, v13, v12
	v_add_f32_e32 v11, v11, v87
	v_fmac_f32_e32 v83, v8, v4
	s_waitcnt vmcnt(1)
	v_lshlrev_b32_e32 v4, 16, v7
	s_waitcnt vmcnt(0)
	v_lshlrev_b32_e32 v3, 16, v3
	v_mul_f32_e32 v7, v9, v10
	v_add_f32_e32 v8, v11, v88
	v_fmac_f32_e32 v83, v13, v84
	s_waitcnt lgkmcnt(0)
	v_sub_f32_e32 v4, v4, v5
	v_add_f32_e32 v5, v8, v12
	v_fmac_f32_e32 v83, v7, v89
	v_mul_f32_e32 v4, v4, v3
	v_add_f32_e32 v5, v5, v10
	v_fmac_f32_e32 v83, v4, v6
	v_add_f32_e32 v62, v5, v3
	v_mov_b32_e32 v11, v83
.LBB101_81:                             ;   in Loop: Header=BB101_53 Depth=1
	v_add_co_u32 v50, vcc_lo, v50, s22
	v_add_co_ci_u32_e64 v51, null, s23, v51, vcc_lo
	v_add_co_u32 v52, vcc_lo, v52, s22
	v_add_co_ci_u32_e64 v53, null, s23, v53, vcc_lo
	;; [unrolled: 2-line block ×26, first 2 shown]
	v_add_co_u32 v75, vcc_lo, v75, s22
	s_add_u32 s2, s2, s1
	v_add_co_ci_u32_e64 v76, null, s23, v76, vcc_lo
	v_add_co_u32 v77, vcc_lo, v77, s22
	s_addc_u32 s3, s3, 0
	v_add_co_ci_u32_e64 v78, null, s23, v78, vcc_lo
	v_add_co_u32 v79, vcc_lo, v79, s22
	v_cmp_ge_i64_e64 s0, s[2:3], s[8:9]
	v_add_co_ci_u32_e64 v80, null, s23, v80, vcc_lo
	v_add_co_u32 v81, vcc_lo, v81, s22
	v_add_co_ci_u32_e64 v82, null, s23, v82, vcc_lo
	s_add_u32 s24, s24, s1
	s_addc_u32 s25, s25, 0
	s_and_b32 vcc_lo, exec_lo, s0
	s_cbranch_vccnz .LBB101_83
; %bb.82:                               ;   in Loop: Header=BB101_53 Depth=1
	v_mov_b32_e32 v84, v62
	v_mov_b32_e32 v83, v11
	s_branch .LBB101_53
.LBB101_83:
	v_mad_u32_u24 v2, 0x41, v1, v0
	s_mov_b32 s0, exec_lo
	v_lshl_add_u32 v3, v2, 2, 0
	v_sub_nc_u32_e32 v4, v2, v1
	ds_write_b32 v3, v11
	ds_write_b32 v3, v62 offset:2080
	s_waitcnt lgkmcnt(0)
	s_barrier
	buffer_gl0_inv
	v_cmpx_gt_u32_e32 0x800, v4
	s_cbranch_execz .LBB101_115
; %bb.84:
	s_load_dwordx4 s[12:15], s[4:5], 0x30
	v_and_b32_e32 v1, 31, v0
	v_lshrrev_b32_e32 v3, 5, v4
                                        ; implicit-def: $vgpr2
	v_cmp_gt_u32_e64 s0, 8, v1
	v_mul_u32_u24_e32 v5, 0x41, v1
                                        ; implicit-def: $vgpr1
	s_and_saveexec_b32 s1, s0
	s_cbranch_execz .LBB101_86
; %bb.85:
	v_add_nc_u32_e32 v1, v3, v5
	v_lshl_add_u32 v1, v1, 2, 0
	ds_read_b32 v2, v1
	ds_read_b32 v1, v1 offset:2080
.LBB101_86:
	s_or_b32 exec_lo, exec_lo, s1
	v_mbcnt_lo_u32_b32 v8, -1, 0
	s_mov_b32 s7, 0
	v_cmp_eq_u32_e64 s1, 0, v0
	s_lshl_b64 s[2:3], s[6:7], 6
	s_waitcnt lgkmcnt(0)
	s_cmp_lg_u64 s[12:13], 0
	v_xor_b32_e32 v6, 4, v8
	v_xor_b32_e32 v7, 2, v8
	;; [unrolled: 1-line block ×3, first 2 shown]
	s_cselect_b32 s5, -1, 0
	s_cmp_lg_u64 s[14:15], 0
	v_cmp_gt_i32_e32 vcc_lo, 32, v6
	s_cselect_b32 s4, -1, 0
	v_cndmask_b32_e32 v6, v8, v6, vcc_lo
	v_cmp_gt_i32_e32 vcc_lo, 32, v7
	v_lshlrev_b32_e32 v6, 2, v6
	v_cndmask_b32_e32 v7, v8, v7, vcc_lo
	v_cmp_gt_i32_e32 vcc_lo, 32, v11
	ds_bpermute_b32 v9, v6, v2
	ds_bpermute_b32 v10, v6, v1
	v_lshlrev_b32_e32 v7, 2, v7
	v_cndmask_b32_e32 v8, v8, v11, vcc_lo
	v_lshlrev_b32_e32 v8, 2, v8
	s_waitcnt lgkmcnt(1)
	v_add_f32_e32 v2, v2, v9
	s_waitcnt lgkmcnt(0)
	v_add_f32_e32 v1, v1, v10
	ds_bpermute_b32 v9, v7, v2
	ds_bpermute_b32 v10, v7, v1
	s_waitcnt lgkmcnt(1)
	v_add_f32_e32 v9, v2, v9
	s_waitcnt lgkmcnt(0)
	v_add_f32_e32 v10, v1, v10
	v_or_b32_e32 v1, s2, v3
	v_mov_b32_e32 v2, s3
	ds_bpermute_b32 v11, v8, v9
	ds_bpermute_b32 v12, v8, v10
	v_cmp_gt_i64_e32 vcc_lo, s[10:11], v[1:2]
	s_and_b32 s7, s1, vcc_lo
	s_waitcnt lgkmcnt(1)
	v_add_f32_e32 v9, v9, v11
	s_waitcnt lgkmcnt(0)
	v_add_f32_e32 v10, v10, v12
	s_and_saveexec_b32 s6, s7
	s_cbranch_execz .LBB101_91
; %bb.87:
	v_lshlrev_b64 v[0:1], 1, v[1:2]
	s_andn2_b32 vcc_lo, exec_lo, s5
	s_cbranch_vccnz .LBB101_89
; %bb.88:
	v_bfe_u32 v2, v9, 16, 1
	v_cmp_o_f32_e32 vcc_lo, v9, v9
	v_mov_b32_e32 v11, 0x7fc0
	v_add3_u32 v2, v9, v2, 0x7fff
	v_cndmask_b32_sdwa v2, v11, v2, vcc_lo dst_sel:DWORD dst_unused:UNUSED_PAD src0_sel:DWORD src1_sel:WORD_1
	v_add_co_u32 v11, vcc_lo, s12, v0
	v_add_co_ci_u32_e64 v12, null, s13, v1, vcc_lo
	global_store_short v[11:12], v2, off
.LBB101_89:
	s_andn2_b32 vcc_lo, exec_lo, s4
	s_cbranch_vccnz .LBB101_91
; %bb.90:
	v_bfe_u32 v2, v10, 16, 1
	v_cmp_o_f32_e32 vcc_lo, v10, v10
	v_mov_b32_e32 v11, 0x7fc0
	v_add3_u32 v2, v10, v2, 0x7fff
	v_cndmask_b32_sdwa v2, v11, v2, vcc_lo dst_sel:DWORD dst_unused:UNUSED_PAD src0_sel:DWORD src1_sel:WORD_1
	v_add_co_u32 v0, vcc_lo, s14, v0
	v_add_co_ci_u32_e64 v1, null, s15, v1, vcc_lo
	global_store_short v[0:1], v2, off
.LBB101_91:
	s_or_b32 exec_lo, exec_lo, s6
	v_cmp_gt_u32_e32 vcc_lo, 0x600, v4
	s_and_b32 exec_lo, exec_lo, vcc_lo
	s_cbranch_execz .LBB101_115
; %bb.92:
	s_and_saveexec_b32 s6, s0
	s_cbranch_execz .LBB101_94
; %bb.93:
	v_add_nc_u32_e32 v0, v3, v5
	v_lshl_add_u32 v0, v0, 2, 0
	ds_read_b32 v9, v0 offset:64
	ds_read_b32 v10, v0 offset:2144
.LBB101_94:
	s_or_b32 exec_lo, exec_lo, s6
	s_waitcnt lgkmcnt(1)
	ds_bpermute_b32 v0, v6, v9
	s_waitcnt lgkmcnt(1)
	ds_bpermute_b32 v1, v6, v10
	s_waitcnt lgkmcnt(1)
	v_add_f32_e32 v0, v9, v0
	s_waitcnt lgkmcnt(0)
	v_add_f32_e32 v1, v10, v1
	ds_bpermute_b32 v2, v7, v0
	ds_bpermute_b32 v9, v7, v1
	s_waitcnt lgkmcnt(1)
	v_add_f32_e32 v2, v0, v2
	s_waitcnt lgkmcnt(0)
	v_add_f32_e32 v9, v1, v9
	v_add_nc_u32_e32 v0, 16, v3
	ds_bpermute_b32 v10, v8, v2
	ds_bpermute_b32 v11, v8, v9
	v_add_co_u32 v0, s6, s2, v0
	v_add_co_ci_u32_e64 v1, null, s3, 0, s6
	v_cmp_gt_i64_e32 vcc_lo, s[10:11], v[0:1]
	s_and_b32 s7, s1, vcc_lo
	s_waitcnt lgkmcnt(1)
	v_add_f32_e32 v0, v2, v10
	s_waitcnt lgkmcnt(0)
	v_add_f32_e32 v1, v9, v11
	s_and_saveexec_b32 s6, s7
	s_cbranch_execz .LBB101_99
; %bb.95:
	s_andn2_b32 vcc_lo, exec_lo, s5
	s_cbranch_vccnz .LBB101_97
; %bb.96:
	v_add_co_u32 v9, s7, s2, v3
	v_add_co_ci_u32_e64 v10, null, s3, 0, s7
	v_bfe_u32 v2, v0, 16, 1
	v_cmp_o_f32_e32 vcc_lo, v0, v0
	v_mov_b32_e32 v11, 0x7fc0
	v_lshlrev_b64 v[9:10], 1, v[9:10]
	v_add3_u32 v2, v0, v2, 0x7fff
	v_cndmask_b32_sdwa v2, v11, v2, vcc_lo dst_sel:DWORD dst_unused:UNUSED_PAD src0_sel:DWORD src1_sel:WORD_1
	v_add_co_u32 v9, vcc_lo, s12, v9
	v_add_co_ci_u32_e64 v10, null, s13, v10, vcc_lo
	global_store_short v[9:10], v2, off offset:32
.LBB101_97:
	s_andn2_b32 vcc_lo, exec_lo, s4
	s_cbranch_vccnz .LBB101_99
; %bb.98:
	v_add_co_u32 v9, s7, s2, v3
	v_add_co_ci_u32_e64 v10, null, s3, 0, s7
	v_bfe_u32 v2, v1, 16, 1
	v_cmp_o_f32_e32 vcc_lo, v1, v1
	v_mov_b32_e32 v11, 0x7fc0
	v_lshlrev_b64 v[9:10], 1, v[9:10]
	v_add3_u32 v2, v1, v2, 0x7fff
	v_cndmask_b32_sdwa v2, v11, v2, vcc_lo dst_sel:DWORD dst_unused:UNUSED_PAD src0_sel:DWORD src1_sel:WORD_1
	v_add_co_u32 v9, vcc_lo, s14, v9
	v_add_co_ci_u32_e64 v10, null, s15, v10, vcc_lo
	global_store_short v[9:10], v2, off offset:32
.LBB101_99:
	s_or_b32 exec_lo, exec_lo, s6
	v_cmp_gt_u32_e32 vcc_lo, 0x400, v4
	s_and_b32 exec_lo, exec_lo, vcc_lo
	s_cbranch_execz .LBB101_115
; %bb.100:
	s_and_saveexec_b32 s6, s0
	s_cbranch_execz .LBB101_102
; %bb.101:
	v_add_nc_u32_e32 v0, v3, v5
	v_lshl_add_u32 v1, v0, 2, 0
	ds_read_b32 v0, v1 offset:128
	ds_read_b32 v1, v1 offset:2208
.LBB101_102:
	s_or_b32 exec_lo, exec_lo, s6
	s_waitcnt lgkmcnt(1)
	ds_bpermute_b32 v2, v6, v0
	s_waitcnt lgkmcnt(1)
	ds_bpermute_b32 v9, v6, v1
	s_waitcnt lgkmcnt(1)
	v_add_f32_e32 v0, v0, v2
	s_waitcnt lgkmcnt(0)
	v_add_f32_e32 v1, v1, v9
	ds_bpermute_b32 v2, v7, v0
	ds_bpermute_b32 v9, v7, v1
	s_waitcnt lgkmcnt(1)
	v_add_f32_e32 v2, v0, v2
	s_waitcnt lgkmcnt(0)
	v_add_f32_e32 v9, v1, v9
	v_add_nc_u32_e32 v0, 32, v3
	v_mov_b32_e32 v1, s3
	ds_bpermute_b32 v10, v8, v2
	ds_bpermute_b32 v11, v8, v9
	v_or_b32_e32 v0, s2, v0
	v_cmp_gt_i64_e32 vcc_lo, s[10:11], v[0:1]
	s_and_b32 s7, s1, vcc_lo
	s_waitcnt lgkmcnt(1)
	v_add_f32_e32 v0, v2, v10
	s_waitcnt lgkmcnt(0)
	v_add_f32_e32 v1, v9, v11
	s_and_saveexec_b32 s6, s7
	s_cbranch_execz .LBB101_107
; %bb.103:
	s_andn2_b32 vcc_lo, exec_lo, s5
	s_cbranch_vccnz .LBB101_105
; %bb.104:
	v_add_co_u32 v9, s7, s2, v3
	v_add_co_ci_u32_e64 v10, null, s3, 0, s7
	v_bfe_u32 v2, v0, 16, 1
	v_cmp_o_f32_e32 vcc_lo, v0, v0
	v_mov_b32_e32 v11, 0x7fc0
	v_lshlrev_b64 v[9:10], 1, v[9:10]
	v_add3_u32 v2, v0, v2, 0x7fff
	v_cndmask_b32_sdwa v2, v11, v2, vcc_lo dst_sel:DWORD dst_unused:UNUSED_PAD src0_sel:DWORD src1_sel:WORD_1
	v_add_co_u32 v9, vcc_lo, s12, v9
	v_add_co_ci_u32_e64 v10, null, s13, v10, vcc_lo
	global_store_short v[9:10], v2, off offset:64
.LBB101_105:
	s_andn2_b32 vcc_lo, exec_lo, s4
	s_cbranch_vccnz .LBB101_107
; %bb.106:
	v_add_co_u32 v9, s7, s2, v3
	v_add_co_ci_u32_e64 v10, null, s3, 0, s7
	v_bfe_u32 v2, v1, 16, 1
	v_cmp_o_f32_e32 vcc_lo, v1, v1
	v_mov_b32_e32 v11, 0x7fc0
	v_lshlrev_b64 v[9:10], 1, v[9:10]
	v_add3_u32 v2, v1, v2, 0x7fff
	v_cndmask_b32_sdwa v2, v11, v2, vcc_lo dst_sel:DWORD dst_unused:UNUSED_PAD src0_sel:DWORD src1_sel:WORD_1
	v_add_co_u32 v9, vcc_lo, s14, v9
	v_add_co_ci_u32_e64 v10, null, s15, v10, vcc_lo
	global_store_short v[9:10], v2, off offset:64
.LBB101_107:
	s_or_b32 exec_lo, exec_lo, s6
	v_cmp_gt_u32_e32 vcc_lo, 0x200, v4
	s_and_b32 exec_lo, exec_lo, vcc_lo
	s_cbranch_execz .LBB101_115
; %bb.108:
	s_and_saveexec_b32 s6, s0
	s_cbranch_execz .LBB101_110
; %bb.109:
	v_add_nc_u32_e32 v0, v3, v5
	v_lshl_add_u32 v1, v0, 2, 0
	ds_read_b32 v0, v1 offset:192
	ds_read_b32 v1, v1 offset:2272
.LBB101_110:
	s_or_b32 exec_lo, exec_lo, s6
	s_waitcnt lgkmcnt(1)
	ds_bpermute_b32 v2, v6, v0
	s_waitcnt lgkmcnt(1)
	ds_bpermute_b32 v4, v6, v1
	v_add_nc_u32_e32 v5, 48, v3
	v_mov_b32_e32 v6, s3
	v_or_b32_e32 v5, s2, v5
	v_cmp_gt_i64_e32 vcc_lo, s[10:11], v[5:6]
	s_and_b32 s0, s1, vcc_lo
	s_waitcnt lgkmcnt(1)
	v_add_f32_e32 v0, v0, v2
	s_waitcnt lgkmcnt(0)
	v_add_f32_e32 v1, v1, v4
	ds_bpermute_b32 v2, v7, v0
	ds_bpermute_b32 v4, v7, v1
	s_waitcnt lgkmcnt(1)
	v_add_f32_e32 v2, v0, v2
	s_waitcnt lgkmcnt(0)
	v_add_f32_e32 v0, v1, v4
	ds_bpermute_b32 v4, v8, v2
	ds_bpermute_b32 v1, v8, v0
	s_and_b32 exec_lo, exec_lo, s0
	s_cbranch_execz .LBB101_115
; %bb.111:
	s_andn2_b32 vcc_lo, exec_lo, s5
	s_cbranch_vccnz .LBB101_113
; %bb.112:
	s_waitcnt lgkmcnt(1)
	v_add_f32_e32 v2, v2, v4
	v_add_co_u32 v4, s0, s2, v3
	v_add_co_ci_u32_e64 v5, null, s3, 0, s0
	v_bfe_u32 v6, v2, 16, 1
	v_cmp_o_f32_e32 vcc_lo, v2, v2
	v_mov_b32_e32 v7, 0x7fc0
	v_lshlrev_b64 v[4:5], 1, v[4:5]
	v_add3_u32 v2, v2, v6, 0x7fff
	v_cndmask_b32_sdwa v2, v7, v2, vcc_lo dst_sel:DWORD dst_unused:UNUSED_PAD src0_sel:DWORD src1_sel:WORD_1
	v_add_co_u32 v4, vcc_lo, s12, v4
	v_add_co_ci_u32_e64 v5, null, s13, v5, vcc_lo
	global_store_short v[4:5], v2, off offset:96
.LBB101_113:
	s_andn2_b32 vcc_lo, exec_lo, s4
	s_cbranch_vccnz .LBB101_115
; %bb.114:
	s_waitcnt lgkmcnt(0)
	v_add_f32_e32 v2, v0, v1
	v_add_co_u32 v0, s0, s2, v3
	v_add_co_ci_u32_e64 v1, null, s3, 0, s0
	v_bfe_u32 v4, v2, 16, 1
	v_cmp_o_f32_e32 vcc_lo, v2, v2
	v_mov_b32_e32 v3, 0x7fc0
	v_lshlrev_b64 v[0:1], 1, v[0:1]
	v_add3_u32 v2, v2, v4, 0x7fff
	v_cndmask_b32_sdwa v2, v3, v2, vcc_lo dst_sel:DWORD dst_unused:UNUSED_PAD src0_sel:DWORD src1_sel:WORD_1
	v_add_co_u32 v0, vcc_lo, s14, v0
	v_add_co_ci_u32_e64 v1, null, s15, v1, vcc_lo
	global_store_short v[0:1], v2, off offset:96
.LBB101_115:
	s_endpgm
	.section	.rodata,"a",@progbits
	.p2align	6, 0x0
	.amdhsa_kernel _ZN2at6native12_GLOBAL__N_135GammaBetaBackwardCUDAKernelTemplateIN3c108BFloat16EfLj64ELj8ELj64ELb0ELb0ELb0EEEvllPKT_S7_PKT0_SA_PS5_SB_
		.amdhsa_group_segment_fixed_size 0
		.amdhsa_private_segment_fixed_size 0
		.amdhsa_kernarg_size 320
		.amdhsa_user_sgpr_count 6
		.amdhsa_user_sgpr_private_segment_buffer 1
		.amdhsa_user_sgpr_dispatch_ptr 0
		.amdhsa_user_sgpr_queue_ptr 0
		.amdhsa_user_sgpr_kernarg_segment_ptr 1
		.amdhsa_user_sgpr_dispatch_id 0
		.amdhsa_user_sgpr_flat_scratch_init 0
		.amdhsa_user_sgpr_private_segment_size 0
		.amdhsa_wavefront_size32 1
		.amdhsa_uses_dynamic_stack 0
		.amdhsa_system_sgpr_private_segment_wavefront_offset 0
		.amdhsa_system_sgpr_workgroup_id_x 1
		.amdhsa_system_sgpr_workgroup_id_y 1
		.amdhsa_system_sgpr_workgroup_id_z 0
		.amdhsa_system_sgpr_workgroup_info 0
		.amdhsa_system_vgpr_workitem_id 1
		.amdhsa_next_free_vgpr 93
		.amdhsa_next_free_sgpr 32
		.amdhsa_reserve_vcc 1
		.amdhsa_reserve_flat_scratch 0
		.amdhsa_float_round_mode_32 0
		.amdhsa_float_round_mode_16_64 0
		.amdhsa_float_denorm_mode_32 3
		.amdhsa_float_denorm_mode_16_64 3
		.amdhsa_dx10_clamp 1
		.amdhsa_ieee_mode 1
		.amdhsa_fp16_overflow 0
		.amdhsa_workgroup_processor_mode 1
		.amdhsa_memory_ordered 1
		.amdhsa_forward_progress 1
		.amdhsa_shared_vgpr_count 0
		.amdhsa_exception_fp_ieee_invalid_op 0
		.amdhsa_exception_fp_denorm_src 0
		.amdhsa_exception_fp_ieee_div_zero 0
		.amdhsa_exception_fp_ieee_overflow 0
		.amdhsa_exception_fp_ieee_underflow 0
		.amdhsa_exception_fp_ieee_inexact 0
		.amdhsa_exception_int_div_zero 0
	.end_amdhsa_kernel
	.section	.text._ZN2at6native12_GLOBAL__N_135GammaBetaBackwardCUDAKernelTemplateIN3c108BFloat16EfLj64ELj8ELj64ELb0ELb0ELb0EEEvllPKT_S7_PKT0_SA_PS5_SB_,"axG",@progbits,_ZN2at6native12_GLOBAL__N_135GammaBetaBackwardCUDAKernelTemplateIN3c108BFloat16EfLj64ELj8ELj64ELb0ELb0ELb0EEEvllPKT_S7_PKT0_SA_PS5_SB_,comdat
.Lfunc_end101:
	.size	_ZN2at6native12_GLOBAL__N_135GammaBetaBackwardCUDAKernelTemplateIN3c108BFloat16EfLj64ELj8ELj64ELb0ELb0ELb0EEEvllPKT_S7_PKT0_SA_PS5_SB_, .Lfunc_end101-_ZN2at6native12_GLOBAL__N_135GammaBetaBackwardCUDAKernelTemplateIN3c108BFloat16EfLj64ELj8ELj64ELb0ELb0ELb0EEEvllPKT_S7_PKT0_SA_PS5_SB_
                                        ; -- End function
	.set _ZN2at6native12_GLOBAL__N_135GammaBetaBackwardCUDAKernelTemplateIN3c108BFloat16EfLj64ELj8ELj64ELb0ELb0ELb0EEEvllPKT_S7_PKT0_SA_PS5_SB_.num_vgpr, 93
	.set _ZN2at6native12_GLOBAL__N_135GammaBetaBackwardCUDAKernelTemplateIN3c108BFloat16EfLj64ELj8ELj64ELb0ELb0ELb0EEEvllPKT_S7_PKT0_SA_PS5_SB_.num_agpr, 0
	.set _ZN2at6native12_GLOBAL__N_135GammaBetaBackwardCUDAKernelTemplateIN3c108BFloat16EfLj64ELj8ELj64ELb0ELb0ELb0EEEvllPKT_S7_PKT0_SA_PS5_SB_.numbered_sgpr, 32
	.set _ZN2at6native12_GLOBAL__N_135GammaBetaBackwardCUDAKernelTemplateIN3c108BFloat16EfLj64ELj8ELj64ELb0ELb0ELb0EEEvllPKT_S7_PKT0_SA_PS5_SB_.num_named_barrier, 0
	.set _ZN2at6native12_GLOBAL__N_135GammaBetaBackwardCUDAKernelTemplateIN3c108BFloat16EfLj64ELj8ELj64ELb0ELb0ELb0EEEvllPKT_S7_PKT0_SA_PS5_SB_.private_seg_size, 0
	.set _ZN2at6native12_GLOBAL__N_135GammaBetaBackwardCUDAKernelTemplateIN3c108BFloat16EfLj64ELj8ELj64ELb0ELb0ELb0EEEvllPKT_S7_PKT0_SA_PS5_SB_.uses_vcc, 1
	.set _ZN2at6native12_GLOBAL__N_135GammaBetaBackwardCUDAKernelTemplateIN3c108BFloat16EfLj64ELj8ELj64ELb0ELb0ELb0EEEvllPKT_S7_PKT0_SA_PS5_SB_.uses_flat_scratch, 0
	.set _ZN2at6native12_GLOBAL__N_135GammaBetaBackwardCUDAKernelTemplateIN3c108BFloat16EfLj64ELj8ELj64ELb0ELb0ELb0EEEvllPKT_S7_PKT0_SA_PS5_SB_.has_dyn_sized_stack, 0
	.set _ZN2at6native12_GLOBAL__N_135GammaBetaBackwardCUDAKernelTemplateIN3c108BFloat16EfLj64ELj8ELj64ELb0ELb0ELb0EEEvllPKT_S7_PKT0_SA_PS5_SB_.has_recursion, 0
	.set _ZN2at6native12_GLOBAL__N_135GammaBetaBackwardCUDAKernelTemplateIN3c108BFloat16EfLj64ELj8ELj64ELb0ELb0ELb0EEEvllPKT_S7_PKT0_SA_PS5_SB_.has_indirect_call, 0
	.section	.AMDGPU.csdata,"",@progbits
; Kernel info:
; codeLenInByte = 9984
; TotalNumSgprs: 34
; NumVgprs: 93
; ScratchSize: 0
; MemoryBound: 0
; FloatMode: 240
; IeeeMode: 1
; LDSByteSize: 0 bytes/workgroup (compile time only)
; SGPRBlocks: 0
; VGPRBlocks: 11
; NumSGPRsForWavesPerEU: 34
; NumVGPRsForWavesPerEU: 93
; Occupancy: 10
; WaveLimiterHint : 0
; COMPUTE_PGM_RSRC2:SCRATCH_EN: 0
; COMPUTE_PGM_RSRC2:USER_SGPR: 6
; COMPUTE_PGM_RSRC2:TRAP_HANDLER: 0
; COMPUTE_PGM_RSRC2:TGID_X_EN: 1
; COMPUTE_PGM_RSRC2:TGID_Y_EN: 1
; COMPUTE_PGM_RSRC2:TGID_Z_EN: 0
; COMPUTE_PGM_RSRC2:TIDIG_COMP_CNT: 1
	.section	.text._ZN2at6native12_GLOBAL__N_135GammaBetaBackwardCUDAKernelTemplateIN3c108BFloat16EfLj64ELj16ELj128ELb0ELb1ELb0EEEvllPKT_S7_PKT0_SA_PS5_SB_,"axG",@progbits,_ZN2at6native12_GLOBAL__N_135GammaBetaBackwardCUDAKernelTemplateIN3c108BFloat16EfLj64ELj16ELj128ELb0ELb1ELb0EEEvllPKT_S7_PKT0_SA_PS5_SB_,comdat
	.globl	_ZN2at6native12_GLOBAL__N_135GammaBetaBackwardCUDAKernelTemplateIN3c108BFloat16EfLj64ELj16ELj128ELb0ELb1ELb0EEEvllPKT_S7_PKT0_SA_PS5_SB_ ; -- Begin function _ZN2at6native12_GLOBAL__N_135GammaBetaBackwardCUDAKernelTemplateIN3c108BFloat16EfLj64ELj16ELj128ELb0ELb1ELb0EEEvllPKT_S7_PKT0_SA_PS5_SB_
	.p2align	8
	.type	_ZN2at6native12_GLOBAL__N_135GammaBetaBackwardCUDAKernelTemplateIN3c108BFloat16EfLj64ELj16ELj128ELb0ELb1ELb0EEEvllPKT_S7_PKT0_SA_PS5_SB_,@function
_ZN2at6native12_GLOBAL__N_135GammaBetaBackwardCUDAKernelTemplateIN3c108BFloat16EfLj64ELj16ELj128ELb0ELb1ELb0EEEvllPKT_S7_PKT0_SA_PS5_SB_: ; @_ZN2at6native12_GLOBAL__N_135GammaBetaBackwardCUDAKernelTemplateIN3c108BFloat16EfLj64ELj16ELj128ELb0ELb1ELb0EEEvllPKT_S7_PKT0_SA_PS5_SB_
; %bb.0:
	s_load_dwordx4 s[20:23], s[4:5], 0x0
	s_lshl_b32 s2, s7, 7
	s_mov_b32 s3, 0
	s_waitcnt lgkmcnt(0)
	v_cmp_gt_i64_e64 s0, s[20:21], s[2:3]
	s_and_b32 vcc_lo, exec_lo, s0
	s_cbranch_vccnz .LBB102_2
; %bb.1:
	s_mov_b32 s0, s3
	s_branch .LBB102_3
.LBB102_2:
	s_mov_b32 s0, -1
.LBB102_3:
	s_load_dwordx4 s[16:19], s[4:5], 0x30
	v_mov_b32_e32 v2, 0
	v_mov_b32_e32 v17, 0
	s_andn2_b32 vcc_lo, exec_lo, s0
	s_cbranch_vccnz .LBB102_10
; %bb.4:
	s_clause 0x2
	s_load_dword s0, s[4:5], 0x4c
	s_load_dword s1, s[4:5], 0x44
	s_load_dwordx8 s[8:15], s[4:5], 0x10
	v_lshlrev_b32_e32 v2, 3, v1
	v_mov_b32_e32 v3, 0
	v_mov_b32_e32 v8, 8
	;; [unrolled: 1-line block ×4, first 2 shown]
	v_add_co_u32 v4, s4, v2, s2
	v_add_co_ci_u32_e64 v5, null, 0, 0, s4
	v_lshl_add_u32 v2, s6, 6, v0
	v_mul_lo_u32 v17, s23, v4
	v_mad_u64_u32 v[6:7], null, s22, v4, 0
	v_mul_lo_u32 v18, s22, v5
	v_mov_b32_e32 v11, 16
	v_mov_b32_e32 v12, 20
	;; [unrolled: 1-line block ×3, first 2 shown]
	s_waitcnt lgkmcnt(0)
	s_and_b32 s0, s0, 0xffff
	s_lshl_b32 s4, s1, 7
	v_mad_u32_u24 v15, v1, s0, v0
	s_mul_i32 s1, s23, s4
	v_add3_u32 v7, v7, v18, v17
	s_mul_hi_u32 s7, s22, s4
	v_mov_b32_e32 v14, 28
	v_and_b32_e32 v19, 31, v15
	v_lshlrev_b64 v[15:16], 1, v[2:3]
	v_lshlrev_b64 v[17:18], 1, v[6:7]
	v_mov_b32_e32 v2, 0
	s_mov_b32 s5, 0
	v_add_co_u32 v4, vcc_lo, v4, v19
	v_add_co_ci_u32_e64 v5, null, 0, v5, vcc_lo
	v_add_co_u32 v15, vcc_lo, v17, v15
	v_cmp_gt_u32_e64 s0, 8, v19
	v_lshlrev_b64 v[6:7], 2, v[4:5]
	v_add_co_ci_u32_e64 v16, null, v18, v16, vcc_lo
	v_mov_b32_e32 v17, 0
	s_add_i32 s27, s7, s1
	s_mul_i32 s26, s22, s4
	s_lshl_b64 s[24:25], s[4:5], 2
	s_lshl_b64 s[26:27], s[26:27], 1
	;; [unrolled: 1-line block ×3, first 2 shown]
	s_branch .LBB102_7
.LBB102_5:                              ;   in Loop: Header=BB102_7 Depth=1
	s_or_b32 exec_lo, exec_lo, s5
.LBB102_6:                              ;   in Loop: Header=BB102_7 Depth=1
	s_or_b32 exec_lo, exec_lo, s1
	v_add_co_u32 v20, vcc_lo, s8, v15
	v_add_co_ci_u32_e64 v21, null, s9, v16, vcc_lo
	v_add_co_u32 v22, vcc_lo, s10, v15
	v_add_co_ci_u32_e64 v23, null, s11, v16, vcc_lo
	;; [unrolled: 2-line block ×5, first 2 shown]
	global_load_ushort v30, v[20:21], off
	global_load_ushort v31, v[22:23], off
	;; [unrolled: 1-line block ×5, first 2 shown]
	v_add_co_u32 v20, vcc_lo, v26, s22
	v_add_co_ci_u32_e64 v21, null, s23, v27, vcc_lo
	v_add_co_u32 v22, vcc_lo, v28, s22
	v_add_co_ci_u32_e64 v23, null, s23, v29, vcc_lo
	;; [unrolled: 2-line block ×5, first 2 shown]
	global_load_ushort v35, v[20:21], off
	global_load_ushort v36, v[22:23], off
	;; [unrolled: 1-line block ×5, first 2 shown]
	v_add_co_u32 v20, vcc_lo, v26, s22
	v_add_co_ci_u32_e64 v21, null, s23, v27, vcc_lo
	v_add_co_u32 v22, vcc_lo, v28, s22
	v_add_co_ci_u32_e64 v23, null, s23, v29, vcc_lo
	;; [unrolled: 2-line block ×4, first 2 shown]
	global_load_ushort v28, v[20:21], off
	global_load_ushort v29, v[22:23], off
	;; [unrolled: 1-line block ×4, first 2 shown]
	v_add_co_u32 v20, vcc_lo, v26, s22
	v_add_co_ci_u32_e64 v21, null, s23, v27, vcc_lo
	v_add_co_u32 v22, vcc_lo, v24, s22
	v_add_co_ci_u32_e64 v23, null, s23, v25, vcc_lo
	global_load_ushort v20, v[20:21], off
	global_load_ushort v21, v[22:23], off
	s_waitcnt vmcnt(17)
	ds_bpermute_b32 v22, v3, v18
	ds_bpermute_b32 v25, v9, v18
	s_waitcnt vmcnt(16)
	ds_bpermute_b32 v23, v3, v19
	ds_bpermute_b32 v27, v8, v18
	;; [unrolled: 1-line block ×14, first 2 shown]
	s_add_u32 s2, s2, s4
	v_add_co_u32 v6, vcc_lo, v6, s24
	s_addc_u32 s3, s3, 0
	v_add_co_ci_u32_e64 v7, null, s25, v7, vcc_lo
	v_add_co_u32 v4, vcc_lo, v4, s4
	v_cmp_lt_i64_e64 s1, s[2:3], s[20:21]
	v_add_co_ci_u32_e64 v5, null, 0, v5, vcc_lo
	v_add_co_u32 v15, vcc_lo, v15, s26
	v_add_co_ci_u32_e64 v16, null, s27, v16, vcc_lo
	s_and_b32 vcc_lo, exec_lo, s1
	s_waitcnt vmcnt(15)
	v_lshlrev_b32_e32 v30, 16, v30
	s_waitcnt vmcnt(14)
	v_lshlrev_b32_e32 v31, 16, v31
	;; [unrolled: 2-line block ×3, first 2 shown]
	v_add_f32_e32 v17, v17, v30
	s_waitcnt lgkmcnt(15)
	v_sub_f32_e32 v22, v31, v22
	v_lshlrev_b32_e32 v31, 16, v32
	s_waitcnt lgkmcnt(14)
	v_sub_f32_e32 v25, v33, v25
	v_mul_f32_e32 v22, v22, v30
	s_waitcnt vmcnt(11)
	v_lshlrev_b32_e32 v30, 16, v34
	v_add_f32_e32 v17, v17, v31
	s_waitcnt lgkmcnt(13)
	v_fmac_f32_e32 v2, v22, v23
	v_mul_f32_e32 v22, v25, v31
	v_add_f32_e32 v17, v17, v30
	s_waitcnt vmcnt(10)
	v_lshlrev_b32_e32 v32, 16, v35
	s_waitcnt lgkmcnt(11)
	v_fmac_f32_e32 v2, v22, v24
	s_waitcnt vmcnt(8)
	v_lshlrev_b32_e32 v25, 16, v37
	s_waitcnt vmcnt(6)
	v_lshlrev_b32_e32 v24, 16, v39
	v_sub_f32_e32 v23, v32, v27
	v_lshlrev_b32_e32 v27, 16, v36
	v_mul_f32_e32 v22, v23, v30
	s_waitcnt lgkmcnt(10)
	v_sub_f32_e32 v23, v25, v43
	v_lshlrev_b32_e32 v25, 16, v38
	v_add_f32_e32 v17, v17, v27
	s_waitcnt lgkmcnt(9)
	v_fmac_f32_e32 v2, v22, v26
	v_mul_f32_e32 v22, v23, v27
	s_waitcnt lgkmcnt(8)
	v_sub_f32_e32 v23, v24, v45
	s_waitcnt vmcnt(5)
	v_lshlrev_b32_e32 v26, 16, v28
	s_waitcnt vmcnt(4)
	v_lshlrev_b32_e32 v24, 16, v29
	v_add_f32_e32 v17, v17, v25
	s_waitcnt lgkmcnt(7)
	v_fmac_f32_e32 v2, v22, v42
	v_mul_f32_e32 v22, v23, v25
	s_waitcnt vmcnt(3)
	v_lshlrev_b32_e32 v25, 16, v40
	s_waitcnt lgkmcnt(6)
	v_sub_f32_e32 v23, v24, v47
	s_waitcnt vmcnt(2)
	v_lshlrev_b32_e32 v24, 16, v41
	v_add_f32_e32 v17, v17, v26
	s_waitcnt lgkmcnt(5)
	v_fmac_f32_e32 v2, v22, v44
	v_mul_f32_e32 v22, v23, v26
	s_waitcnt lgkmcnt(4)
	v_sub_f32_e32 v23, v24, v49
	s_waitcnt vmcnt(1)
	v_lshlrev_b32_e32 v20, 16, v20
	s_waitcnt vmcnt(0)
	v_lshlrev_b32_e32 v21, 16, v21
	v_add_f32_e32 v17, v17, v25
	s_waitcnt lgkmcnt(3)
	v_fmac_f32_e32 v2, v22, v46
	v_mul_f32_e32 v22, v23, v25
	s_waitcnt lgkmcnt(2)
	v_sub_f32_e32 v18, v20, v18
	v_add_f32_e32 v17, v17, v21
	s_waitcnt lgkmcnt(1)
	v_fmac_f32_e32 v2, v22, v48
	v_mul_f32_e32 v18, v18, v21
	s_waitcnt lgkmcnt(0)
	v_fmac_f32_e32 v2, v18, v19
	s_cbranch_vccz .LBB102_10
.LBB102_7:                              ; =>This Inner Loop Header: Depth=1
	v_mov_b32_e32 v19, 0
	v_mov_b32_e32 v18, 0
	s_and_saveexec_b32 s1, s0
	s_cbranch_execz .LBB102_6
; %bb.8:                                ;   in Loop: Header=BB102_7 Depth=1
	v_mov_b32_e32 v18, 0
	v_mov_b32_e32 v19, 0
	s_mov_b32 s5, exec_lo
	v_cmpx_gt_i64_e64 s[20:21], v[4:5]
	s_cbranch_execz .LBB102_5
; %bb.9:                                ;   in Loop: Header=BB102_7 Depth=1
	v_add_co_u32 v18, vcc_lo, s12, v6
	v_add_co_ci_u32_e64 v19, null, s13, v7, vcc_lo
	v_add_co_u32 v20, vcc_lo, s14, v6
	v_add_co_ci_u32_e64 v21, null, s15, v7, vcc_lo
	global_load_dword v18, v[18:19], off
	global_load_dword v19, v[20:21], off
	s_branch .LBB102_5
.LBB102_10:
	v_mad_u32_u24 v3, 0x41, v1, v0
	s_mov_b32 s0, exec_lo
	v_lshl_add_u32 v4, v3, 2, 0
	v_sub_nc_u32_e32 v3, v3, v1
	ds_write_b32 v4, v2
	ds_write_b32 v4, v17 offset:4160
	s_waitcnt lgkmcnt(0)
	s_barrier
	buffer_gl0_inv
	v_cmpx_gt_u32_e32 0x800, v3
	s_cbranch_execz .LBB102_26
; %bb.11:
	v_and_b32_e32 v1, 31, v0
	v_lshrrev_b32_e32 v2, 5, v3
                                        ; implicit-def: $vgpr7
	v_cmp_gt_u32_e64 s0, 16, v1
	v_mul_u32_u24_e32 v4, 0x41, v1
                                        ; implicit-def: $vgpr1
	s_and_saveexec_b32 s1, s0
	s_cbranch_execz .LBB102_13
; %bb.12:
	v_add_nc_u32_e32 v1, v2, v4
	v_lshl_add_u32 v1, v1, 2, 0
	ds_read_b32 v7, v1
	ds_read_b32 v1, v1 offset:4160
.LBB102_13:
	s_or_b32 exec_lo, exec_lo, s1
	v_mbcnt_lo_u32_b32 v8, -1, 0
	s_mov_b32 s7, 0
	v_cmp_eq_u32_e64 s1, 0, v0
	s_lshl_b64 s[2:3], s[6:7], 6
	s_cmp_lg_u64 s[16:17], 0
	v_xor_b32_e32 v5, 8, v8
	v_xor_b32_e32 v6, 4, v8
	;; [unrolled: 1-line block ×3, first 2 shown]
	s_cselect_b32 s5, -1, 0
	s_cmp_lg_u64 s[18:19], 0
	v_cmp_gt_i32_e32 vcc_lo, 32, v5
	s_cselect_b32 s4, -1, 0
	v_cndmask_b32_e32 v5, v8, v5, vcc_lo
	v_cmp_gt_i32_e32 vcc_lo, 32, v6
	v_lshlrev_b32_e32 v5, 2, v5
	v_cndmask_b32_e32 v6, v8, v6, vcc_lo
	s_waitcnt lgkmcnt(1)
	ds_bpermute_b32 v9, v5, v7
	s_waitcnt lgkmcnt(1)
	ds_bpermute_b32 v10, v5, v1
	v_lshlrev_b32_e32 v6, 2, v6
	s_waitcnt lgkmcnt(1)
	v_add_f32_e32 v9, v7, v9
	s_waitcnt lgkmcnt(0)
	v_add_f32_e32 v1, v1, v10
	v_xor_b32_e32 v7, 2, v8
	ds_bpermute_b32 v10, v6, v9
	ds_bpermute_b32 v11, v6, v1
	v_cmp_gt_i32_e32 vcc_lo, 32, v7
	v_cndmask_b32_e32 v7, v8, v7, vcc_lo
	v_cmp_gt_i32_e32 vcc_lo, 32, v12
	v_lshlrev_b32_e32 v7, 2, v7
	v_cndmask_b32_e32 v8, v8, v12, vcc_lo
	v_lshlrev_b32_e32 v8, 2, v8
	s_waitcnt lgkmcnt(1)
	v_add_f32_e32 v9, v9, v10
	s_waitcnt lgkmcnt(0)
	v_add_f32_e32 v1, v1, v11
	ds_bpermute_b32 v10, v7, v9
	ds_bpermute_b32 v11, v7, v1
	s_waitcnt lgkmcnt(1)
	v_add_f32_e32 v9, v9, v10
	s_waitcnt lgkmcnt(0)
	v_add_f32_e32 v1, v1, v11
	ds_bpermute_b32 v10, v8, v9
	ds_bpermute_b32 v11, v8, v1
	s_waitcnt lgkmcnt(1)
	v_add_f32_e32 v9, v9, v10
	s_waitcnt lgkmcnt(0)
	v_add_f32_e32 v10, v1, v11
	s_and_saveexec_b32 s6, s1
	s_cbranch_execz .LBB102_18
; %bb.14:
	v_mov_b32_e32 v1, s3
	v_or_b32_e32 v0, s2, v2
	s_andn2_b32 vcc_lo, exec_lo, s5
	v_lshlrev_b64 v[0:1], 1, v[0:1]
	s_cbranch_vccnz .LBB102_16
; %bb.15:
	v_bfe_u32 v11, v9, 16, 1
	v_cmp_o_f32_e32 vcc_lo, v9, v9
	v_mov_b32_e32 v12, 0x7fc0
	v_add3_u32 v11, v9, v11, 0x7fff
	v_cndmask_b32_sdwa v13, v12, v11, vcc_lo dst_sel:DWORD dst_unused:UNUSED_PAD src0_sel:DWORD src1_sel:WORD_1
	v_add_co_u32 v11, vcc_lo, s16, v0
	v_add_co_ci_u32_e64 v12, null, s17, v1, vcc_lo
	global_store_short v[11:12], v13, off
.LBB102_16:
	s_andn2_b32 vcc_lo, exec_lo, s4
	s_cbranch_vccnz .LBB102_18
; %bb.17:
	v_bfe_u32 v11, v10, 16, 1
	v_cmp_o_f32_e32 vcc_lo, v10, v10
	v_mov_b32_e32 v12, 0x7fc0
	v_add3_u32 v11, v10, v11, 0x7fff
	v_cndmask_b32_sdwa v11, v12, v11, vcc_lo dst_sel:DWORD dst_unused:UNUSED_PAD src0_sel:DWORD src1_sel:WORD_1
	v_add_co_u32 v0, vcc_lo, s18, v0
	v_add_co_ci_u32_e64 v1, null, s19, v1, vcc_lo
	global_store_short v[0:1], v11, off
.LBB102_18:
	s_or_b32 exec_lo, exec_lo, s6
	v_cmp_gt_u32_e32 vcc_lo, 0x400, v3
	s_and_b32 exec_lo, exec_lo, vcc_lo
	s_cbranch_execz .LBB102_26
; %bb.19:
	s_and_saveexec_b32 s6, s0
	s_cbranch_execz .LBB102_21
; %bb.20:
	v_add_nc_u32_e32 v0, v2, v4
	v_lshl_add_u32 v0, v0, 2, 0
	ds_read_b32 v9, v0 offset:128
	ds_read_b32 v10, v0 offset:4288
.LBB102_21:
	s_or_b32 exec_lo, exec_lo, s6
	s_waitcnt lgkmcnt(1)
	ds_bpermute_b32 v0, v5, v9
	s_waitcnt lgkmcnt(1)
	ds_bpermute_b32 v1, v5, v10
	s_waitcnt lgkmcnt(1)
	v_add_f32_e32 v0, v9, v0
	s_waitcnt lgkmcnt(0)
	v_add_f32_e32 v1, v10, v1
	ds_bpermute_b32 v3, v6, v0
	ds_bpermute_b32 v4, v6, v1
	s_waitcnt lgkmcnt(1)
	v_add_f32_e32 v0, v0, v3
	s_waitcnt lgkmcnt(0)
	v_add_f32_e32 v1, v1, v4
	ds_bpermute_b32 v3, v7, v0
	;; [unrolled: 6-line block ×3, first 2 shown]
	ds_bpermute_b32 v1, v8, v0
	s_and_b32 exec_lo, exec_lo, s1
	s_cbranch_execz .LBB102_26
; %bb.22:
	s_andn2_b32 vcc_lo, exec_lo, s5
	s_cbranch_vccnz .LBB102_24
; %bb.23:
	s_waitcnt lgkmcnt(1)
	v_add_f32_e32 v5, v3, v4
	v_add_co_u32 v3, s0, s2, v2
	v_add_co_ci_u32_e64 v4, null, s3, 0, s0
	v_bfe_u32 v6, v5, 16, 1
	v_cmp_o_f32_e32 vcc_lo, v5, v5
	v_mov_b32_e32 v7, 0x7fc0
	v_lshlrev_b64 v[3:4], 1, v[3:4]
	v_add3_u32 v5, v5, v6, 0x7fff
	v_cndmask_b32_sdwa v5, v7, v5, vcc_lo dst_sel:DWORD dst_unused:UNUSED_PAD src0_sel:DWORD src1_sel:WORD_1
	v_add_co_u32 v3, vcc_lo, s16, v3
	v_add_co_ci_u32_e64 v4, null, s17, v4, vcc_lo
	global_store_short v[3:4], v5, off offset:64
.LBB102_24:
	s_andn2_b32 vcc_lo, exec_lo, s4
	s_cbranch_vccnz .LBB102_26
; %bb.25:
	s_waitcnt lgkmcnt(0)
	v_add_f32_e32 v3, v0, v1
	v_add_co_u32 v0, s0, s2, v2
	v_add_co_ci_u32_e64 v1, null, s3, 0, s0
	v_bfe_u32 v4, v3, 16, 1
	v_cmp_o_f32_e32 vcc_lo, v3, v3
	v_mov_b32_e32 v2, 0x7fc0
	v_lshlrev_b64 v[0:1], 1, v[0:1]
	v_add3_u32 v3, v3, v4, 0x7fff
	v_cndmask_b32_sdwa v2, v2, v3, vcc_lo dst_sel:DWORD dst_unused:UNUSED_PAD src0_sel:DWORD src1_sel:WORD_1
	v_add_co_u32 v0, vcc_lo, s18, v0
	v_add_co_ci_u32_e64 v1, null, s19, v1, vcc_lo
	global_store_short v[0:1], v2, off offset:64
.LBB102_26:
	s_endpgm
	.section	.rodata,"a",@progbits
	.p2align	6, 0x0
	.amdhsa_kernel _ZN2at6native12_GLOBAL__N_135GammaBetaBackwardCUDAKernelTemplateIN3c108BFloat16EfLj64ELj16ELj128ELb0ELb1ELb0EEEvllPKT_S7_PKT0_SA_PS5_SB_
		.amdhsa_group_segment_fixed_size 0
		.amdhsa_private_segment_fixed_size 0
		.amdhsa_kernarg_size 320
		.amdhsa_user_sgpr_count 6
		.amdhsa_user_sgpr_private_segment_buffer 1
		.amdhsa_user_sgpr_dispatch_ptr 0
		.amdhsa_user_sgpr_queue_ptr 0
		.amdhsa_user_sgpr_kernarg_segment_ptr 1
		.amdhsa_user_sgpr_dispatch_id 0
		.amdhsa_user_sgpr_flat_scratch_init 0
		.amdhsa_user_sgpr_private_segment_size 0
		.amdhsa_wavefront_size32 1
		.amdhsa_uses_dynamic_stack 0
		.amdhsa_system_sgpr_private_segment_wavefront_offset 0
		.amdhsa_system_sgpr_workgroup_id_x 1
		.amdhsa_system_sgpr_workgroup_id_y 1
		.amdhsa_system_sgpr_workgroup_id_z 0
		.amdhsa_system_sgpr_workgroup_info 0
		.amdhsa_system_vgpr_workitem_id 1
		.amdhsa_next_free_vgpr 50
		.amdhsa_next_free_sgpr 28
		.amdhsa_reserve_vcc 1
		.amdhsa_reserve_flat_scratch 0
		.amdhsa_float_round_mode_32 0
		.amdhsa_float_round_mode_16_64 0
		.amdhsa_float_denorm_mode_32 3
		.amdhsa_float_denorm_mode_16_64 3
		.amdhsa_dx10_clamp 1
		.amdhsa_ieee_mode 1
		.amdhsa_fp16_overflow 0
		.amdhsa_workgroup_processor_mode 1
		.amdhsa_memory_ordered 1
		.amdhsa_forward_progress 1
		.amdhsa_shared_vgpr_count 0
		.amdhsa_exception_fp_ieee_invalid_op 0
		.amdhsa_exception_fp_denorm_src 0
		.amdhsa_exception_fp_ieee_div_zero 0
		.amdhsa_exception_fp_ieee_overflow 0
		.amdhsa_exception_fp_ieee_underflow 0
		.amdhsa_exception_fp_ieee_inexact 0
		.amdhsa_exception_int_div_zero 0
	.end_amdhsa_kernel
	.section	.text._ZN2at6native12_GLOBAL__N_135GammaBetaBackwardCUDAKernelTemplateIN3c108BFloat16EfLj64ELj16ELj128ELb0ELb1ELb0EEEvllPKT_S7_PKT0_SA_PS5_SB_,"axG",@progbits,_ZN2at6native12_GLOBAL__N_135GammaBetaBackwardCUDAKernelTemplateIN3c108BFloat16EfLj64ELj16ELj128ELb0ELb1ELb0EEEvllPKT_S7_PKT0_SA_PS5_SB_,comdat
.Lfunc_end102:
	.size	_ZN2at6native12_GLOBAL__N_135GammaBetaBackwardCUDAKernelTemplateIN3c108BFloat16EfLj64ELj16ELj128ELb0ELb1ELb0EEEvllPKT_S7_PKT0_SA_PS5_SB_, .Lfunc_end102-_ZN2at6native12_GLOBAL__N_135GammaBetaBackwardCUDAKernelTemplateIN3c108BFloat16EfLj64ELj16ELj128ELb0ELb1ELb0EEEvllPKT_S7_PKT0_SA_PS5_SB_
                                        ; -- End function
	.set _ZN2at6native12_GLOBAL__N_135GammaBetaBackwardCUDAKernelTemplateIN3c108BFloat16EfLj64ELj16ELj128ELb0ELb1ELb0EEEvllPKT_S7_PKT0_SA_PS5_SB_.num_vgpr, 50
	.set _ZN2at6native12_GLOBAL__N_135GammaBetaBackwardCUDAKernelTemplateIN3c108BFloat16EfLj64ELj16ELj128ELb0ELb1ELb0EEEvllPKT_S7_PKT0_SA_PS5_SB_.num_agpr, 0
	.set _ZN2at6native12_GLOBAL__N_135GammaBetaBackwardCUDAKernelTemplateIN3c108BFloat16EfLj64ELj16ELj128ELb0ELb1ELb0EEEvllPKT_S7_PKT0_SA_PS5_SB_.numbered_sgpr, 28
	.set _ZN2at6native12_GLOBAL__N_135GammaBetaBackwardCUDAKernelTemplateIN3c108BFloat16EfLj64ELj16ELj128ELb0ELb1ELb0EEEvllPKT_S7_PKT0_SA_PS5_SB_.num_named_barrier, 0
	.set _ZN2at6native12_GLOBAL__N_135GammaBetaBackwardCUDAKernelTemplateIN3c108BFloat16EfLj64ELj16ELj128ELb0ELb1ELb0EEEvllPKT_S7_PKT0_SA_PS5_SB_.private_seg_size, 0
	.set _ZN2at6native12_GLOBAL__N_135GammaBetaBackwardCUDAKernelTemplateIN3c108BFloat16EfLj64ELj16ELj128ELb0ELb1ELb0EEEvllPKT_S7_PKT0_SA_PS5_SB_.uses_vcc, 1
	.set _ZN2at6native12_GLOBAL__N_135GammaBetaBackwardCUDAKernelTemplateIN3c108BFloat16EfLj64ELj16ELj128ELb0ELb1ELb0EEEvllPKT_S7_PKT0_SA_PS5_SB_.uses_flat_scratch, 0
	.set _ZN2at6native12_GLOBAL__N_135GammaBetaBackwardCUDAKernelTemplateIN3c108BFloat16EfLj64ELj16ELj128ELb0ELb1ELb0EEEvllPKT_S7_PKT0_SA_PS5_SB_.has_dyn_sized_stack, 0
	.set _ZN2at6native12_GLOBAL__N_135GammaBetaBackwardCUDAKernelTemplateIN3c108BFloat16EfLj64ELj16ELj128ELb0ELb1ELb0EEEvllPKT_S7_PKT0_SA_PS5_SB_.has_recursion, 0
	.set _ZN2at6native12_GLOBAL__N_135GammaBetaBackwardCUDAKernelTemplateIN3c108BFloat16EfLj64ELj16ELj128ELb0ELb1ELb0EEEvllPKT_S7_PKT0_SA_PS5_SB_.has_indirect_call, 0
	.section	.AMDGPU.csdata,"",@progbits
; Kernel info:
; codeLenInByte = 2268
; TotalNumSgprs: 30
; NumVgprs: 50
; ScratchSize: 0
; MemoryBound: 0
; FloatMode: 240
; IeeeMode: 1
; LDSByteSize: 0 bytes/workgroup (compile time only)
; SGPRBlocks: 0
; VGPRBlocks: 6
; NumSGPRsForWavesPerEU: 30
; NumVGPRsForWavesPerEU: 50
; Occupancy: 16
; WaveLimiterHint : 0
; COMPUTE_PGM_RSRC2:SCRATCH_EN: 0
; COMPUTE_PGM_RSRC2:USER_SGPR: 6
; COMPUTE_PGM_RSRC2:TRAP_HANDLER: 0
; COMPUTE_PGM_RSRC2:TGID_X_EN: 1
; COMPUTE_PGM_RSRC2:TGID_Y_EN: 1
; COMPUTE_PGM_RSRC2:TGID_Z_EN: 0
; COMPUTE_PGM_RSRC2:TIDIG_COMP_CNT: 1
	.section	.text._ZN2at6native12_GLOBAL__N_135GammaBetaBackwardCUDAKernelTemplateIN3c108BFloat16EfLj64ELj16ELj128ELb0ELb0ELb0EEEvllPKT_S7_PKT0_SA_PS5_SB_,"axG",@progbits,_ZN2at6native12_GLOBAL__N_135GammaBetaBackwardCUDAKernelTemplateIN3c108BFloat16EfLj64ELj16ELj128ELb0ELb0ELb0EEEvllPKT_S7_PKT0_SA_PS5_SB_,comdat
	.globl	_ZN2at6native12_GLOBAL__N_135GammaBetaBackwardCUDAKernelTemplateIN3c108BFloat16EfLj64ELj16ELj128ELb0ELb0ELb0EEEvllPKT_S7_PKT0_SA_PS5_SB_ ; -- Begin function _ZN2at6native12_GLOBAL__N_135GammaBetaBackwardCUDAKernelTemplateIN3c108BFloat16EfLj64ELj16ELj128ELb0ELb0ELb0EEEvllPKT_S7_PKT0_SA_PS5_SB_
	.p2align	8
	.type	_ZN2at6native12_GLOBAL__N_135GammaBetaBackwardCUDAKernelTemplateIN3c108BFloat16EfLj64ELj16ELj128ELb0ELb0ELb0EEEvllPKT_S7_PKT0_SA_PS5_SB_,@function
_ZN2at6native12_GLOBAL__N_135GammaBetaBackwardCUDAKernelTemplateIN3c108BFloat16EfLj64ELj16ELj128ELb0ELb0ELb0EEEvllPKT_S7_PKT0_SA_PS5_SB_: ; @_ZN2at6native12_GLOBAL__N_135GammaBetaBackwardCUDAKernelTemplateIN3c108BFloat16EfLj64ELj16ELj128ELb0ELb0ELb0EEEvllPKT_S7_PKT0_SA_PS5_SB_
; %bb.0:
	s_clause 0x1
	s_load_dwordx8 s[8:15], s[4:5], 0x0
	s_load_dwordx4 s[16:19], s[4:5], 0x20
	s_lshl_b32 s28, s6, 6
	s_mov_b32 s3, 0
	s_or_b32 s2, s28, 63
	s_waitcnt lgkmcnt(0)
	v_cmp_le_i64_e64 s0, s[10:11], s[2:3]
	s_lshl_b32 s2, s7, 7
	v_cmp_gt_i64_e64 s7, s[8:9], s[2:3]
	s_and_b32 vcc_lo, exec_lo, s0
	v_cndmask_b32_e64 v2, 0, 1, s7
	v_cmp_ne_u32_e64 s0, 1, v2
	s_cbranch_vccz .LBB103_49
; %bb.1:
	v_mov_b32_e32 v11, 0
	v_mov_b32_e32 v62, 0
	s_and_b32 vcc_lo, exec_lo, s0
	s_cbranch_vccnz .LBB103_50
; %bb.2:
	v_lshlrev_b32_e32 v21, 3, v1
	v_mov_b32_e32 v2, 0
	v_add_nc_u32_e32 v5, s28, v0
	s_load_dword s1, s[4:5], 0x44
	s_add_u32 s20, s4, 64
	v_add_co_u32 v11, s0, v21, s2
	v_add_co_ci_u32_e64 v12, null, 0, 0, s0
	v_mov_b32_e32 v6, v2
	v_mul_lo_u32 v7, s11, v11
	v_mad_u64_u32 v[3:4], null, s10, v11, 0
	v_mul_lo_u32 v8, s10, v12
	v_cmp_gt_i64_e64 s0, s[10:11], v[5:6]
	v_lshlrev_b64 v[19:20], 1, v[5:6]
	s_addc_u32 s21, s5, 0
	v_mov_b32_e32 v62, 0
	v_mov_b32_e32 v54, 0
	s_mov_b64 s[26:27], s[2:3]
	v_add3_u32 v4, v4, v8, v7
	v_add_co_u32 v7, vcc_lo, v11, 7
	v_add_co_ci_u32_e64 v8, null, 0, v12, vcc_lo
	v_lshlrev_b64 v[5:6], 1, v[3:4]
	v_mul_lo_u32 v13, s11, v7
	s_waitcnt lgkmcnt(0)
	s_lshl_b32 s29, s1, 7
	v_mul_lo_u32 v14, s10, v8
	v_mad_u64_u32 v[7:8], null, s10, v7, 0
	v_add_co_u32 v22, vcc_lo, s12, v5
	v_add_co_ci_u32_e64 v23, null, s13, v6, vcc_lo
	v_add_co_u32 v9, vcc_lo, v11, 6
	v_add_co_ci_u32_e64 v10, null, 0, v12, vcc_lo
	v_add_co_u32 v24, vcc_lo, s14, v5
	v_mul_lo_u32 v15, s11, v9
	v_mul_lo_u32 v16, s10, v10
	v_mad_u64_u32 v[9:10], null, s10, v9, 0
	v_add3_u32 v8, v8, v14, v13
	v_add_co_ci_u32_e64 v25, null, s15, v6, vcc_lo
	v_add_co_u32 v13, vcc_lo, v11, 5
	v_add_co_ci_u32_e64 v14, null, 0, v12, vcc_lo
	v_add3_u32 v10, v10, v16, v15
	v_lshlrev_b64 v[5:6], 1, v[7:8]
	v_mul_lo_u32 v15, s11, v13
	v_mul_lo_u32 v14, s10, v14
	s_mul_i32 s1, s11, s29
	v_lshlrev_b64 v[7:8], 1, v[9:10]
	v_mad_u64_u32 v[9:10], null, s10, v13, 0
	v_add_co_u32 v26, vcc_lo, s12, v5
	v_add_co_ci_u32_e64 v27, null, s13, v6, vcc_lo
	v_add_co_u32 v28, vcc_lo, s14, v5
	v_add_co_ci_u32_e64 v29, null, s15, v6, vcc_lo
	v_add_co_u32 v30, vcc_lo, s12, v7
	v_add3_u32 v10, v10, v14, v15
	s_mul_hi_u32 s22, s10, s29
	v_add_co_ci_u32_e64 v31, null, s13, v8, vcc_lo
	v_add_co_u32 v13, vcc_lo, v11, 4
	s_add_i32 s23, s22, s1
	v_add_co_u32 v32, s1, s14, v7
	v_add_co_ci_u32_e64 v7, null, 0, v12, vcc_lo
	v_lshlrev_b64 v[5:6], 1, v[9:10]
	v_add_co_u32 v9, vcc_lo, v11, 3
	v_add_co_ci_u32_e64 v10, null, 0, v12, vcc_lo
	v_add_co_ci_u32_e64 v33, null, s15, v8, s1
	v_mul_lo_u32 v14, s11, v13
	v_mul_lo_u32 v15, s10, v7
	v_mad_u64_u32 v[7:8], null, s10, v13, 0
	v_mul_lo_u32 v13, s11, v9
	v_mul_lo_u32 v16, s10, v10
	v_mad_u64_u32 v[9:10], null, s10, v9, 0
	v_add_co_u32 v34, vcc_lo, s12, v5
	v_add_co_ci_u32_e64 v35, null, s13, v6, vcc_lo
	v_add3_u32 v8, v8, v15, v14
	v_add_co_u32 v36, vcc_lo, s14, v5
	v_add_co_ci_u32_e64 v37, null, s15, v6, vcc_lo
	v_add_co_u32 v11, vcc_lo, v11, 2
	v_add3_u32 v10, v10, v16, v13
	v_add_co_ci_u32_e64 v12, null, 0, v12, vcc_lo
	v_lshlrev_b64 v[5:6], 1, v[7:8]
	v_mul_lo_u32 v13, s11, v11
	v_lshlrev_b64 v[7:8], 1, v[9:10]
	v_mul_lo_u32 v12, s10, v12
	v_mad_u64_u32 v[9:10], null, s10, v11, 0
	v_add_co_u32 v38, vcc_lo, s12, v5
	v_add_co_ci_u32_e64 v39, null, s13, v6, vcc_lo
	v_add_co_u32 v40, vcc_lo, s14, v5
	v_add_co_ci_u32_e64 v41, null, s15, v6, vcc_lo
	;; [unrolled: 2-line block ×3, first 2 shown]
	v_add3_u32 v10, v10, v12, v13
	v_add_co_u32 v44, vcc_lo, s14, v7
	v_add_co_ci_u32_e64 v45, null, s15, v8, vcc_lo
	v_add_co_u32 v3, vcc_lo, v3, s10
	v_add_co_ci_u32_e64 v4, null, s11, v4, vcc_lo
	v_lshlrev_b64 v[5:6], 1, v[9:10]
	s_mul_i32 s22, s10, s29
	v_lshlrev_b64 v[3:4], 1, v[3:4]
	s_lshl_b64 s[22:23], s[22:23], 1
	s_add_u32 s24, s2, 0x7f
	v_add_co_u32 v46, vcc_lo, s12, v5
	v_add_co_ci_u32_e64 v47, null, s13, v6, vcc_lo
	v_add_co_u32 v48, vcc_lo, s14, v5
	v_add_co_ci_u32_e64 v49, null, s15, v6, vcc_lo
	;; [unrolled: 2-line block ×4, first 2 shown]
	s_addc_u32 s25, 0, 0
.LBB103_3:                              ; =>This Inner Loop Header: Depth=1
	v_cmp_ge_i64_e64 s1, s[24:25], s[8:9]
	v_add_co_u32 v55, s30, v21, s24
	v_add_co_ci_u32_e64 v56, null, 0, s25, s30
                                        ; implicit-def: $vgpr11_vgpr12_vgpr13_vgpr14_vgpr15_vgpr16_vgpr17_vgpr18
                                        ; implicit-def: $vgpr3_vgpr4_vgpr5_vgpr6_vgpr7_vgpr8_vgpr9_vgpr10
                                        ; implicit-def: $vgpr58
                                        ; implicit-def: $vgpr3
	s_and_b32 vcc_lo, exec_lo, s1
	s_mov_b32 s1, -1
                                        ; implicit-def: $vgpr11
                                        ; implicit-def: $vgpr4
	s_cbranch_vccz .LBB103_25
; %bb.4:                                ;   in Loop: Header=BB103_3 Depth=1
	s_load_dword s1, s[20:21], 0xc
	v_mov_b32_e32 v58, 0
	v_mov_b32_e32 v57, 0
	s_waitcnt lgkmcnt(0)
	s_and_b32 s1, s1, 0xffff
	v_mad_u32_u24 v3, v1, s1, v0
	s_mov_b32 s1, exec_lo
	v_and_b32_e32 v3, 31, v3
	v_cmpx_gt_u32_e32 8, v3
	s_cbranch_execz .LBB103_8
; %bb.5:                                ;   in Loop: Header=BB103_3 Depth=1
	v_add_co_u32 v3, vcc_lo, v55, v3
	v_add_co_ci_u32_e64 v4, null, 0, v56, vcc_lo
	v_mov_b32_e32 v57, 0
	v_add_co_u32 v3, vcc_lo, 0xffffff81, v3
	v_add_co_ci_u32_e64 v4, null, -1, v4, vcc_lo
	v_mov_b32_e32 v58, 0
	s_mov_b32 s30, exec_lo
	v_cmpx_gt_i64_e64 s[8:9], v[3:4]
	s_cbranch_execz .LBB103_7
; %bb.6:                                ;   in Loop: Header=BB103_3 Depth=1
	v_lshlrev_b64 v[3:4], 2, v[3:4]
	v_add_co_u32 v5, vcc_lo, s16, v3
	v_add_co_ci_u32_e64 v6, null, s17, v4, vcc_lo
	v_add_co_u32 v3, vcc_lo, s18, v3
	v_add_co_ci_u32_e64 v4, null, s19, v4, vcc_lo
	global_load_dword v57, v[5:6], off
	global_load_dword v58, v[3:4], off
.LBB103_7:                              ;   in Loop: Header=BB103_3 Depth=1
	s_or_b32 exec_lo, exec_lo, s30
.LBB103_8:                              ;   in Loop: Header=BB103_3 Depth=1
	s_or_b32 exec_lo, exec_lo, s1
	v_add_co_u32 v10, vcc_lo, 0xffffff81, v55
	v_add_co_ci_u32_e64 v11, null, -1, v56, vcc_lo
	v_mov_b32_e32 v9, v2
	v_mov_b32_e32 v3, v2
	;; [unrolled: 1-line block ×7, first 2 shown]
	v_cmp_gt_i64_e32 vcc_lo, s[8:9], v[10:11]
	v_mov_b32_e32 v18, v9
	v_mov_b32_e32 v15, v6
	;; [unrolled: 1-line block ×16, first 2 shown]
	s_and_b32 s30, s0, vcc_lo
	s_and_saveexec_b32 s1, s30
	s_cbranch_execz .LBB103_10
; %bb.9:                                ;   in Loop: Header=BB103_3 Depth=1
	v_add_co_u32 v3, vcc_lo, v22, v19
	v_add_co_ci_u32_e64 v4, null, v23, v20, vcc_lo
	v_add_co_u32 v5, vcc_lo, v24, v19
	v_add_co_ci_u32_e64 v6, null, v25, v20, vcc_lo
	global_load_ushort v3, v[3:4], off
	global_load_ushort v11, v[5:6], off
	v_mov_b32_e32 v4, v2
	v_mov_b32_e32 v5, v2
	;; [unrolled: 1-line block ×14, first 2 shown]
	s_waitcnt vmcnt(1)
	v_lshlrev_b32_e32 v3, 16, v3
	s_waitcnt vmcnt(0)
	v_lshlrev_b32_e32 v11, 16, v11
.LBB103_10:                             ;   in Loop: Header=BB103_3 Depth=1
	s_or_b32 exec_lo, exec_lo, s1
	v_add_co_u32 v59, vcc_lo, 0xffffff82, v55
	v_add_co_ci_u32_e64 v60, null, -1, v56, vcc_lo
	v_cmp_gt_i64_e32 vcc_lo, s[8:9], v[59:60]
	s_and_b32 s30, s0, vcc_lo
	s_and_saveexec_b32 s1, s30
	s_cbranch_execz .LBB103_12
; %bb.11:                               ;   in Loop: Header=BB103_3 Depth=1
	v_add_co_u32 v59, vcc_lo, v50, v19
	v_add_co_ci_u32_e64 v60, null, v51, v20, vcc_lo
	v_add_co_u32 v63, vcc_lo, v52, v19
	v_add_co_ci_u32_e64 v64, null, v53, v20, vcc_lo
	global_load_ushort v4, v[59:60], off
	global_load_ushort v12, v[63:64], off
	s_waitcnt vmcnt(1)
	v_lshlrev_b32_e32 v4, 16, v4
	s_waitcnt vmcnt(0)
	v_lshlrev_b32_e32 v12, 16, v12
.LBB103_12:                             ;   in Loop: Header=BB103_3 Depth=1
	s_or_b32 exec_lo, exec_lo, s1
	v_add_co_u32 v59, vcc_lo, 0xffffff83, v55
	v_add_co_ci_u32_e64 v60, null, -1, v56, vcc_lo
	v_cmp_gt_i64_e32 vcc_lo, s[8:9], v[59:60]
	s_and_b32 s30, s0, vcc_lo
	s_and_saveexec_b32 s1, s30
	s_cbranch_execz .LBB103_14
; %bb.13:                               ;   in Loop: Header=BB103_3 Depth=1
	v_add_co_u32 v59, vcc_lo, v46, v19
	v_add_co_ci_u32_e64 v60, null, v47, v20, vcc_lo
	v_add_co_u32 v63, vcc_lo, v48, v19
	v_add_co_ci_u32_e64 v64, null, v49, v20, vcc_lo
	global_load_ushort v5, v[59:60], off
	global_load_ushort v13, v[63:64], off
	s_waitcnt vmcnt(1)
	v_lshlrev_b32_e32 v5, 16, v5
	s_waitcnt vmcnt(0)
	v_lshlrev_b32_e32 v13, 16, v13
.LBB103_14:                             ;   in Loop: Header=BB103_3 Depth=1
	;; [unrolled: 19-line block ×7, first 2 shown]
	s_or_b32 exec_lo, exec_lo, s1
	s_waitcnt vmcnt(1)
	ds_bpermute_b32 v59, v2, v57
	ds_bpermute_b32 v60, v2, v57 offset:4
	ds_bpermute_b32 v61, v2, v57 offset:8
	s_waitcnt vmcnt(0)
	ds_bpermute_b32 v63, v2, v58
	ds_bpermute_b32 v64, v2, v57 offset:12
	ds_bpermute_b32 v65, v2, v58 offset:4
	;; [unrolled: 1-line block ×7, first 2 shown]
	s_mov_b32 s1, 0
	s_waitcnt lgkmcnt(10)
	v_sub_f32_e32 v11, v11, v59
	v_add_f32_e32 v59, v62, v3
	s_waitcnt lgkmcnt(9)
	v_sub_f32_e32 v12, v12, v60
	ds_bpermute_b32 v60, v2, v58 offset:16
	s_waitcnt lgkmcnt(9)
	v_sub_f32_e32 v13, v13, v61
	v_mul_f32_e32 v3, v3, v11
	ds_bpermute_b32 v61, v2, v58 offset:20
	v_mul_f32_e32 v12, v4, v12
	v_add_f32_e32 v4, v4, v59
	v_mul_f32_e32 v13, v5, v13
	s_waitcnt lgkmcnt(9)
	v_fma_f32 v11, v3, v63, v54
	s_waitcnt lgkmcnt(8)
	v_sub_f32_e32 v3, v14, v64
	ds_bpermute_b32 v63, v2, v58 offset:24
	v_add_f32_e32 v4, v5, v4
	ds_bpermute_b32 v58, v2, v58 offset:28
	s_waitcnt lgkmcnt(9)
	v_fmac_f32_e32 v11, v12, v65
	s_waitcnt lgkmcnt(8)
	v_sub_f32_e32 v12, v15, v66
	v_mul_f32_e32 v14, v6, v3
	ds_bpermute_b32 v3, v2, v57 offset:28
	s_waitcnt lgkmcnt(6)
	v_sub_f32_e32 v5, v16, v69
	v_fmac_f32_e32 v11, v13, v67
	v_mul_f32_e32 v12, v7, v12
	v_add_f32_e32 v4, v6, v4
	s_waitcnt lgkmcnt(5)
	v_sub_f32_e32 v6, v17, v70
	v_mul_f32_e32 v5, v8, v5
	v_fmac_f32_e32 v11, v14, v68
	v_add_f32_e32 v4, v7, v4
	v_mul_f32_e32 v6, v9, v6
	s_waitcnt lgkmcnt(4)
	v_fmac_f32_e32 v11, v12, v60
	v_add_f32_e32 v4, v8, v4
	s_waitcnt lgkmcnt(3)
	v_fmac_f32_e32 v11, v5, v61
	v_add_f32_e32 v4, v9, v4
	s_waitcnt lgkmcnt(2)
	v_fmac_f32_e32 v11, v6, v63
.LBB103_25:                             ;   in Loop: Header=BB103_3 Depth=1
	s_and_b32 vcc_lo, exec_lo, s1
	s_cbranch_vccz .LBB103_40
; %bb.26:                               ;   in Loop: Header=BB103_3 Depth=1
	s_load_dword s1, s[20:21], 0x0
	s_waitcnt lgkmcnt(0)
	v_mov_b32_e32 v58, 0
	v_mov_b32_e32 v57, 0
	s_cmp_lt_u32 s6, s1
	s_cselect_b32 s1, 12, 18
	s_add_u32 s30, s20, s1
	s_addc_u32 s31, s21, 0
	s_mov_b32 s1, exec_lo
	global_load_ushort v3, v2, s[30:31]
	s_waitcnt vmcnt(0)
	v_mad_u32_u24 v3, v1, v3, v0
	v_and_b32_e32 v3, 31, v3
	v_cmpx_gt_u32_e32 8, v3
	s_cbranch_execz .LBB103_30
; %bb.27:                               ;   in Loop: Header=BB103_3 Depth=1
	v_add_co_u32 v3, vcc_lo, v55, v3
	v_add_co_ci_u32_e64 v4, null, 0, v56, vcc_lo
	v_mov_b32_e32 v57, 0
	v_add_co_u32 v3, vcc_lo, 0xffffff81, v3
	v_add_co_ci_u32_e64 v4, null, -1, v4, vcc_lo
	v_mov_b32_e32 v58, 0
	s_mov_b32 s30, exec_lo
	v_cmpx_gt_i64_e64 s[8:9], v[3:4]
	s_cbranch_execz .LBB103_29
; %bb.28:                               ;   in Loop: Header=BB103_3 Depth=1
	v_lshlrev_b64 v[3:4], 2, v[3:4]
	v_add_co_u32 v5, vcc_lo, s16, v3
	v_add_co_ci_u32_e64 v6, null, s17, v4, vcc_lo
	v_add_co_u32 v3, vcc_lo, s18, v3
	v_add_co_ci_u32_e64 v4, null, s19, v4, vcc_lo
	global_load_dword v57, v[5:6], off
	global_load_dword v58, v[3:4], off
.LBB103_29:                             ;   in Loop: Header=BB103_3 Depth=1
	s_or_b32 exec_lo, exec_lo, s30
.LBB103_30:                             ;   in Loop: Header=BB103_3 Depth=1
	s_or_b32 exec_lo, exec_lo, s1
	v_mov_b32_e32 v9, v2
	v_mov_b32_e32 v3, v2
	;; [unrolled: 1-line block ×23, first 2 shown]
	s_and_saveexec_b32 s1, s0
	s_cbranch_execnz .LBB103_42
; %bb.31:                               ;   in Loop: Header=BB103_3 Depth=1
	s_or_b32 exec_lo, exec_lo, s1
	s_and_saveexec_b32 s1, s0
	s_cbranch_execnz .LBB103_43
.LBB103_32:                             ;   in Loop: Header=BB103_3 Depth=1
	s_or_b32 exec_lo, exec_lo, s1
	s_and_saveexec_b32 s1, s0
	s_cbranch_execnz .LBB103_44
.LBB103_33:                             ;   in Loop: Header=BB103_3 Depth=1
	s_or_b32 exec_lo, exec_lo, s1
	s_and_saveexec_b32 s1, s0
	s_cbranch_execnz .LBB103_45
.LBB103_34:                             ;   in Loop: Header=BB103_3 Depth=1
	s_or_b32 exec_lo, exec_lo, s1
	s_and_saveexec_b32 s1, s0
	s_cbranch_execnz .LBB103_46
.LBB103_35:                             ;   in Loop: Header=BB103_3 Depth=1
	s_or_b32 exec_lo, exec_lo, s1
	s_and_saveexec_b32 s1, s0
	s_cbranch_execnz .LBB103_47
.LBB103_36:                             ;   in Loop: Header=BB103_3 Depth=1
	s_or_b32 exec_lo, exec_lo, s1
	s_and_saveexec_b32 s1, s0
	s_cbranch_execnz .LBB103_48
.LBB103_37:                             ;   in Loop: Header=BB103_3 Depth=1
	s_or_b32 exec_lo, exec_lo, s1
	s_and_saveexec_b32 s1, s0
	s_cbranch_execz .LBB103_39
.LBB103_38:                             ;   in Loop: Header=BB103_3 Depth=1
	v_add_co_u32 v55, vcc_lo, v26, v19
	v_add_co_ci_u32_e64 v56, null, v27, v20, vcc_lo
	v_add_co_u32 v59, vcc_lo, v28, v19
	v_add_co_ci_u32_e64 v60, null, v29, v20, vcc_lo
	global_load_ushort v10, v[55:56], off
	global_load_ushort v18, v[59:60], off
	s_waitcnt vmcnt(1)
	v_lshlrev_b32_e32 v10, 16, v10
	s_waitcnt vmcnt(0)
	v_lshlrev_b32_e32 v18, 16, v18
.LBB103_39:                             ;   in Loop: Header=BB103_3 Depth=1
	s_or_b32 exec_lo, exec_lo, s1
	s_waitcnt vmcnt(1)
	ds_bpermute_b32 v55, v2, v57
	ds_bpermute_b32 v56, v2, v57 offset:4
	ds_bpermute_b32 v59, v2, v57 offset:8
	s_waitcnt vmcnt(0)
	ds_bpermute_b32 v60, v2, v58
	ds_bpermute_b32 v61, v2, v57 offset:12
	ds_bpermute_b32 v63, v2, v58 offset:4
	;; [unrolled: 1-line block ×5, first 2 shown]
	s_waitcnt lgkmcnt(8)
	v_sub_f32_e32 v11, v11, v55
	ds_bpermute_b32 v55, v2, v58 offset:12
	s_waitcnt lgkmcnt(8)
	v_sub_f32_e32 v12, v12, v56
	ds_bpermute_b32 v56, v2, v58 offset:16
	s_waitcnt lgkmcnt(8)
	v_sub_f32_e32 v13, v13, v59
	v_mul_f32_e32 v11, v3, v11
	v_add_f32_e32 v3, v62, v3
	v_mul_f32_e32 v12, v4, v12
	ds_bpermute_b32 v59, v2, v58 offset:20
	s_waitcnt lgkmcnt(7)
	v_sub_f32_e32 v14, v14, v61
	v_fmac_f32_e32 v54, v11, v60
	ds_bpermute_b32 v11, v2, v57 offset:24
	v_mul_f32_e32 v13, v5, v13
	v_add_f32_e32 v3, v4, v3
	s_waitcnt lgkmcnt(6)
	v_sub_f32_e32 v4, v15, v64
	v_fmac_f32_e32 v54, v12, v63
	v_mul_f32_e32 v12, v6, v14
	s_waitcnt lgkmcnt(4)
	v_sub_f32_e32 v14, v16, v66
	v_add_f32_e32 v5, v5, v3
	v_mul_f32_e32 v4, v7, v4
	v_fmac_f32_e32 v54, v13, v65
	ds_bpermute_b32 v13, v2, v58 offset:24
	ds_bpermute_b32 v58, v2, v58 offset:28
	;; [unrolled: 1-line block ×3, first 2 shown]
	v_add_f32_e32 v5, v6, v5
	s_waitcnt lgkmcnt(6)
	v_fmac_f32_e32 v54, v12, v55
	v_mul_f32_e32 v6, v8, v14
	v_add_f32_e32 v5, v7, v5
	s_waitcnt lgkmcnt(5)
	v_fmac_f32_e32 v54, v4, v56
	s_waitcnt lgkmcnt(3)
	v_sub_f32_e32 v4, v17, v11
	v_add_f32_e32 v5, v8, v5
	v_fmac_f32_e32 v54, v6, v59
	v_mul_f32_e32 v4, v9, v4
	s_waitcnt lgkmcnt(2)
	v_fmac_f32_e32 v54, v4, v13
	v_add_f32_e32 v4, v9, v5
	v_mov_b32_e32 v11, v54
.LBB103_40:                             ;   in Loop: Header=BB103_3 Depth=1
	v_add_co_u32 v22, vcc_lo, v22, s22
	v_add_co_ci_u32_e64 v23, null, s23, v23, vcc_lo
	v_add_co_u32 v24, vcc_lo, v24, s22
	v_add_co_ci_u32_e64 v25, null, s23, v25, vcc_lo
	;; [unrolled: 2-line block ×10, first 2 shown]
	v_add_co_u32 v42, vcc_lo, v42, s22
	s_waitcnt lgkmcnt(0)
	v_sub_f32_e32 v3, v18, v3
	v_add_co_ci_u32_e64 v43, null, s23, v43, vcc_lo
	v_add_co_u32 v44, vcc_lo, v44, s22
	v_add_co_ci_u32_e64 v45, null, s23, v45, vcc_lo
	v_add_co_u32 v46, vcc_lo, v46, s22
	s_add_u32 s26, s26, s29
	v_add_co_ci_u32_e64 v47, null, s23, v47, vcc_lo
	v_add_co_u32 v48, vcc_lo, v48, s22
	v_mul_f32_e32 v3, v10, v3
	s_addc_u32 s27, s27, 0
	v_add_co_ci_u32_e64 v49, null, s23, v49, vcc_lo
	v_add_co_u32 v50, vcc_lo, v50, s22
	v_cmp_lt_i64_e64 s1, s[26:27], s[8:9]
	v_add_co_ci_u32_e64 v51, null, s23, v51, vcc_lo
	v_add_co_u32 v52, vcc_lo, v52, s22
	v_add_f32_e32 v62, v4, v10
	v_fmac_f32_e32 v11, v3, v58
	v_add_co_ci_u32_e64 v53, null, s23, v53, vcc_lo
	s_add_u32 s24, s24, s29
	s_addc_u32 s25, s25, 0
	s_and_b32 vcc_lo, exec_lo, s1
	s_cbranch_vccz .LBB103_50
; %bb.41:                               ;   in Loop: Header=BB103_3 Depth=1
	v_mov_b32_e32 v54, v11
	s_branch .LBB103_3
.LBB103_42:                             ;   in Loop: Header=BB103_3 Depth=1
	v_add_co_u32 v3, vcc_lo, v22, v19
	v_add_co_ci_u32_e64 v4, null, v23, v20, vcc_lo
	v_add_co_u32 v5, vcc_lo, v24, v19
	v_add_co_ci_u32_e64 v6, null, v25, v20, vcc_lo
	global_load_ushort v3, v[3:4], off
	global_load_ushort v11, v[5:6], off
	v_mov_b32_e32 v4, v2
	v_mov_b32_e32 v5, v2
	;; [unrolled: 1-line block ×14, first 2 shown]
	s_waitcnt vmcnt(1)
	v_lshlrev_b32_e32 v3, 16, v3
	s_waitcnt vmcnt(0)
	v_lshlrev_b32_e32 v11, 16, v11
	s_or_b32 exec_lo, exec_lo, s1
	s_and_saveexec_b32 s1, s0
	s_cbranch_execz .LBB103_32
.LBB103_43:                             ;   in Loop: Header=BB103_3 Depth=1
	v_add_co_u32 v55, vcc_lo, v50, v19
	v_add_co_ci_u32_e64 v56, null, v51, v20, vcc_lo
	v_add_co_u32 v59, vcc_lo, v52, v19
	v_add_co_ci_u32_e64 v60, null, v53, v20, vcc_lo
	global_load_ushort v4, v[55:56], off
	global_load_ushort v12, v[59:60], off
	s_waitcnt vmcnt(1)
	v_lshlrev_b32_e32 v4, 16, v4
	s_waitcnt vmcnt(0)
	v_lshlrev_b32_e32 v12, 16, v12
	s_or_b32 exec_lo, exec_lo, s1
	s_and_saveexec_b32 s1, s0
	s_cbranch_execz .LBB103_33
.LBB103_44:                             ;   in Loop: Header=BB103_3 Depth=1
	v_add_co_u32 v55, vcc_lo, v46, v19
	v_add_co_ci_u32_e64 v56, null, v47, v20, vcc_lo
	v_add_co_u32 v59, vcc_lo, v48, v19
	v_add_co_ci_u32_e64 v60, null, v49, v20, vcc_lo
	global_load_ushort v5, v[55:56], off
	global_load_ushort v13, v[59:60], off
	s_waitcnt vmcnt(1)
	v_lshlrev_b32_e32 v5, 16, v5
	s_waitcnt vmcnt(0)
	v_lshlrev_b32_e32 v13, 16, v13
	s_or_b32 exec_lo, exec_lo, s1
	s_and_saveexec_b32 s1, s0
	s_cbranch_execz .LBB103_34
.LBB103_45:                             ;   in Loop: Header=BB103_3 Depth=1
	v_add_co_u32 v55, vcc_lo, v42, v19
	v_add_co_ci_u32_e64 v56, null, v43, v20, vcc_lo
	v_add_co_u32 v59, vcc_lo, v44, v19
	v_add_co_ci_u32_e64 v60, null, v45, v20, vcc_lo
	global_load_ushort v6, v[55:56], off
	global_load_ushort v14, v[59:60], off
	s_waitcnt vmcnt(1)
	v_lshlrev_b32_e32 v6, 16, v6
	s_waitcnt vmcnt(0)
	v_lshlrev_b32_e32 v14, 16, v14
	s_or_b32 exec_lo, exec_lo, s1
	s_and_saveexec_b32 s1, s0
	s_cbranch_execz .LBB103_35
.LBB103_46:                             ;   in Loop: Header=BB103_3 Depth=1
	v_add_co_u32 v55, vcc_lo, v38, v19
	v_add_co_ci_u32_e64 v56, null, v39, v20, vcc_lo
	v_add_co_u32 v59, vcc_lo, v40, v19
	v_add_co_ci_u32_e64 v60, null, v41, v20, vcc_lo
	global_load_ushort v7, v[55:56], off
	global_load_ushort v15, v[59:60], off
	s_waitcnt vmcnt(1)
	v_lshlrev_b32_e32 v7, 16, v7
	s_waitcnt vmcnt(0)
	v_lshlrev_b32_e32 v15, 16, v15
	s_or_b32 exec_lo, exec_lo, s1
	s_and_saveexec_b32 s1, s0
	s_cbranch_execz .LBB103_36
.LBB103_47:                             ;   in Loop: Header=BB103_3 Depth=1
	v_add_co_u32 v55, vcc_lo, v34, v19
	v_add_co_ci_u32_e64 v56, null, v35, v20, vcc_lo
	v_add_co_u32 v59, vcc_lo, v36, v19
	v_add_co_ci_u32_e64 v60, null, v37, v20, vcc_lo
	global_load_ushort v8, v[55:56], off
	global_load_ushort v16, v[59:60], off
	s_waitcnt vmcnt(1)
	v_lshlrev_b32_e32 v8, 16, v8
	s_waitcnt vmcnt(0)
	v_lshlrev_b32_e32 v16, 16, v16
	s_or_b32 exec_lo, exec_lo, s1
	s_and_saveexec_b32 s1, s0
	s_cbranch_execz .LBB103_37
.LBB103_48:                             ;   in Loop: Header=BB103_3 Depth=1
	v_add_co_u32 v55, vcc_lo, v30, v19
	v_add_co_ci_u32_e64 v56, null, v31, v20, vcc_lo
	v_add_co_u32 v59, vcc_lo, v32, v19
	v_add_co_ci_u32_e64 v60, null, v33, v20, vcc_lo
	global_load_ushort v9, v[55:56], off
	global_load_ushort v17, v[59:60], off
	s_waitcnt vmcnt(1)
	v_lshlrev_b32_e32 v9, 16, v9
	s_waitcnt vmcnt(0)
	v_lshlrev_b32_e32 v17, 16, v17
	s_or_b32 exec_lo, exec_lo, s1
	s_and_saveexec_b32 s1, s0
	s_cbranch_execnz .LBB103_38
	s_branch .LBB103_39
.LBB103_49:
                                        ; implicit-def: $vgpr11
                                        ; implicit-def: $vgpr62
	s_branch .LBB103_51
.LBB103_50:
	s_cbranch_execnz .LBB103_83
.LBB103_51:
	v_mov_b32_e32 v11, 0
	v_mov_b32_e32 v62, 0
	s_andn2_b32 vcc_lo, exec_lo, s7
	s_cbranch_vccnz .LBB103_83
; %bb.52:
	s_load_dword s0, s[4:5], 0x44
	v_lshlrev_b32_e32 v49, 3, v1
	s_add_u32 s20, s4, 64
	s_addc_u32 s21, s5, 0
	v_lshlrev_b32_e32 v8, 4, v1
	v_mov_b32_e32 v84, 0
	v_add_co_u32 v4, s1, v49, s2
	v_add_co_ci_u32_e64 v5, null, 0, 0, s1
	v_mov_b32_e32 v83, 0
	v_mul_lo_u32 v6, s11, v4
	v_mad_u64_u32 v[2:3], null, s10, v4, 0
	v_mul_lo_u32 v7, s10, v5
	s_waitcnt lgkmcnt(0)
	s_lshl_b32 s1, s0, 7
	v_add3_u32 v3, v3, v7, v6
	s_mul_i32 s0, s11, s1
	s_mul_hi_u32 s7, s10, s1
	s_mul_i32 s22, s10, s1
	s_add_i32 s23, s7, s0
	v_lshlrev_b64 v[6:7], 1, v[2:3]
	s_lshl_b64 s[22:23], s[22:23], 1
	s_add_u32 s24, s2, 0x7f
	s_addc_u32 s25, 0, 0
	s_lshl_b64 s[26:27], s[2:3], 1
	v_add_co_u32 v8, s0, v8, s26
	v_add_co_ci_u32_e64 v9, null, 0, s27, s0
	v_add_co_u32 v10, vcc_lo, v8, 2
	v_add_co_ci_u32_e64 v11, null, 0, v9, vcc_lo
	v_add_co_u32 v50, vcc_lo, s12, v6
	v_add_co_ci_u32_e64 v51, null, s13, v7, vcc_lo
	v_add_co_u32 v52, vcc_lo, s14, v6
	v_add_co_ci_u32_e64 v53, null, s15, v7, vcc_lo
	v_add_co_u32 v6, vcc_lo, v8, 4
	v_add_co_ci_u32_e64 v7, null, 0, v9, vcc_lo
	v_add_co_u32 v13, vcc_lo, v8, 6
	v_add_co_ci_u32_e64 v14, null, 0, v9, vcc_lo
	v_add_co_u32 v16, vcc_lo, v8, 8
	v_add_co_ci_u32_e64 v18, null, 0, v9, vcc_lo
	v_add_co_u32 v41, vcc_lo, v8, 10
	v_mad_u64_u32 v[21:22], null, s10, v6, s[12:13]
	v_mul_lo_u32 v7, s10, v7
	v_mul_lo_u32 v15, s11, v6
	v_mad_u64_u32 v[35:36], null, s10, v6, s[14:15]
	v_add_co_ci_u32_e64 v29, null, 0, v9, vcc_lo
	v_add_co_u32 v43, vcc_lo, v8, 12
	v_add_co_ci_u32_e64 v31, null, 0, v9, vcc_lo
	v_add_co_u32 v8, vcc_lo, v8, 14
	v_mad_u64_u32 v[19:20], null, s10, v10, s[12:13]
	v_mul_lo_u32 v11, s10, v11
	v_mul_lo_u32 v12, s11, v10
	v_mad_u64_u32 v[33:34], null, s10, v10, s[14:15]
	v_add_co_ci_u32_e64 v9, null, 0, v9, vcc_lo
	v_add_co_u32 v6, vcc_lo, v4, 7
	v_add3_u32 v22, v15, v22, v7
	v_add3_u32 v36, v15, v36, v7
	v_add_co_ci_u32_e64 v7, null, 0, v5, vcc_lo
	v_mul_lo_u32 v57, s10, v9
	v_add_co_u32 v9, vcc_lo, v4, 6
	v_add3_u32 v20, v12, v20, v11
	v_add3_u32 v34, v12, v34, v11
	v_add_co_ci_u32_e64 v12, null, 0, v5, vcc_lo
	v_mul_lo_u32 v10, s11, v6
	v_mul_lo_u32 v11, s10, v7
	v_mad_u64_u32 v[6:7], null, s10, v6, 0
	v_mad_u64_u32 v[23:24], null, s10, v13, s[12:13]
	v_mul_lo_u32 v17, s11, v13
	v_mul_lo_u32 v55, s10, v31
	v_mad_u64_u32 v[31:32], null, s10, v8, s[12:13]
	v_mul_lo_u32 v58, s11, v8
	v_mad_u64_u32 v[37:38], null, s10, v13, s[14:15]
	v_mad_u64_u32 v[45:46], null, s10, v8, s[14:15]
	v_mul_lo_u32 v13, s11, v9
	v_mul_lo_u32 v12, s10, v12
	v_mad_u64_u32 v[8:9], null, s10, v9, 0
	v_add3_u32 v7, v7, v11, v10
	v_add_co_u32 v10, vcc_lo, v4, 5
	v_mad_u64_u32 v[27:28], null, s10, v41, s[12:13]
	v_mul_lo_u32 v48, s10, v29
	v_mul_lo_u32 v54, s11, v41
	v_mad_u64_u32 v[41:42], null, s10, v41, s[14:15]
	v_add3_u32 v9, v9, v12, v13
	v_add_co_ci_u32_e64 v11, null, 0, v5, vcc_lo
	v_mad_u64_u32 v[29:30], null, s10, v43, s[12:13]
	v_mul_lo_u32 v56, s11, v43
	v_mad_u64_u32 v[43:44], null, s10, v43, s[14:15]
	v_lshlrev_b64 v[6:7], 1, v[6:7]
	v_lshlrev_b64 v[8:9], 1, v[8:9]
	v_mul_lo_u32 v12, s11, v10
	v_mul_lo_u32 v13, s10, v11
	v_mad_u64_u32 v[10:11], null, s10, v10, 0
	v_add3_u32 v28, v54, v28, v48
	v_add3_u32 v42, v54, v42, v48
	v_add_co_u32 v54, vcc_lo, s12, v6
	v_add3_u32 v30, v56, v30, v55
	v_add3_u32 v44, v56, v44, v55
	v_add_co_ci_u32_e64 v55, null, s13, v7, vcc_lo
	v_add_co_u32 v56, vcc_lo, s14, v6
	v_add3_u32 v32, v58, v32, v57
	v_add3_u32 v46, v58, v46, v57
	v_add_co_ci_u32_e64 v57, null, s15, v7, vcc_lo
	v_add_co_u32 v58, vcc_lo, s12, v8
	v_add_co_ci_u32_e64 v59, null, s13, v9, vcc_lo
	v_add3_u32 v11, v11, v13, v12
	v_add_co_u32 v12, vcc_lo, v4, 4
	v_add_co_ci_u32_e64 v13, null, 0, v5, vcc_lo
	v_add_co_u32 v60, vcc_lo, s14, v8
	v_mul_lo_u32 v14, s10, v14
	v_add_co_ci_u32_e64 v61, null, s15, v9, vcc_lo
	v_lshlrev_b64 v[6:7], 1, v[10:11]
	v_mul_lo_u32 v10, s11, v12
	v_mul_lo_u32 v11, s10, v13
	v_mad_u64_u32 v[8:9], null, s10, v12, 0
	v_add_co_u32 v12, vcc_lo, v4, 3
	v_add_co_ci_u32_e64 v13, null, 0, v5, vcc_lo
	v_add_co_u32 v63, vcc_lo, s12, v6
	v_add3_u32 v24, v17, v24, v14
	v_add3_u32 v38, v17, v38, v14
	v_add_co_ci_u32_e64 v64, null, s13, v7, vcc_lo
	v_add3_u32 v9, v9, v11, v10
	v_mul_lo_u32 v14, s11, v12
	v_mad_u64_u32 v[10:11], null, s10, v12, 0
	v_add_co_u32 v12, vcc_lo, v4, 2
	v_mul_lo_u32 v13, s10, v13
	v_add_co_ci_u32_e64 v15, null, 0, v5, vcc_lo
	v_add_co_u32 v65, vcc_lo, s14, v6
	v_lshlrev_b64 v[4:5], 1, v[8:9]
	v_add_co_ci_u32_e64 v66, null, s15, v7, vcc_lo
	v_mul_lo_u32 v8, s11, v12
	v_mul_lo_u32 v9, s10, v15
	v_mad_u64_u32 v[6:7], null, s10, v12, 0
	v_add3_u32 v11, v11, v13, v14
	v_add_co_u32 v67, vcc_lo, s12, v4
	v_add_co_ci_u32_e64 v68, null, s13, v5, vcc_lo
	v_add_co_u32 v69, vcc_lo, s14, v4
	v_add_co_ci_u32_e64 v70, null, s15, v5, vcc_lo
	v_lshlrev_b64 v[4:5], 1, v[10:11]
	v_add3_u32 v7, v7, v9, v8
	v_add_co_u32 v2, vcc_lo, v2, s10
	v_add_co_ci_u32_e64 v3, null, s11, v3, vcc_lo
	v_lshlrev_b64 v[6:7], 1, v[6:7]
	v_add_co_u32 v71, vcc_lo, s12, v4
	v_add_co_ci_u32_e64 v72, null, s13, v5, vcc_lo
	v_add_co_u32 v73, vcc_lo, s14, v4
	v_lshlrev_b64 v[3:4], 1, v[2:3]
	v_mov_b32_e32 v2, 0
	v_mad_u64_u32 v[25:26], null, s10, v16, s[12:13]
	v_mul_lo_u32 v18, s10, v18
	v_mul_lo_u32 v47, s11, v16
	v_mad_u64_u32 v[39:40], null, s10, v16, s[14:15]
	v_add_co_ci_u32_e64 v74, null, s15, v5, vcc_lo
	v_add_co_u32 v75, vcc_lo, s12, v6
	v_add_co_ci_u32_e64 v76, null, s13, v7, vcc_lo
	v_add_co_u32 v77, vcc_lo, s14, v6
	v_add_nc_u32_e32 v5, s28, v0
	v_mov_b32_e32 v6, v2
	v_add_co_ci_u32_e64 v78, null, s15, v7, vcc_lo
	v_add_co_u32 v79, vcc_lo, s12, v3
	v_add_co_ci_u32_e64 v80, null, s13, v4, vcc_lo
	v_add_co_u32 v81, vcc_lo, s14, v3
	v_add3_u32 v26, v47, v26, v18
	v_add3_u32 v40, v47, v40, v18
	v_lshlrev_b64 v[47:48], 1, v[5:6]
	v_add_co_ci_u32_e64 v82, null, s15, v4, vcc_lo
.LBB103_53:                             ; =>This Inner Loop Header: Depth=1
	v_cmp_ge_i64_e64 s0, s[24:25], s[8:9]
	v_add_co_u32 v85, s7, v49, s24
	v_add_co_ci_u32_e64 v86, null, 0, s25, s7
                                        ; implicit-def: $vgpr62
                                        ; implicit-def: $vgpr11
	s_and_b32 vcc_lo, exec_lo, s0
	s_mov_b32 s0, -1
	s_cbranch_vccz .LBB103_75
; %bb.54:                               ;   in Loop: Header=BB103_53 Depth=1
	s_load_dword s0, s[20:21], 0xc
	v_mov_b32_e32 v87, 0
	v_mov_b32_e32 v62, 0
	s_waitcnt lgkmcnt(0)
	s_and_b32 s0, s0, 0xffff
	v_mad_u32_u24 v3, v1, s0, v0
	s_mov_b32 s0, exec_lo
	v_and_b32_e32 v3, 31, v3
	v_cmpx_gt_u32_e32 8, v3
	s_cbranch_execz .LBB103_58
; %bb.55:                               ;   in Loop: Header=BB103_53 Depth=1
	v_add_co_u32 v3, vcc_lo, v85, v3
	v_add_co_ci_u32_e64 v4, null, 0, v86, vcc_lo
	v_mov_b32_e32 v62, 0
	v_add_co_u32 v3, vcc_lo, 0xffffff81, v3
	v_add_co_ci_u32_e64 v4, null, -1, v4, vcc_lo
	v_mov_b32_e32 v87, 0
	s_mov_b32 s7, exec_lo
	v_cmpx_gt_i64_e64 s[8:9], v[3:4]
	s_cbranch_execz .LBB103_57
; %bb.56:                               ;   in Loop: Header=BB103_53 Depth=1
	v_lshlrev_b64 v[3:4], 2, v[3:4]
	v_add_co_u32 v5, vcc_lo, s16, v3
	v_add_co_ci_u32_e64 v6, null, s17, v4, vcc_lo
	v_add_co_u32 v3, vcc_lo, s18, v3
	v_add_co_ci_u32_e64 v4, null, s19, v4, vcc_lo
	global_load_dword v62, v[5:6], off
	global_load_dword v87, v[3:4], off
.LBB103_57:                             ;   in Loop: Header=BB103_53 Depth=1
	s_or_b32 exec_lo, exec_lo, s7
.LBB103_58:                             ;   in Loop: Header=BB103_53 Depth=1
	s_or_b32 exec_lo, exec_lo, s0
	v_add_co_u32 v10, vcc_lo, 0xffffff81, v85
	v_add_co_ci_u32_e64 v11, null, -1, v86, vcc_lo
	v_mov_b32_e32 v9, v2
	v_mov_b32_e32 v3, v2
	;; [unrolled: 1-line block ×7, first 2 shown]
	v_cmp_gt_i64_e32 vcc_lo, s[8:9], v[10:11]
	v_mov_b32_e32 v18, v9
	v_mov_b32_e32 v15, v6
	;; [unrolled: 1-line block ×16, first 2 shown]
	s_and_saveexec_b32 s0, vcc_lo
	s_cbranch_execz .LBB103_60
; %bb.59:                               ;   in Loop: Header=BB103_53 Depth=1
	v_add_co_u32 v3, vcc_lo, v50, v47
	v_add_co_ci_u32_e64 v4, null, v51, v48, vcc_lo
	v_add_co_u32 v5, vcc_lo, v52, v47
	v_add_co_ci_u32_e64 v6, null, v53, v48, vcc_lo
	global_load_ushort v3, v[3:4], off
	global_load_ushort v11, v[5:6], off
	v_mov_b32_e32 v4, v2
	v_mov_b32_e32 v5, v2
	;; [unrolled: 1-line block ×14, first 2 shown]
	s_waitcnt vmcnt(1)
	v_lshlrev_b32_e32 v3, 16, v3
	s_waitcnt vmcnt(0)
	v_lshlrev_b32_e32 v11, 16, v11
.LBB103_60:                             ;   in Loop: Header=BB103_53 Depth=1
	s_or_b32 exec_lo, exec_lo, s0
	v_add_co_u32 v88, vcc_lo, 0xffffff82, v85
	v_add_co_ci_u32_e64 v89, null, -1, v86, vcc_lo
	s_mov_b32 s0, exec_lo
	v_cmpx_gt_i64_e64 s[8:9], v[88:89]
	s_cbranch_execz .LBB103_62
; %bb.61:                               ;   in Loop: Header=BB103_53 Depth=1
	v_add_co_u32 v88, vcc_lo, v79, v47
	v_add_co_ci_u32_e64 v89, null, v80, v48, vcc_lo
	v_add_co_u32 v90, vcc_lo, v81, v47
	v_add_co_ci_u32_e64 v91, null, v82, v48, vcc_lo
	global_load_ushort v4, v[88:89], off
	global_load_ushort v12, v[90:91], off
	s_waitcnt vmcnt(1)
	v_lshlrev_b32_e32 v4, 16, v4
	s_waitcnt vmcnt(0)
	v_lshlrev_b32_e32 v12, 16, v12
.LBB103_62:                             ;   in Loop: Header=BB103_53 Depth=1
	s_or_b32 exec_lo, exec_lo, s0
	v_add_co_u32 v88, vcc_lo, 0xffffff83, v85
	v_add_co_ci_u32_e64 v89, null, -1, v86, vcc_lo
	s_mov_b32 s0, exec_lo
	v_cmpx_gt_i64_e64 s[8:9], v[88:89]
	s_cbranch_execz .LBB103_64
; %bb.63:                               ;   in Loop: Header=BB103_53 Depth=1
	v_add_co_u32 v88, vcc_lo, v75, v47
	v_add_co_ci_u32_e64 v89, null, v76, v48, vcc_lo
	v_add_co_u32 v90, vcc_lo, v77, v47
	v_add_co_ci_u32_e64 v91, null, v78, v48, vcc_lo
	global_load_ushort v5, v[88:89], off
	global_load_ushort v13, v[90:91], off
	s_waitcnt vmcnt(1)
	v_lshlrev_b32_e32 v5, 16, v5
	s_waitcnt vmcnt(0)
	v_lshlrev_b32_e32 v13, 16, v13
.LBB103_64:                             ;   in Loop: Header=BB103_53 Depth=1
	;; [unrolled: 18-line block ×7, first 2 shown]
	s_or_b32 exec_lo, exec_lo, s0
	s_waitcnt vmcnt(1)
	ds_bpermute_b32 v89, v2, v62
	s_waitcnt vmcnt(0)
	ds_bpermute_b32 v88, v2, v87
	s_mov_b32 s0, 0
	s_waitcnt lgkmcnt(1)
	v_sub_f32_e32 v11, v11, v89
	ds_bpermute_b32 v89, v2, v62 offset:4
	v_mul_f32_e32 v11, v3, v11
	v_add_f32_e32 v3, v84, v3
	s_waitcnt lgkmcnt(1)
	v_fma_f32 v11, v11, v88, v83
	ds_bpermute_b32 v88, v2, v87 offset:4
	v_add_f32_e32 v3, v4, v3
	v_add_f32_e32 v3, v5, v3
	s_waitcnt lgkmcnt(1)
	v_sub_f32_e32 v12, v12, v89
	v_add_f32_e32 v3, v6, v3
	v_mul_f32_e32 v12, v4, v12
	ds_bpermute_b32 v4, v2, v87 offset:8
	v_add_f32_e32 v3, v7, v3
	s_waitcnt lgkmcnt(1)
	v_fmac_f32_e32 v11, v12, v88
	ds_bpermute_b32 v12, v2, v62 offset:8
	v_add_f32_e32 v3, v8, v3
	v_add_f32_e32 v3, v9, v3
	s_waitcnt lgkmcnt(0)
	v_sub_f32_e32 v12, v13, v12
	v_mul_f32_e32 v12, v5, v12
	ds_bpermute_b32 v5, v2, v62 offset:12
	v_fmac_f32_e32 v11, v12, v4
	ds_bpermute_b32 v4, v2, v87 offset:12
	s_waitcnt lgkmcnt(1)
	v_sub_f32_e32 v5, v14, v5
	v_mul_f32_e32 v5, v6, v5
	s_waitcnt lgkmcnt(0)
	v_fmac_f32_e32 v11, v5, v4
	ds_bpermute_b32 v5, v2, v62 offset:16
	ds_bpermute_b32 v4, v2, v87 offset:16
	s_waitcnt lgkmcnt(1)
	v_sub_f32_e32 v5, v15, v5
	v_mul_f32_e32 v5, v7, v5
	s_waitcnt lgkmcnt(0)
	v_fmac_f32_e32 v11, v5, v4
	ds_bpermute_b32 v5, v2, v62 offset:20
	;; [unrolled: 7-line block ×4, first 2 shown]
	ds_bpermute_b32 v4, v2, v87 offset:28
	v_add_f32_e32 v62, v10, v3
	s_waitcnt lgkmcnt(1)
	v_sub_f32_e32 v5, v18, v5
	v_mul_f32_e32 v5, v10, v5
	s_waitcnt lgkmcnt(0)
	v_fmac_f32_e32 v11, v5, v4
.LBB103_75:                             ;   in Loop: Header=BB103_53 Depth=1
	s_and_b32 vcc_lo, exec_lo, s0
	s_cbranch_vccz .LBB103_81
; %bb.76:                               ;   in Loop: Header=BB103_53 Depth=1
	s_load_dword s0, s[20:21], 0x0
	v_mov_b32_e32 v6, 0
	v_mov_b32_e32 v5, 0
	s_waitcnt lgkmcnt(0)
	s_cmp_lt_u32 s6, s0
	s_cselect_b32 s0, 12, 18
	s_add_u32 s12, s20, s0
	s_addc_u32 s13, s21, 0
	s_mov_b32 s0, exec_lo
	global_load_ushort v3, v2, s[12:13]
	s_waitcnt vmcnt(0)
	v_mad_u32_u24 v3, v1, v3, v0
	v_and_b32_e32 v3, 31, v3
	v_cmpx_gt_u32_e32 8, v3
	s_cbranch_execz .LBB103_80
; %bb.77:                               ;   in Loop: Header=BB103_53 Depth=1
	v_add_co_u32 v3, vcc_lo, v85, v3
	v_add_co_ci_u32_e64 v4, null, 0, v86, vcc_lo
	v_mov_b32_e32 v5, 0
	v_add_co_u32 v3, vcc_lo, 0xffffff81, v3
	v_add_co_ci_u32_e64 v4, null, -1, v4, vcc_lo
	v_mov_b32_e32 v6, 0
	s_mov_b32 s7, exec_lo
	v_cmpx_gt_i64_e64 s[8:9], v[3:4]
	s_cbranch_execz .LBB103_79
; %bb.78:                               ;   in Loop: Header=BB103_53 Depth=1
	v_lshlrev_b64 v[3:4], 2, v[3:4]
	v_add_co_u32 v5, vcc_lo, s16, v3
	v_add_co_ci_u32_e64 v6, null, s17, v4, vcc_lo
	v_add_co_u32 v3, vcc_lo, s18, v3
	v_add_co_ci_u32_e64 v4, null, s19, v4, vcc_lo
	global_load_dword v5, v[5:6], off
	global_load_dword v6, v[3:4], off
.LBB103_79:                             ;   in Loop: Header=BB103_53 Depth=1
	s_or_b32 exec_lo, exec_lo, s7
.LBB103_80:                             ;   in Loop: Header=BB103_53 Depth=1
	s_or_b32 exec_lo, exec_lo, s0
	v_add_co_u32 v3, vcc_lo, v50, v47
	v_add_co_ci_u32_e64 v4, null, v51, v48, vcc_lo
	v_add_co_u32 v7, vcc_lo, v52, v47
	v_add_co_ci_u32_e64 v8, null, v53, v48, vcc_lo
	global_load_ushort v15, v[3:4], off
	v_add_co_u32 v3, vcc_lo, v19, v47
	v_add_co_ci_u32_e64 v4, null, v20, v48, vcc_lo
	v_add_co_u32 v9, vcc_lo, v33, v47
	v_add_co_ci_u32_e64 v10, null, v34, v48, vcc_lo
	;; [unrolled: 2-line block ×4, first 2 shown]
	global_load_ushort v16, v[7:8], off
	global_load_ushort v17, v[3:4], off
	;; [unrolled: 1-line block ×5, first 2 shown]
	v_add_co_u32 v3, vcc_lo, v23, v47
	v_add_co_ci_u32_e64 v4, null, v24, v48, vcc_lo
	v_add_co_u32 v7, vcc_lo, v37, v47
	v_add_co_ci_u32_e64 v8, null, v38, v48, vcc_lo
	;; [unrolled: 2-line block ×5, first 2 shown]
	global_load_ushort v86, v[7:8], off
	global_load_ushort v87, v[3:4], off
	;; [unrolled: 1-line block ×5, first 2 shown]
	v_add_co_u32 v3, vcc_lo, v41, v47
	v_add_co_ci_u32_e64 v4, null, v42, v48, vcc_lo
	v_add_co_u32 v7, vcc_lo, v29, v47
	v_add_co_ci_u32_e64 v8, null, v30, v48, vcc_lo
	;; [unrolled: 2-line block ×3, first 2 shown]
	global_load_ushort v13, v[3:4], off
	global_load_ushort v14, v[7:8], off
	;; [unrolled: 1-line block ×3, first 2 shown]
	v_add_co_u32 v7, s0, v45, v47
	v_add_co_u32 v3, vcc_lo, v31, v47
	v_add_co_ci_u32_e64 v8, null, v46, v48, s0
	v_add_co_ci_u32_e64 v4, null, v32, v48, vcc_lo
	global_load_ushort v7, v[7:8], off
	global_load_ushort v3, v[3:4], off
	s_waitcnt vmcnt(17)
	ds_bpermute_b32 v4, v2, v5
	s_waitcnt vmcnt(16)
	ds_bpermute_b32 v8, v2, v6
	ds_bpermute_b32 v89, v2, v5 offset:8
	ds_bpermute_b32 v90, v2, v6 offset:4
	;; [unrolled: 1-line block ×4, first 2 shown]
	s_waitcnt vmcnt(15)
	v_lshlrev_b32_e32 v15, 16, v15
	s_waitcnt vmcnt(14)
	v_lshlrev_b32_e32 v10, 16, v16
	ds_bpermute_b32 v16, v2, v5 offset:4
	s_waitcnt vmcnt(12)
	v_lshlrev_b32_e32 v18, 16, v18
	v_lshlrev_b32_e32 v17, 16, v17
	s_waitcnt vmcnt(10)
	v_lshlrev_b32_e32 v85, 16, v85
	s_waitcnt lgkmcnt(6)
	v_sub_f32_e32 v4, v10, v4
	ds_bpermute_b32 v10, v2, v5 offset:12
	v_lshlrev_b32_e32 v62, 16, v62
	s_waitcnt lgkmcnt(5)
	v_sub_f32_e32 v85, v85, v89
	v_mul_f32_e32 v4, v4, v15
	v_add_f32_e32 v15, v84, v15
	ds_bpermute_b32 v84, v2, v6 offset:20
	ds_bpermute_b32 v89, v2, v6 offset:24
	v_mul_f32_e32 v85, v85, v62
	v_fmac_f32_e32 v83, v4, v8
	ds_bpermute_b32 v8, v2, v5 offset:16
	ds_bpermute_b32 v4, v2, v6 offset:16
	ds_bpermute_b32 v6, v2, v6 offset:28
	s_waitcnt vmcnt(9)
	v_lshlrev_b32_e32 v86, 16, v86
	s_waitcnt lgkmcnt(6)
	v_sub_f32_e32 v16, v18, v16
	ds_bpermute_b32 v18, v2, v5 offset:20
	s_waitcnt vmcnt(8)
	v_lshlrev_b32_e32 v87, 16, v87
	s_waitcnt vmcnt(6)
	v_lshlrev_b32_e32 v11, 16, v11
	s_waitcnt lgkmcnt(6)
	v_sub_f32_e32 v10, v86, v10
	ds_bpermute_b32 v86, v2, v5 offset:24
	v_mul_f32_e32 v16, v16, v17
	ds_bpermute_b32 v5, v2, v5 offset:28
	v_lshlrev_b32_e32 v88, 16, v88
	v_mul_f32_e32 v10, v10, v87
	s_waitcnt vmcnt(5)
	v_lshlrev_b32_e32 v12, 16, v12
	v_fmac_f32_e32 v83, v16, v90
	s_waitcnt lgkmcnt(5)
	v_sub_f32_e32 v8, v11, v8
	s_waitcnt vmcnt(4)
	v_lshlrev_b32_e32 v13, 16, v13
	v_add_f32_e32 v11, v15, v17
	v_fmac_f32_e32 v83, v85, v91
	s_waitcnt vmcnt(2)
	v_lshlrev_b32_e32 v9, 16, v9
	v_mul_f32_e32 v8, v8, v88
	s_waitcnt lgkmcnt(2)
	v_sub_f32_e32 v13, v13, v18
	v_add_f32_e32 v11, v11, v62
	v_fmac_f32_e32 v83, v10, v92
	v_lshlrev_b32_e32 v10, 16, v14
	s_waitcnt lgkmcnt(1)
	v_sub_f32_e32 v9, v9, v86
	v_mul_f32_e32 v13, v13, v12
	v_add_f32_e32 v11, v11, v87
	v_fmac_f32_e32 v83, v8, v4
	s_waitcnt vmcnt(1)
	v_lshlrev_b32_e32 v4, 16, v7
	s_waitcnt vmcnt(0)
	v_lshlrev_b32_e32 v3, 16, v3
	v_mul_f32_e32 v7, v9, v10
	v_add_f32_e32 v8, v11, v88
	v_fmac_f32_e32 v83, v13, v84
	s_waitcnt lgkmcnt(0)
	v_sub_f32_e32 v4, v4, v5
	v_add_f32_e32 v5, v8, v12
	v_fmac_f32_e32 v83, v7, v89
	v_mul_f32_e32 v4, v4, v3
	v_add_f32_e32 v5, v5, v10
	v_fmac_f32_e32 v83, v4, v6
	v_add_f32_e32 v62, v5, v3
	v_mov_b32_e32 v11, v83
.LBB103_81:                             ;   in Loop: Header=BB103_53 Depth=1
	v_add_co_u32 v50, vcc_lo, v50, s22
	v_add_co_ci_u32_e64 v51, null, s23, v51, vcc_lo
	v_add_co_u32 v52, vcc_lo, v52, s22
	v_add_co_ci_u32_e64 v53, null, s23, v53, vcc_lo
	;; [unrolled: 2-line block ×26, first 2 shown]
	v_add_co_u32 v75, vcc_lo, v75, s22
	s_add_u32 s2, s2, s1
	v_add_co_ci_u32_e64 v76, null, s23, v76, vcc_lo
	v_add_co_u32 v77, vcc_lo, v77, s22
	s_addc_u32 s3, s3, 0
	v_add_co_ci_u32_e64 v78, null, s23, v78, vcc_lo
	v_add_co_u32 v79, vcc_lo, v79, s22
	v_cmp_ge_i64_e64 s0, s[2:3], s[8:9]
	v_add_co_ci_u32_e64 v80, null, s23, v80, vcc_lo
	v_add_co_u32 v81, vcc_lo, v81, s22
	v_add_co_ci_u32_e64 v82, null, s23, v82, vcc_lo
	s_add_u32 s24, s24, s1
	s_addc_u32 s25, s25, 0
	s_and_b32 vcc_lo, exec_lo, s0
	s_cbranch_vccnz .LBB103_83
; %bb.82:                               ;   in Loop: Header=BB103_53 Depth=1
	v_mov_b32_e32 v84, v62
	v_mov_b32_e32 v83, v11
	s_branch .LBB103_53
.LBB103_83:
	v_mad_u32_u24 v2, 0x41, v1, v0
	s_mov_b32 s0, exec_lo
	v_lshl_add_u32 v3, v2, 2, 0
	v_sub_nc_u32_e32 v4, v2, v1
	ds_write_b32 v3, v11
	ds_write_b32 v3, v62 offset:4160
	s_waitcnt lgkmcnt(0)
	s_barrier
	buffer_gl0_inv
	v_cmpx_gt_u32_e32 0x800, v4
	s_cbranch_execz .LBB103_99
; %bb.84:
	s_load_dwordx4 s[12:15], s[4:5], 0x30
	v_and_b32_e32 v1, 31, v0
	v_lshrrev_b32_e32 v3, 5, v4
                                        ; implicit-def: $vgpr2
	v_cmp_gt_u32_e64 s0, 16, v1
	v_mul_u32_u24_e32 v5, 0x41, v1
                                        ; implicit-def: $vgpr1
	s_and_saveexec_b32 s1, s0
	s_cbranch_execz .LBB103_86
; %bb.85:
	v_add_nc_u32_e32 v1, v3, v5
	v_lshl_add_u32 v1, v1, 2, 0
	ds_read_b32 v2, v1
	ds_read_b32 v1, v1 offset:4160
.LBB103_86:
	s_or_b32 exec_lo, exec_lo, s1
	v_mbcnt_lo_u32_b32 v9, -1, 0
	s_mov_b32 s7, 0
	v_cmp_eq_u32_e64 s1, 0, v0
	s_lshl_b64 s[2:3], s[6:7], 6
	s_waitcnt lgkmcnt(0)
	s_cmp_lg_u64 s[12:13], 0
	v_xor_b32_e32 v6, 8, v9
	v_xor_b32_e32 v7, 4, v9
	v_xor_b32_e32 v12, 1, v9
	s_cselect_b32 s5, -1, 0
	s_cmp_lg_u64 s[14:15], 0
	v_cmp_gt_i32_e32 vcc_lo, 32, v6
	s_cselect_b32 s4, -1, 0
	v_cndmask_b32_e32 v6, v9, v6, vcc_lo
	v_cmp_gt_i32_e32 vcc_lo, 32, v7
	v_lshlrev_b32_e32 v6, 2, v6
	v_cndmask_b32_e32 v7, v9, v7, vcc_lo
	ds_bpermute_b32 v8, v6, v2
	ds_bpermute_b32 v10, v6, v1
	v_lshlrev_b32_e32 v7, 2, v7
	s_waitcnt lgkmcnt(1)
	v_add_f32_e32 v2, v2, v8
	s_waitcnt lgkmcnt(0)
	v_add_f32_e32 v1, v1, v10
	v_xor_b32_e32 v8, 2, v9
	ds_bpermute_b32 v10, v7, v2
	ds_bpermute_b32 v11, v7, v1
	v_cmp_gt_i32_e32 vcc_lo, 32, v8
	v_cndmask_b32_e32 v8, v9, v8, vcc_lo
	v_cmp_gt_i32_e32 vcc_lo, 32, v12
	v_lshlrev_b32_e32 v8, 2, v8
	v_cndmask_b32_e32 v9, v9, v12, vcc_lo
	v_lshlrev_b32_e32 v9, 2, v9
	s_waitcnt lgkmcnt(1)
	v_add_f32_e32 v2, v2, v10
	s_waitcnt lgkmcnt(0)
	v_add_f32_e32 v1, v1, v11
	ds_bpermute_b32 v10, v8, v2
	ds_bpermute_b32 v11, v8, v1
	s_waitcnt lgkmcnt(1)
	v_add_f32_e32 v10, v2, v10
	s_waitcnt lgkmcnt(0)
	v_add_f32_e32 v11, v1, v11
	v_or_b32_e32 v1, s2, v3
	v_mov_b32_e32 v2, s3
	ds_bpermute_b32 v12, v9, v10
	ds_bpermute_b32 v13, v9, v11
	v_cmp_gt_i64_e32 vcc_lo, s[10:11], v[1:2]
	s_and_b32 s7, s1, vcc_lo
	s_waitcnt lgkmcnt(1)
	v_add_f32_e32 v10, v10, v12
	s_waitcnt lgkmcnt(0)
	v_add_f32_e32 v11, v11, v13
	s_and_saveexec_b32 s6, s7
	s_cbranch_execz .LBB103_91
; %bb.87:
	v_lshlrev_b64 v[0:1], 1, v[1:2]
	s_andn2_b32 vcc_lo, exec_lo, s5
	s_cbranch_vccnz .LBB103_89
; %bb.88:
	v_bfe_u32 v2, v10, 16, 1
	v_cmp_o_f32_e32 vcc_lo, v10, v10
	v_mov_b32_e32 v12, 0x7fc0
	v_add3_u32 v2, v10, v2, 0x7fff
	v_cndmask_b32_sdwa v2, v12, v2, vcc_lo dst_sel:DWORD dst_unused:UNUSED_PAD src0_sel:DWORD src1_sel:WORD_1
	v_add_co_u32 v12, vcc_lo, s12, v0
	v_add_co_ci_u32_e64 v13, null, s13, v1, vcc_lo
	global_store_short v[12:13], v2, off
.LBB103_89:
	s_andn2_b32 vcc_lo, exec_lo, s4
	s_cbranch_vccnz .LBB103_91
; %bb.90:
	v_bfe_u32 v2, v11, 16, 1
	v_cmp_o_f32_e32 vcc_lo, v11, v11
	v_mov_b32_e32 v12, 0x7fc0
	v_add3_u32 v2, v11, v2, 0x7fff
	v_cndmask_b32_sdwa v2, v12, v2, vcc_lo dst_sel:DWORD dst_unused:UNUSED_PAD src0_sel:DWORD src1_sel:WORD_1
	v_add_co_u32 v0, vcc_lo, s14, v0
	v_add_co_ci_u32_e64 v1, null, s15, v1, vcc_lo
	global_store_short v[0:1], v2, off
.LBB103_91:
	s_or_b32 exec_lo, exec_lo, s6
	v_cmp_gt_u32_e32 vcc_lo, 0x400, v4
	s_and_b32 exec_lo, exec_lo, vcc_lo
	s_cbranch_execz .LBB103_99
; %bb.92:
	s_and_saveexec_b32 s6, s0
	s_cbranch_execz .LBB103_94
; %bb.93:
	v_add_nc_u32_e32 v0, v3, v5
	v_lshl_add_u32 v0, v0, 2, 0
	ds_read_b32 v10, v0 offset:128
	ds_read_b32 v11, v0 offset:4288
.LBB103_94:
	s_or_b32 exec_lo, exec_lo, s6
	s_waitcnt lgkmcnt(1)
	ds_bpermute_b32 v0, v6, v10
	s_waitcnt lgkmcnt(1)
	ds_bpermute_b32 v1, v6, v11
	v_add_nc_u32_e32 v5, 32, v3
	v_mov_b32_e32 v6, s3
	v_or_b32_e32 v5, s2, v5
	v_cmp_gt_i64_e32 vcc_lo, s[10:11], v[5:6]
	s_and_b32 s0, s1, vcc_lo
	s_waitcnt lgkmcnt(1)
	v_add_f32_e32 v0, v10, v0
	s_waitcnt lgkmcnt(0)
	v_add_f32_e32 v1, v11, v1
	ds_bpermute_b32 v2, v7, v0
	ds_bpermute_b32 v4, v7, v1
	s_waitcnt lgkmcnt(1)
	v_add_f32_e32 v0, v0, v2
	s_waitcnt lgkmcnt(0)
	v_add_f32_e32 v1, v1, v4
	ds_bpermute_b32 v2, v8, v0
	ds_bpermute_b32 v4, v8, v1
	;; [unrolled: 6-line block ×3, first 2 shown]
	s_and_b32 exec_lo, exec_lo, s0
	s_cbranch_execz .LBB103_99
; %bb.95:
	s_andn2_b32 vcc_lo, exec_lo, s5
	s_cbranch_vccnz .LBB103_97
; %bb.96:
	s_waitcnt lgkmcnt(1)
	v_add_f32_e32 v2, v2, v4
	v_add_co_u32 v4, s0, s2, v3
	v_add_co_ci_u32_e64 v5, null, s3, 0, s0
	v_bfe_u32 v6, v2, 16, 1
	v_cmp_o_f32_e32 vcc_lo, v2, v2
	v_mov_b32_e32 v7, 0x7fc0
	v_lshlrev_b64 v[4:5], 1, v[4:5]
	v_add3_u32 v2, v2, v6, 0x7fff
	v_cndmask_b32_sdwa v2, v7, v2, vcc_lo dst_sel:DWORD dst_unused:UNUSED_PAD src0_sel:DWORD src1_sel:WORD_1
	v_add_co_u32 v4, vcc_lo, s12, v4
	v_add_co_ci_u32_e64 v5, null, s13, v5, vcc_lo
	global_store_short v[4:5], v2, off offset:64
.LBB103_97:
	s_andn2_b32 vcc_lo, exec_lo, s4
	s_cbranch_vccnz .LBB103_99
; %bb.98:
	s_waitcnt lgkmcnt(0)
	v_add_f32_e32 v2, v0, v1
	v_add_co_u32 v0, s0, s2, v3
	v_add_co_ci_u32_e64 v1, null, s3, 0, s0
	v_bfe_u32 v4, v2, 16, 1
	v_cmp_o_f32_e32 vcc_lo, v2, v2
	v_mov_b32_e32 v3, 0x7fc0
	v_lshlrev_b64 v[0:1], 1, v[0:1]
	v_add3_u32 v2, v2, v4, 0x7fff
	v_cndmask_b32_sdwa v2, v3, v2, vcc_lo dst_sel:DWORD dst_unused:UNUSED_PAD src0_sel:DWORD src1_sel:WORD_1
	v_add_co_u32 v0, vcc_lo, s14, v0
	v_add_co_ci_u32_e64 v1, null, s15, v1, vcc_lo
	global_store_short v[0:1], v2, off offset:64
.LBB103_99:
	s_endpgm
	.section	.rodata,"a",@progbits
	.p2align	6, 0x0
	.amdhsa_kernel _ZN2at6native12_GLOBAL__N_135GammaBetaBackwardCUDAKernelTemplateIN3c108BFloat16EfLj64ELj16ELj128ELb0ELb0ELb0EEEvllPKT_S7_PKT0_SA_PS5_SB_
		.amdhsa_group_segment_fixed_size 0
		.amdhsa_private_segment_fixed_size 0
		.amdhsa_kernarg_size 320
		.amdhsa_user_sgpr_count 6
		.amdhsa_user_sgpr_private_segment_buffer 1
		.amdhsa_user_sgpr_dispatch_ptr 0
		.amdhsa_user_sgpr_queue_ptr 0
		.amdhsa_user_sgpr_kernarg_segment_ptr 1
		.amdhsa_user_sgpr_dispatch_id 0
		.amdhsa_user_sgpr_flat_scratch_init 0
		.amdhsa_user_sgpr_private_segment_size 0
		.amdhsa_wavefront_size32 1
		.amdhsa_uses_dynamic_stack 0
		.amdhsa_system_sgpr_private_segment_wavefront_offset 0
		.amdhsa_system_sgpr_workgroup_id_x 1
		.amdhsa_system_sgpr_workgroup_id_y 1
		.amdhsa_system_sgpr_workgroup_id_z 0
		.amdhsa_system_sgpr_workgroup_info 0
		.amdhsa_system_vgpr_workitem_id 1
		.amdhsa_next_free_vgpr 93
		.amdhsa_next_free_sgpr 32
		.amdhsa_reserve_vcc 1
		.amdhsa_reserve_flat_scratch 0
		.amdhsa_float_round_mode_32 0
		.amdhsa_float_round_mode_16_64 0
		.amdhsa_float_denorm_mode_32 3
		.amdhsa_float_denorm_mode_16_64 3
		.amdhsa_dx10_clamp 1
		.amdhsa_ieee_mode 1
		.amdhsa_fp16_overflow 0
		.amdhsa_workgroup_processor_mode 1
		.amdhsa_memory_ordered 1
		.amdhsa_forward_progress 1
		.amdhsa_shared_vgpr_count 0
		.amdhsa_exception_fp_ieee_invalid_op 0
		.amdhsa_exception_fp_denorm_src 0
		.amdhsa_exception_fp_ieee_div_zero 0
		.amdhsa_exception_fp_ieee_overflow 0
		.amdhsa_exception_fp_ieee_underflow 0
		.amdhsa_exception_fp_ieee_inexact 0
		.amdhsa_exception_int_div_zero 0
	.end_amdhsa_kernel
	.section	.text._ZN2at6native12_GLOBAL__N_135GammaBetaBackwardCUDAKernelTemplateIN3c108BFloat16EfLj64ELj16ELj128ELb0ELb0ELb0EEEvllPKT_S7_PKT0_SA_PS5_SB_,"axG",@progbits,_ZN2at6native12_GLOBAL__N_135GammaBetaBackwardCUDAKernelTemplateIN3c108BFloat16EfLj64ELj16ELj128ELb0ELb0ELb0EEEvllPKT_S7_PKT0_SA_PS5_SB_,comdat
.Lfunc_end103:
	.size	_ZN2at6native12_GLOBAL__N_135GammaBetaBackwardCUDAKernelTemplateIN3c108BFloat16EfLj64ELj16ELj128ELb0ELb0ELb0EEEvllPKT_S7_PKT0_SA_PS5_SB_, .Lfunc_end103-_ZN2at6native12_GLOBAL__N_135GammaBetaBackwardCUDAKernelTemplateIN3c108BFloat16EfLj64ELj16ELj128ELb0ELb0ELb0EEEvllPKT_S7_PKT0_SA_PS5_SB_
                                        ; -- End function
	.set _ZN2at6native12_GLOBAL__N_135GammaBetaBackwardCUDAKernelTemplateIN3c108BFloat16EfLj64ELj16ELj128ELb0ELb0ELb0EEEvllPKT_S7_PKT0_SA_PS5_SB_.num_vgpr, 93
	.set _ZN2at6native12_GLOBAL__N_135GammaBetaBackwardCUDAKernelTemplateIN3c108BFloat16EfLj64ELj16ELj128ELb0ELb0ELb0EEEvllPKT_S7_PKT0_SA_PS5_SB_.num_agpr, 0
	.set _ZN2at6native12_GLOBAL__N_135GammaBetaBackwardCUDAKernelTemplateIN3c108BFloat16EfLj64ELj16ELj128ELb0ELb0ELb0EEEvllPKT_S7_PKT0_SA_PS5_SB_.numbered_sgpr, 32
	.set _ZN2at6native12_GLOBAL__N_135GammaBetaBackwardCUDAKernelTemplateIN3c108BFloat16EfLj64ELj16ELj128ELb0ELb0ELb0EEEvllPKT_S7_PKT0_SA_PS5_SB_.num_named_barrier, 0
	.set _ZN2at6native12_GLOBAL__N_135GammaBetaBackwardCUDAKernelTemplateIN3c108BFloat16EfLj64ELj16ELj128ELb0ELb0ELb0EEEvllPKT_S7_PKT0_SA_PS5_SB_.private_seg_size, 0
	.set _ZN2at6native12_GLOBAL__N_135GammaBetaBackwardCUDAKernelTemplateIN3c108BFloat16EfLj64ELj16ELj128ELb0ELb0ELb0EEEvllPKT_S7_PKT0_SA_PS5_SB_.uses_vcc, 1
	.set _ZN2at6native12_GLOBAL__N_135GammaBetaBackwardCUDAKernelTemplateIN3c108BFloat16EfLj64ELj16ELj128ELb0ELb0ELb0EEEvllPKT_S7_PKT0_SA_PS5_SB_.uses_flat_scratch, 0
	.set _ZN2at6native12_GLOBAL__N_135GammaBetaBackwardCUDAKernelTemplateIN3c108BFloat16EfLj64ELj16ELj128ELb0ELb0ELb0EEEvllPKT_S7_PKT0_SA_PS5_SB_.has_dyn_sized_stack, 0
	.set _ZN2at6native12_GLOBAL__N_135GammaBetaBackwardCUDAKernelTemplateIN3c108BFloat16EfLj64ELj16ELj128ELb0ELb0ELb0EEEvllPKT_S7_PKT0_SA_PS5_SB_.has_recursion, 0
	.set _ZN2at6native12_GLOBAL__N_135GammaBetaBackwardCUDAKernelTemplateIN3c108BFloat16EfLj64ELj16ELj128ELb0ELb0ELb0EEEvllPKT_S7_PKT0_SA_PS5_SB_.has_indirect_call, 0
	.section	.AMDGPU.csdata,"",@progbits
; Kernel info:
; codeLenInByte = 9296
; TotalNumSgprs: 34
; NumVgprs: 93
; ScratchSize: 0
; MemoryBound: 0
; FloatMode: 240
; IeeeMode: 1
; LDSByteSize: 0 bytes/workgroup (compile time only)
; SGPRBlocks: 0
; VGPRBlocks: 11
; NumSGPRsForWavesPerEU: 34
; NumVGPRsForWavesPerEU: 93
; Occupancy: 10
; WaveLimiterHint : 0
; COMPUTE_PGM_RSRC2:SCRATCH_EN: 0
; COMPUTE_PGM_RSRC2:USER_SGPR: 6
; COMPUTE_PGM_RSRC2:TRAP_HANDLER: 0
; COMPUTE_PGM_RSRC2:TGID_X_EN: 1
; COMPUTE_PGM_RSRC2:TGID_Y_EN: 1
; COMPUTE_PGM_RSRC2:TGID_Z_EN: 0
; COMPUTE_PGM_RSRC2:TIDIG_COMP_CNT: 1
	.section	.text._ZN2at6native12_GLOBAL__N_135GammaBetaBackwardCUDAKernelTemplateIN3c108BFloat16EfLj64ELj16ELj256ELb0ELb1ELb0EEEvllPKT_S7_PKT0_SA_PS5_SB_,"axG",@progbits,_ZN2at6native12_GLOBAL__N_135GammaBetaBackwardCUDAKernelTemplateIN3c108BFloat16EfLj64ELj16ELj256ELb0ELb1ELb0EEEvllPKT_S7_PKT0_SA_PS5_SB_,comdat
	.globl	_ZN2at6native12_GLOBAL__N_135GammaBetaBackwardCUDAKernelTemplateIN3c108BFloat16EfLj64ELj16ELj256ELb0ELb1ELb0EEEvllPKT_S7_PKT0_SA_PS5_SB_ ; -- Begin function _ZN2at6native12_GLOBAL__N_135GammaBetaBackwardCUDAKernelTemplateIN3c108BFloat16EfLj64ELj16ELj256ELb0ELb1ELb0EEEvllPKT_S7_PKT0_SA_PS5_SB_
	.p2align	8
	.type	_ZN2at6native12_GLOBAL__N_135GammaBetaBackwardCUDAKernelTemplateIN3c108BFloat16EfLj64ELj16ELj256ELb0ELb1ELb0EEEvllPKT_S7_PKT0_SA_PS5_SB_,@function
_ZN2at6native12_GLOBAL__N_135GammaBetaBackwardCUDAKernelTemplateIN3c108BFloat16EfLj64ELj16ELj256ELb0ELb1ELb0EEEvllPKT_S7_PKT0_SA_PS5_SB_: ; @_ZN2at6native12_GLOBAL__N_135GammaBetaBackwardCUDAKernelTemplateIN3c108BFloat16EfLj64ELj16ELj256ELb0ELb1ELb0EEEvllPKT_S7_PKT0_SA_PS5_SB_
; %bb.0:
	s_load_dwordx4 s[20:23], s[4:5], 0x0
	s_lshl_b32 s2, s7, 8
	s_mov_b32 s3, 0
	s_waitcnt lgkmcnt(0)
	v_cmp_gt_i64_e64 s0, s[20:21], s[2:3]
	s_and_b32 vcc_lo, exec_lo, s0
	s_cbranch_vccnz .LBB104_2
; %bb.1:
	s_mov_b32 s0, s3
	s_branch .LBB104_3
.LBB104_2:
	s_mov_b32 s0, -1
.LBB104_3:
	s_load_dwordx4 s[16:19], s[4:5], 0x30
	v_mov_b32_e32 v2, 0
	v_mov_b32_e32 v27, 0
	s_andn2_b32 vcc_lo, exec_lo, s0
	s_cbranch_vccnz .LBB104_10
; %bb.4:
	s_clause 0x2
	s_load_dword s0, s[4:5], 0x4c
	s_load_dword s1, s[4:5], 0x44
	s_load_dwordx8 s[8:15], s[4:5], 0x10
	v_lshlrev_b32_e32 v4, 4, v1
	v_mov_b32_e32 v3, 0
	v_lshl_add_u32 v2, s6, 6, v0
	v_mov_b32_e32 v8, 16
	v_mov_b32_e32 v9, 4
	v_add_co_u32 v4, s4, v4, s2
	v_add_co_ci_u32_e64 v5, null, 0, 0, s4
	v_lshlrev_b64 v[25:26], 1, v[2:3]
	v_mul_lo_u32 v22, s23, v4
	v_mad_u64_u32 v[6:7], null, s22, v4, 0
	v_mul_lo_u32 v23, s22, v5
	v_mov_b32_e32 v10, 8
	v_mov_b32_e32 v11, 12
	;; [unrolled: 1-line block ×3, first 2 shown]
	s_waitcnt lgkmcnt(0)
	s_and_b32 s0, s0, 0xffff
	s_lshl_b32 s4, s1, 8
	v_mad_u32_u24 v18, v1, s0, v0
	s_mul_i32 s1, s23, s4
	v_add3_u32 v7, v7, v23, v22
	s_mul_hi_u32 s7, s22, s4
	v_mov_b32_e32 v13, 24
	v_and_b32_e32 v24, 31, v18
	v_mov_b32_e32 v14, 28
	v_mov_b32_e32 v15, 32
	;; [unrolled: 1-line block ×4, first 2 shown]
	v_cmp_gt_u32_e64 s0, 16, v24
	v_add_co_u32 v4, vcc_lo, v4, v24
	v_lshlrev_b64 v[23:24], 1, v[6:7]
	v_add_co_ci_u32_e64 v5, null, 0, v5, vcc_lo
	v_mov_b32_e32 v18, 44
	v_mov_b32_e32 v19, 48
	;; [unrolled: 1-line block ×3, first 2 shown]
	v_add_co_u32 v23, vcc_lo, v23, v25
	v_lshlrev_b64 v[6:7], 2, v[4:5]
	v_mov_b32_e32 v21, 56
	v_mov_b32_e32 v22, 60
	v_add_co_ci_u32_e64 v24, null, v24, v26, vcc_lo
	v_mov_b32_e32 v27, 0
	v_mov_b32_e32 v2, 0
	s_mov_b32 s5, 0
	s_add_i32 s27, s7, s1
	s_mul_i32 s26, s22, s4
	s_lshl_b64 s[24:25], s[4:5], 2
	s_lshl_b64 s[26:27], s[26:27], 1
	;; [unrolled: 1-line block ×3, first 2 shown]
	s_branch .LBB104_7
.LBB104_5:                              ;   in Loop: Header=BB104_7 Depth=1
	s_or_b32 exec_lo, exec_lo, s5
.LBB104_6:                              ;   in Loop: Header=BB104_7 Depth=1
	s_or_b32 exec_lo, exec_lo, s1
	v_add_co_u32 v28, vcc_lo, s10, v23
	v_add_co_ci_u32_e64 v29, null, s11, v24, vcc_lo
	v_add_co_u32 v30, vcc_lo, s8, v23
	v_add_co_ci_u32_e64 v31, null, s9, v24, vcc_lo
	global_load_ushort v42, v[28:29], off
	s_add_u32 s2, s2, s4
	s_addc_u32 s3, s3, 0
	global_load_ushort v43, v[30:31], off
	v_add_co_u32 v30, vcc_lo, v30, s22
	v_add_co_ci_u32_e64 v31, null, s23, v31, vcc_lo
	v_add_co_u32 v28, vcc_lo, v28, s22
	v_add_co_ci_u32_e64 v29, null, s23, v29, vcc_lo
	global_load_ushort v44, v[30:31], off
	global_load_ushort v45, v[28:29], off
	v_add_co_u32 v28, vcc_lo, v28, s22
	v_add_co_ci_u32_e64 v29, null, s23, v29, vcc_lo
	v_add_co_u32 v30, vcc_lo, v30, s22
	v_add_co_ci_u32_e64 v31, null, s23, v31, vcc_lo
	global_load_ushort v46, v[28:29], off
	v_add_co_u32 v32, vcc_lo, v30, s22
	v_add_co_ci_u32_e64 v33, null, s23, v31, vcc_lo
	v_add_co_u32 v28, vcc_lo, v28, s22
	v_add_co_ci_u32_e64 v29, null, s23, v29, vcc_lo
	s_clause 0x1
	global_load_ushort v47, v[30:31], off
	global_load_ushort v48, v[32:33], off
	global_load_ushort v49, v[28:29], off
	v_add_co_u32 v30, vcc_lo, v32, s22
	v_add_co_ci_u32_e64 v31, null, s23, v33, vcc_lo
	v_add_co_u32 v28, vcc_lo, v28, s22
	v_add_co_ci_u32_e64 v29, null, s23, v29, vcc_lo
	global_load_ushort v50, v[30:31], off
	v_add_co_u32 v30, vcc_lo, v30, s22
	v_add_co_ci_u32_e64 v31, null, s23, v31, vcc_lo
	v_add_co_u32 v32, vcc_lo, v28, s22
	v_add_co_ci_u32_e64 v33, null, s23, v29, vcc_lo
	v_add_co_u32 v34, vcc_lo, v30, s22
	v_add_co_ci_u32_e64 v35, null, s23, v31, vcc_lo
	v_add_co_u32 v36, vcc_lo, v32, s22
	v_add_co_ci_u32_e64 v37, null, s23, v33, vcc_lo
	global_load_ushort v51, v[28:29], off
	global_load_ushort v52, v[30:31], off
	global_load_ushort v53, v[32:33], off
	global_load_ushort v54, v[34:35], off
	global_load_ushort v55, v[36:37], off
	v_add_co_u32 v29, vcc_lo, v34, s22
	v_add_co_ci_u32_e64 v30, null, s23, v35, vcc_lo
	v_add_co_u32 v31, vcc_lo, v36, s22
	v_add_co_ci_u32_e64 v32, null, s23, v37, vcc_lo
	global_load_ushort v28, v[29:30], off
	v_add_co_u32 v29, vcc_lo, v29, s22
	v_add_co_ci_u32_e64 v30, null, s23, v30, vcc_lo
	v_add_co_u32 v33, vcc_lo, v31, s22
	v_add_co_ci_u32_e64 v34, null, s23, v32, vcc_lo
	v_add_co_u32 v35, vcc_lo, v29, s22
	v_add_co_ci_u32_e64 v36, null, s23, v30, vcc_lo
	v_add_co_u32 v37, vcc_lo, v33, s22
	v_add_co_ci_u32_e64 v38, null, s23, v34, vcc_lo
	global_load_ushort v56, v[31:32], off
	global_load_ushort v30, v[29:30], off
	;; [unrolled: 18-line block ×3, first 2 shown]
	global_load_ushort v61, v[36:37], off
	global_load_ushort v62, v[38:39], off
	;; [unrolled: 1-line block ×3, first 2 shown]
	v_add_co_u32 v32, vcc_lo, v38, s22
	v_add_co_ci_u32_e64 v33, null, s23, v39, vcc_lo
	v_add_co_u32 v34, vcc_lo, v40, s22
	v_add_co_ci_u32_e64 v35, null, s23, v41, vcc_lo
	global_load_ushort v38, v[32:33], off
	v_add_co_u32 v32, vcc_lo, v32, s22
	v_add_co_ci_u32_e64 v33, null, s23, v33, vcc_lo
	v_add_co_u32 v36, vcc_lo, v34, s22
	v_add_co_ci_u32_e64 v37, null, s23, v35, vcc_lo
	global_load_ushort v39, v[34:35], off
	v_add_co_u32 v34, vcc_lo, v36, s22
	global_load_ushort v40, v[36:37], off
	v_add_co_ci_u32_e64 v35, null, s23, v37, vcc_lo
	v_add_co_u32 v36, vcc_lo, v32, s22
	v_add_co_ci_u32_e64 v37, null, s23, v33, vcc_lo
	global_load_ushort v32, v[32:33], off
	global_load_ushort v33, v[34:35], off
	;; [unrolled: 1-line block ×3, first 2 shown]
	s_waitcnt vmcnt(33)
	ds_bpermute_b32 v35, v3, v25
	v_add_co_u32 v6, vcc_lo, v6, s24
	v_add_co_ci_u32_e64 v7, null, s25, v7, vcc_lo
	v_add_co_u32 v4, vcc_lo, v4, s4
	v_cmp_lt_i64_e64 s1, s[2:3], s[20:21]
	v_add_co_ci_u32_e64 v5, null, 0, v5, vcc_lo
	v_add_co_u32 v23, vcc_lo, v23, s26
	v_add_co_ci_u32_e64 v24, null, s27, v24, vcc_lo
	s_and_b32 vcc_lo, exec_lo, s1
	s_waitcnt vmcnt(31)
	v_lshlrev_b32_e32 v36, 16, v42
	s_waitcnt vmcnt(30)
	v_lshlrev_b32_e32 v37, 16, v43
	s_waitcnt lgkmcnt(0)
	v_sub_f32_e32 v35, v36, v35
	ds_bpermute_b32 v36, v3, v26
	v_add_f32_e32 v27, v27, v37
	v_mul_f32_e32 v35, v35, v37
	ds_bpermute_b32 v37, v13, v25
	s_waitcnt vmcnt(29)
	v_lshlrev_b32_e32 v43, 16, v44
	s_waitcnt vmcnt(28)
	v_lshlrev_b32_e32 v41, 16, v45
	ds_bpermute_b32 v45, v8, v26
	v_add_f32_e32 v27, v27, v43
	s_waitcnt vmcnt(27)
	v_lshlrev_b32_e32 v42, 16, v46
	s_waitcnt lgkmcnt(2)
	v_fmac_f32_e32 v2, v35, v36
	ds_bpermute_b32 v35, v9, v25
	ds_bpermute_b32 v36, v10, v25
	s_waitcnt vmcnt(26)
	v_lshlrev_b32_e32 v44, 16, v47
	s_waitcnt vmcnt(25)
	v_lshlrev_b32_e32 v46, 16, v48
	ds_bpermute_b32 v47, v12, v25
	v_add_f32_e32 v27, v27, v44
	v_add_f32_e32 v27, v27, v46
	s_waitcnt vmcnt(23)
	v_lshlrev_b32_e32 v48, 16, v50
	v_add_f32_e32 v27, v27, v48
	s_waitcnt lgkmcnt(2)
	v_sub_f32_e32 v35, v41, v35
	ds_bpermute_b32 v41, v9, v26
	s_waitcnt lgkmcnt(2)
	v_sub_f32_e32 v36, v42, v36
	ds_bpermute_b32 v42, v10, v26
	v_mul_f32_e32 v35, v35, v43
	ds_bpermute_b32 v43, v14, v25
	v_mul_f32_e32 v36, v36, v44
	s_waitcnt vmcnt(21)
	v_lshlrev_b32_e32 v50, 16, v52
	ds_bpermute_b32 v44, v16, v26
	s_waitcnt vmcnt(19)
	v_lshlrev_b32_e32 v52, 16, v54
	v_add_f32_e32 v27, v27, v50
	v_add_f32_e32 v27, v27, v52
	s_waitcnt vmcnt(17)
	v_lshlrev_b32_e32 v28, 16, v28
	s_waitcnt lgkmcnt(3)
	v_fmac_f32_e32 v2, v35, v41
	ds_bpermute_b32 v35, v11, v25
	ds_bpermute_b32 v41, v8, v25
	v_add_f32_e32 v27, v27, v28
	s_waitcnt lgkmcnt(4)
	v_fmac_f32_e32 v2, v36, v42
	ds_bpermute_b32 v36, v11, v26
	v_lshlrev_b32_e32 v42, 16, v49
	ds_bpermute_b32 v49, v15, v25
	s_waitcnt vmcnt(15)
	v_lshlrev_b32_e32 v30, 16, v30
	s_waitcnt vmcnt(14)
	v_lshlrev_b32_e32 v54, 16, v57
	s_waitcnt vmcnt(12)
	v_lshlrev_b32_e32 v31, 16, v31
	v_add_f32_e32 v27, v27, v30
	s_waitcnt lgkmcnt(3)
	v_sub_f32_e32 v35, v42, v35
	v_lshlrev_b32_e32 v42, 16, v51
	ds_bpermute_b32 v51, v16, v25
	v_mul_f32_e32 v35, v35, v46
	s_waitcnt lgkmcnt(3)
	v_sub_f32_e32 v41, v42, v41
	ds_bpermute_b32 v42, v12, v26
	ds_bpermute_b32 v46, v17, v26
	s_waitcnt lgkmcnt(3)
	v_sub_f32_e32 v49, v54, v49
	v_fmac_f32_e32 v2, v35, v36
	v_mul_f32_e32 v35, v41, v48
	ds_bpermute_b32 v36, v13, v26
	ds_bpermute_b32 v41, v14, v26
	;; [unrolled: 1-line block ×3, first 2 shown]
	v_fmac_f32_e32 v2, v35, v45
	v_lshlrev_b32_e32 v45, 16, v53
	ds_bpermute_b32 v35, v15, v26
	v_lshlrev_b32_e32 v53, 16, v56
	v_sub_f32_e32 v45, v45, v47
	v_lshlrev_b32_e32 v47, 16, v55
	v_sub_f32_e32 v43, v53, v43
	s_waitcnt lgkmcnt(6)
	v_sub_f32_e32 v31, v31, v51
	ds_bpermute_b32 v53, v21, v25
	v_mul_f32_e32 v45, v45, v50
	v_sub_f32_e32 v37, v47, v37
	ds_bpermute_b32 v47, v17, v25
	ds_bpermute_b32 v50, v19, v25
	v_mul_f32_e32 v43, v43, v28
	s_waitcnt lgkmcnt(8)
	v_fmac_f32_e32 v2, v45, v42
	ds_bpermute_b32 v42, v18, v25
	v_mul_f32_e32 v37, v37, v52
	v_lshlrev_b32_e32 v28, 16, v29
	v_mul_f32_e32 v29, v49, v30
	ds_bpermute_b32 v45, v19, v26
	s_waitcnt vmcnt(11)
	v_lshlrev_b32_e32 v30, 16, v58
	s_waitcnt lgkmcnt(8)
	v_fmac_f32_e32 v2, v37, v36
	ds_bpermute_b32 v37, v20, v25
	ds_bpermute_b32 v36, v20, v26
	;; [unrolled: 1-line block ×3, first 2 shown]
	v_add_f32_e32 v27, v27, v28
	s_waitcnt lgkmcnt(10)
	v_fmac_f32_e32 v2, v43, v41
	s_waitcnt vmcnt(10)
	v_lshlrev_b32_e32 v41, 16, v59
	ds_bpermute_b32 v52, v21, v26
	ds_bpermute_b32 v26, v22, v26
	v_add_f32_e32 v27, v27, v30
	s_waitcnt lgkmcnt(10)
	v_fmac_f32_e32 v2, v29, v35
	v_mul_f32_e32 v29, v31, v28
	s_waitcnt lgkmcnt(8)
	v_sub_f32_e32 v31, v41, v47
	s_waitcnt vmcnt(8)
	v_lshlrev_b32_e32 v35, 16, v61
	v_lshlrev_b32_e32 v28, 16, v60
	v_fmac_f32_e32 v2, v29, v44
	v_mul_f32_e32 v29, v31, v30
	s_waitcnt lgkmcnt(6)
	v_sub_f32_e32 v31, v35, v42
	s_waitcnt vmcnt(6)
	v_lshlrev_b32_e32 v35, 16, v63
	v_lshlrev_b32_e32 v30, 16, v62
	v_add_f32_e32 v27, v27, v28
	v_fmac_f32_e32 v2, v29, v46
	v_mul_f32_e32 v29, v31, v28
	v_sub_f32_e32 v31, v35, v50
	s_waitcnt vmcnt(4)
	v_lshlrev_b32_e32 v35, 16, v39
	v_lshlrev_b32_e32 v28, 16, v38
	v_add_f32_e32 v27, v27, v30
	v_fmac_f32_e32 v2, v29, v48
	v_mul_f32_e32 v29, v31, v30
	s_waitcnt lgkmcnt(4)
	v_sub_f32_e32 v31, v35, v37
	s_waitcnt vmcnt(3)
	v_lshlrev_b32_e32 v35, 16, v40
	s_waitcnt vmcnt(2)
	v_lshlrev_b32_e32 v30, 16, v32
	;; [unrolled: 2-line block ×3, first 2 shown]
	v_fmac_f32_e32 v2, v29, v45
	v_mul_f32_e32 v29, v31, v28
	v_sub_f32_e32 v31, v35, v53
	v_add_f32_e32 v27, v27, v28
	s_waitcnt vmcnt(0)
	v_lshlrev_b32_e32 v28, 16, v34
	s_waitcnt lgkmcnt(2)
	v_sub_f32_e32 v25, v32, v25
	v_fmac_f32_e32 v2, v29, v36
	v_mul_f32_e32 v29, v31, v30
	v_add_f32_e32 v27, v27, v30
	v_mul_f32_e32 v25, v25, v28
	s_waitcnt lgkmcnt(1)
	v_fmac_f32_e32 v2, v29, v52
	v_add_f32_e32 v27, v27, v28
	s_waitcnt lgkmcnt(0)
	v_fmac_f32_e32 v2, v25, v26
	s_cbranch_vccz .LBB104_10
.LBB104_7:                              ; =>This Inner Loop Header: Depth=1
	v_mov_b32_e32 v26, 0
	v_mov_b32_e32 v25, 0
	s_and_saveexec_b32 s1, s0
	s_cbranch_execz .LBB104_6
; %bb.8:                                ;   in Loop: Header=BB104_7 Depth=1
	v_mov_b32_e32 v25, 0
	v_mov_b32_e32 v26, 0
	s_mov_b32 s5, exec_lo
	v_cmpx_gt_i64_e64 s[20:21], v[4:5]
	s_cbranch_execz .LBB104_5
; %bb.9:                                ;   in Loop: Header=BB104_7 Depth=1
	v_add_co_u32 v25, vcc_lo, s12, v6
	v_add_co_ci_u32_e64 v26, null, s13, v7, vcc_lo
	v_add_co_u32 v28, vcc_lo, s14, v6
	v_add_co_ci_u32_e64 v29, null, s15, v7, vcc_lo
	global_load_dword v25, v[25:26], off
	global_load_dword v26, v[28:29], off
	s_branch .LBB104_5
.LBB104_10:
	v_mad_u32_u24 v3, 0x41, v1, v0
	s_mov_b32 s0, exec_lo
	v_lshl_add_u32 v4, v3, 2, 0
	v_sub_nc_u32_e32 v3, v3, v1
	ds_write_b32 v4, v2
	ds_write_b32 v4, v27 offset:4160
	s_waitcnt lgkmcnt(0)
	s_barrier
	buffer_gl0_inv
	v_cmpx_gt_u32_e32 0x800, v3
	s_cbranch_execz .LBB104_26
; %bb.11:
	v_and_b32_e32 v1, 31, v0
	v_lshrrev_b32_e32 v2, 5, v3
                                        ; implicit-def: $vgpr7
	v_cmp_gt_u32_e64 s0, 16, v1
	v_mul_u32_u24_e32 v4, 0x41, v1
                                        ; implicit-def: $vgpr1
	s_and_saveexec_b32 s1, s0
	s_cbranch_execz .LBB104_13
; %bb.12:
	v_add_nc_u32_e32 v1, v2, v4
	v_lshl_add_u32 v1, v1, 2, 0
	ds_read_b32 v7, v1
	ds_read_b32 v1, v1 offset:4160
.LBB104_13:
	s_or_b32 exec_lo, exec_lo, s1
	v_mbcnt_lo_u32_b32 v8, -1, 0
	s_mov_b32 s7, 0
	v_cmp_eq_u32_e64 s1, 0, v0
	s_lshl_b64 s[2:3], s[6:7], 6
	s_cmp_lg_u64 s[16:17], 0
	v_xor_b32_e32 v5, 8, v8
	v_xor_b32_e32 v6, 4, v8
	v_xor_b32_e32 v12, 1, v8
	s_cselect_b32 s5, -1, 0
	s_cmp_lg_u64 s[18:19], 0
	v_cmp_gt_i32_e32 vcc_lo, 32, v5
	s_cselect_b32 s4, -1, 0
	v_cndmask_b32_e32 v5, v8, v5, vcc_lo
	v_cmp_gt_i32_e32 vcc_lo, 32, v6
	v_lshlrev_b32_e32 v5, 2, v5
	v_cndmask_b32_e32 v6, v8, v6, vcc_lo
	s_waitcnt lgkmcnt(1)
	ds_bpermute_b32 v9, v5, v7
	s_waitcnt lgkmcnt(1)
	ds_bpermute_b32 v10, v5, v1
	v_lshlrev_b32_e32 v6, 2, v6
	s_waitcnt lgkmcnt(1)
	v_add_f32_e32 v9, v7, v9
	s_waitcnt lgkmcnt(0)
	v_add_f32_e32 v1, v1, v10
	v_xor_b32_e32 v7, 2, v8
	ds_bpermute_b32 v10, v6, v9
	ds_bpermute_b32 v11, v6, v1
	v_cmp_gt_i32_e32 vcc_lo, 32, v7
	v_cndmask_b32_e32 v7, v8, v7, vcc_lo
	v_cmp_gt_i32_e32 vcc_lo, 32, v12
	v_lshlrev_b32_e32 v7, 2, v7
	v_cndmask_b32_e32 v8, v8, v12, vcc_lo
	v_lshlrev_b32_e32 v8, 2, v8
	s_waitcnt lgkmcnt(1)
	v_add_f32_e32 v9, v9, v10
	s_waitcnt lgkmcnt(0)
	v_add_f32_e32 v1, v1, v11
	ds_bpermute_b32 v10, v7, v9
	ds_bpermute_b32 v11, v7, v1
	s_waitcnt lgkmcnt(1)
	v_add_f32_e32 v9, v9, v10
	s_waitcnt lgkmcnt(0)
	v_add_f32_e32 v1, v1, v11
	ds_bpermute_b32 v10, v8, v9
	ds_bpermute_b32 v11, v8, v1
	s_waitcnt lgkmcnt(1)
	v_add_f32_e32 v9, v9, v10
	s_waitcnt lgkmcnt(0)
	v_add_f32_e32 v10, v1, v11
	s_and_saveexec_b32 s6, s1
	s_cbranch_execz .LBB104_18
; %bb.14:
	v_mov_b32_e32 v1, s3
	v_or_b32_e32 v0, s2, v2
	s_andn2_b32 vcc_lo, exec_lo, s5
	v_lshlrev_b64 v[0:1], 1, v[0:1]
	s_cbranch_vccnz .LBB104_16
; %bb.15:
	v_bfe_u32 v11, v9, 16, 1
	v_cmp_o_f32_e32 vcc_lo, v9, v9
	v_mov_b32_e32 v12, 0x7fc0
	v_add3_u32 v11, v9, v11, 0x7fff
	v_cndmask_b32_sdwa v13, v12, v11, vcc_lo dst_sel:DWORD dst_unused:UNUSED_PAD src0_sel:DWORD src1_sel:WORD_1
	v_add_co_u32 v11, vcc_lo, s16, v0
	v_add_co_ci_u32_e64 v12, null, s17, v1, vcc_lo
	global_store_short v[11:12], v13, off
.LBB104_16:
	s_andn2_b32 vcc_lo, exec_lo, s4
	s_cbranch_vccnz .LBB104_18
; %bb.17:
	v_bfe_u32 v11, v10, 16, 1
	v_cmp_o_f32_e32 vcc_lo, v10, v10
	v_mov_b32_e32 v12, 0x7fc0
	v_add3_u32 v11, v10, v11, 0x7fff
	v_cndmask_b32_sdwa v11, v12, v11, vcc_lo dst_sel:DWORD dst_unused:UNUSED_PAD src0_sel:DWORD src1_sel:WORD_1
	v_add_co_u32 v0, vcc_lo, s18, v0
	v_add_co_ci_u32_e64 v1, null, s19, v1, vcc_lo
	global_store_short v[0:1], v11, off
.LBB104_18:
	s_or_b32 exec_lo, exec_lo, s6
	v_cmp_gt_u32_e32 vcc_lo, 0x400, v3
	s_and_b32 exec_lo, exec_lo, vcc_lo
	s_cbranch_execz .LBB104_26
; %bb.19:
	s_and_saveexec_b32 s6, s0
	s_cbranch_execz .LBB104_21
; %bb.20:
	v_add_nc_u32_e32 v0, v2, v4
	v_lshl_add_u32 v0, v0, 2, 0
	ds_read_b32 v9, v0 offset:128
	ds_read_b32 v10, v0 offset:4288
.LBB104_21:
	s_or_b32 exec_lo, exec_lo, s6
	s_waitcnt lgkmcnt(1)
	ds_bpermute_b32 v0, v5, v9
	s_waitcnt lgkmcnt(1)
	ds_bpermute_b32 v1, v5, v10
	s_waitcnt lgkmcnt(1)
	v_add_f32_e32 v0, v9, v0
	s_waitcnt lgkmcnt(0)
	v_add_f32_e32 v1, v10, v1
	ds_bpermute_b32 v3, v6, v0
	ds_bpermute_b32 v4, v6, v1
	s_waitcnt lgkmcnt(1)
	v_add_f32_e32 v0, v0, v3
	s_waitcnt lgkmcnt(0)
	v_add_f32_e32 v1, v1, v4
	ds_bpermute_b32 v3, v7, v0
	;; [unrolled: 6-line block ×3, first 2 shown]
	ds_bpermute_b32 v1, v8, v0
	s_and_b32 exec_lo, exec_lo, s1
	s_cbranch_execz .LBB104_26
; %bb.22:
	s_andn2_b32 vcc_lo, exec_lo, s5
	s_cbranch_vccnz .LBB104_24
; %bb.23:
	s_waitcnt lgkmcnt(1)
	v_add_f32_e32 v5, v3, v4
	v_add_co_u32 v3, s0, s2, v2
	v_add_co_ci_u32_e64 v4, null, s3, 0, s0
	v_bfe_u32 v6, v5, 16, 1
	v_cmp_o_f32_e32 vcc_lo, v5, v5
	v_mov_b32_e32 v7, 0x7fc0
	v_lshlrev_b64 v[3:4], 1, v[3:4]
	v_add3_u32 v5, v5, v6, 0x7fff
	v_cndmask_b32_sdwa v5, v7, v5, vcc_lo dst_sel:DWORD dst_unused:UNUSED_PAD src0_sel:DWORD src1_sel:WORD_1
	v_add_co_u32 v3, vcc_lo, s16, v3
	v_add_co_ci_u32_e64 v4, null, s17, v4, vcc_lo
	global_store_short v[3:4], v5, off offset:64
.LBB104_24:
	s_andn2_b32 vcc_lo, exec_lo, s4
	s_cbranch_vccnz .LBB104_26
; %bb.25:
	s_waitcnt lgkmcnt(0)
	v_add_f32_e32 v3, v0, v1
	v_add_co_u32 v0, s0, s2, v2
	v_add_co_ci_u32_e64 v1, null, s3, 0, s0
	v_bfe_u32 v4, v3, 16, 1
	v_cmp_o_f32_e32 vcc_lo, v3, v3
	v_mov_b32_e32 v2, 0x7fc0
	v_lshlrev_b64 v[0:1], 1, v[0:1]
	v_add3_u32 v3, v3, v4, 0x7fff
	v_cndmask_b32_sdwa v2, v2, v3, vcc_lo dst_sel:DWORD dst_unused:UNUSED_PAD src0_sel:DWORD src1_sel:WORD_1
	v_add_co_u32 v0, vcc_lo, s18, v0
	v_add_co_ci_u32_e64 v1, null, s19, v1, vcc_lo
	global_store_short v[0:1], v2, off offset:64
.LBB104_26:
	s_endpgm
	.section	.rodata,"a",@progbits
	.p2align	6, 0x0
	.amdhsa_kernel _ZN2at6native12_GLOBAL__N_135GammaBetaBackwardCUDAKernelTemplateIN3c108BFloat16EfLj64ELj16ELj256ELb0ELb1ELb0EEEvllPKT_S7_PKT0_SA_PS5_SB_
		.amdhsa_group_segment_fixed_size 0
		.amdhsa_private_segment_fixed_size 0
		.amdhsa_kernarg_size 320
		.amdhsa_user_sgpr_count 6
		.amdhsa_user_sgpr_private_segment_buffer 1
		.amdhsa_user_sgpr_dispatch_ptr 0
		.amdhsa_user_sgpr_queue_ptr 0
		.amdhsa_user_sgpr_kernarg_segment_ptr 1
		.amdhsa_user_sgpr_dispatch_id 0
		.amdhsa_user_sgpr_flat_scratch_init 0
		.amdhsa_user_sgpr_private_segment_size 0
		.amdhsa_wavefront_size32 1
		.amdhsa_uses_dynamic_stack 0
		.amdhsa_system_sgpr_private_segment_wavefront_offset 0
		.amdhsa_system_sgpr_workgroup_id_x 1
		.amdhsa_system_sgpr_workgroup_id_y 1
		.amdhsa_system_sgpr_workgroup_id_z 0
		.amdhsa_system_sgpr_workgroup_info 0
		.amdhsa_system_vgpr_workitem_id 1
		.amdhsa_next_free_vgpr 64
		.amdhsa_next_free_sgpr 28
		.amdhsa_reserve_vcc 1
		.amdhsa_reserve_flat_scratch 0
		.amdhsa_float_round_mode_32 0
		.amdhsa_float_round_mode_16_64 0
		.amdhsa_float_denorm_mode_32 3
		.amdhsa_float_denorm_mode_16_64 3
		.amdhsa_dx10_clamp 1
		.amdhsa_ieee_mode 1
		.amdhsa_fp16_overflow 0
		.amdhsa_workgroup_processor_mode 1
		.amdhsa_memory_ordered 1
		.amdhsa_forward_progress 1
		.amdhsa_shared_vgpr_count 0
		.amdhsa_exception_fp_ieee_invalid_op 0
		.amdhsa_exception_fp_denorm_src 0
		.amdhsa_exception_fp_ieee_div_zero 0
		.amdhsa_exception_fp_ieee_overflow 0
		.amdhsa_exception_fp_ieee_underflow 0
		.amdhsa_exception_fp_ieee_inexact 0
		.amdhsa_exception_int_div_zero 0
	.end_amdhsa_kernel
	.section	.text._ZN2at6native12_GLOBAL__N_135GammaBetaBackwardCUDAKernelTemplateIN3c108BFloat16EfLj64ELj16ELj256ELb0ELb1ELb0EEEvllPKT_S7_PKT0_SA_PS5_SB_,"axG",@progbits,_ZN2at6native12_GLOBAL__N_135GammaBetaBackwardCUDAKernelTemplateIN3c108BFloat16EfLj64ELj16ELj256ELb0ELb1ELb0EEEvllPKT_S7_PKT0_SA_PS5_SB_,comdat
.Lfunc_end104:
	.size	_ZN2at6native12_GLOBAL__N_135GammaBetaBackwardCUDAKernelTemplateIN3c108BFloat16EfLj64ELj16ELj256ELb0ELb1ELb0EEEvllPKT_S7_PKT0_SA_PS5_SB_, .Lfunc_end104-_ZN2at6native12_GLOBAL__N_135GammaBetaBackwardCUDAKernelTemplateIN3c108BFloat16EfLj64ELj16ELj256ELb0ELb1ELb0EEEvllPKT_S7_PKT0_SA_PS5_SB_
                                        ; -- End function
	.set _ZN2at6native12_GLOBAL__N_135GammaBetaBackwardCUDAKernelTemplateIN3c108BFloat16EfLj64ELj16ELj256ELb0ELb1ELb0EEEvllPKT_S7_PKT0_SA_PS5_SB_.num_vgpr, 64
	.set _ZN2at6native12_GLOBAL__N_135GammaBetaBackwardCUDAKernelTemplateIN3c108BFloat16EfLj64ELj16ELj256ELb0ELb1ELb0EEEvllPKT_S7_PKT0_SA_PS5_SB_.num_agpr, 0
	.set _ZN2at6native12_GLOBAL__N_135GammaBetaBackwardCUDAKernelTemplateIN3c108BFloat16EfLj64ELj16ELj256ELb0ELb1ELb0EEEvllPKT_S7_PKT0_SA_PS5_SB_.numbered_sgpr, 28
	.set _ZN2at6native12_GLOBAL__N_135GammaBetaBackwardCUDAKernelTemplateIN3c108BFloat16EfLj64ELj16ELj256ELb0ELb1ELb0EEEvllPKT_S7_PKT0_SA_PS5_SB_.num_named_barrier, 0
	.set _ZN2at6native12_GLOBAL__N_135GammaBetaBackwardCUDAKernelTemplateIN3c108BFloat16EfLj64ELj16ELj256ELb0ELb1ELb0EEEvllPKT_S7_PKT0_SA_PS5_SB_.private_seg_size, 0
	.set _ZN2at6native12_GLOBAL__N_135GammaBetaBackwardCUDAKernelTemplateIN3c108BFloat16EfLj64ELj16ELj256ELb0ELb1ELb0EEEvllPKT_S7_PKT0_SA_PS5_SB_.uses_vcc, 1
	.set _ZN2at6native12_GLOBAL__N_135GammaBetaBackwardCUDAKernelTemplateIN3c108BFloat16EfLj64ELj16ELj256ELb0ELb1ELb0EEEvllPKT_S7_PKT0_SA_PS5_SB_.uses_flat_scratch, 0
	.set _ZN2at6native12_GLOBAL__N_135GammaBetaBackwardCUDAKernelTemplateIN3c108BFloat16EfLj64ELj16ELj256ELb0ELb1ELb0EEEvllPKT_S7_PKT0_SA_PS5_SB_.has_dyn_sized_stack, 0
	.set _ZN2at6native12_GLOBAL__N_135GammaBetaBackwardCUDAKernelTemplateIN3c108BFloat16EfLj64ELj16ELj256ELb0ELb1ELb0EEEvllPKT_S7_PKT0_SA_PS5_SB_.has_recursion, 0
	.set _ZN2at6native12_GLOBAL__N_135GammaBetaBackwardCUDAKernelTemplateIN3c108BFloat16EfLj64ELj16ELj256ELb0ELb1ELb0EEEvllPKT_S7_PKT0_SA_PS5_SB_.has_indirect_call, 0
	.section	.AMDGPU.csdata,"",@progbits
; Kernel info:
; codeLenInByte = 3064
; TotalNumSgprs: 30
; NumVgprs: 64
; ScratchSize: 0
; MemoryBound: 0
; FloatMode: 240
; IeeeMode: 1
; LDSByteSize: 0 bytes/workgroup (compile time only)
; SGPRBlocks: 0
; VGPRBlocks: 7
; NumSGPRsForWavesPerEU: 30
; NumVGPRsForWavesPerEU: 64
; Occupancy: 16
; WaveLimiterHint : 0
; COMPUTE_PGM_RSRC2:SCRATCH_EN: 0
; COMPUTE_PGM_RSRC2:USER_SGPR: 6
; COMPUTE_PGM_RSRC2:TRAP_HANDLER: 0
; COMPUTE_PGM_RSRC2:TGID_X_EN: 1
; COMPUTE_PGM_RSRC2:TGID_Y_EN: 1
; COMPUTE_PGM_RSRC2:TGID_Z_EN: 0
; COMPUTE_PGM_RSRC2:TIDIG_COMP_CNT: 1
	.section	.text._ZN2at6native12_GLOBAL__N_135GammaBetaBackwardCUDAKernelTemplateIN3c108BFloat16EfLj64ELj16ELj256ELb0ELb0ELb0EEEvllPKT_S7_PKT0_SA_PS5_SB_,"axG",@progbits,_ZN2at6native12_GLOBAL__N_135GammaBetaBackwardCUDAKernelTemplateIN3c108BFloat16EfLj64ELj16ELj256ELb0ELb0ELb0EEEvllPKT_S7_PKT0_SA_PS5_SB_,comdat
	.globl	_ZN2at6native12_GLOBAL__N_135GammaBetaBackwardCUDAKernelTemplateIN3c108BFloat16EfLj64ELj16ELj256ELb0ELb0ELb0EEEvllPKT_S7_PKT0_SA_PS5_SB_ ; -- Begin function _ZN2at6native12_GLOBAL__N_135GammaBetaBackwardCUDAKernelTemplateIN3c108BFloat16EfLj64ELj16ELj256ELb0ELb0ELb0EEEvllPKT_S7_PKT0_SA_PS5_SB_
	.p2align	8
	.type	_ZN2at6native12_GLOBAL__N_135GammaBetaBackwardCUDAKernelTemplateIN3c108BFloat16EfLj64ELj16ELj256ELb0ELb0ELb0EEEvllPKT_S7_PKT0_SA_PS5_SB_,@function
_ZN2at6native12_GLOBAL__N_135GammaBetaBackwardCUDAKernelTemplateIN3c108BFloat16EfLj64ELj16ELj256ELb0ELb0ELb0EEEvllPKT_S7_PKT0_SA_PS5_SB_: ; @_ZN2at6native12_GLOBAL__N_135GammaBetaBackwardCUDAKernelTemplateIN3c108BFloat16EfLj64ELj16ELj256ELb0ELb0ELb0EEEvllPKT_S7_PKT0_SA_PS5_SB_
; %bb.0:
	s_mov_b64 s[38:39], s[2:3]
	s_mov_b64 s[36:37], s[0:1]
	s_mov_b32 s3, 0
	s_add_u32 s36, s36, s8
	s_clause 0x1
	s_load_dwordx8 s[8:15], s[4:5], 0x0
	s_load_dwordx4 s[16:19], s[4:5], 0x20
	s_addc_u32 s37, s37, 0
	s_lshl_b32 s28, s6, 6
	v_mov_b32_e32 v125, v0
	s_or_b32 s2, s28, 63
	s_waitcnt lgkmcnt(0)
	v_cmp_le_i64_e64 s0, s[10:11], s[2:3]
	s_lshl_b32 s2, s7, 8
	v_cmp_gt_i64_e64 s7, s[8:9], s[2:3]
	s_and_b32 vcc_lo, exec_lo, s0
	v_cndmask_b32_e64 v0, 0, 1, s7
	v_cmp_ne_u32_e64 s0, 1, v0
	s_cbranch_vccz .LBB105_81
; %bb.1:
	v_mov_b32_e32 v19, 0
	v_mov_b32_e32 v0, 0
	s_and_b32 vcc_lo, exec_lo, s0
	s_cbranch_vccnz .LBB105_82
; %bb.2:
	v_lshlrev_b32_e32 v56, 4, v1
	v_mov_b32_e32 v2, 0
	s_load_dword s1, s[4:5], 0x44
	v_add_nc_u32_e32 v6, s28, v125
	s_add_u32 s20, s4, 64
	v_add_co_u32 v0, s0, v56, s2
	v_add_co_ci_u32_e64 v5, null, 0, 0, s0
	v_mov_b32_e32 v7, v2
	v_mul_lo_u32 v11, s11, v0
	v_mad_u64_u32 v[3:4], null, s10, v0, 0
	v_mul_lo_u32 v8, s10, v5
	v_add_co_u32 v9, vcc_lo, v0, 15
	v_add_co_ci_u32_e64 v10, null, 0, v5, vcc_lo
	v_cmp_gt_i64_e64 s0, s[10:11], v[6:7]
	v_lshlrev_b64 v[35:36], 1, v[6:7]
	s_addc_u32 s21, s5, 0
	v_add3_u32 v4, v4, v8, v11
	v_mul_lo_u32 v11, s11, v9
	v_mul_lo_u32 v10, s10, v10
	v_mad_u64_u32 v[8:9], null, s10, v9, 0
	v_lshlrev_b64 v[6:7], 1, v[3:4]
	s_waitcnt lgkmcnt(0)
	s_lshl_b32 s29, s1, 8
	v_mov_b32_e32 v101, 0
	s_mul_i32 s1, s11, s29
	s_mul_hi_u32 s22, s10, s29
	s_mov_b64 s[26:27], s[2:3]
	v_add3_u32 v9, v9, v10, v11
	v_add_co_u32 v10, vcc_lo, v0, 14
	v_add_co_ci_u32_e64 v11, null, 0, v5, vcc_lo
	v_lshlrev_b64 v[8:9], 1, v[8:9]
	v_mul_lo_u32 v12, s11, v10
	v_add_co_u32 v126, vcc_lo, s12, v6
	v_mul_lo_u32 v13, s10, v11
	v_mad_u64_u32 v[10:11], null, s10, v10, 0
	v_add_co_ci_u32_e64 v37, null, s13, v7, vcc_lo
	v_add_co_u32 v38, vcc_lo, s14, v6
	v_add_co_ci_u32_e64 v39, null, s15, v7, vcc_lo
	v_add3_u32 v11, v11, v13, v12
	v_add_co_u32 v40, vcc_lo, s12, v8
	v_add_co_ci_u32_e64 v41, null, s13, v9, vcc_lo
	v_add_co_u32 v12, vcc_lo, v0, 13
	s_add_i32 s23, s22, s1
	v_add_co_u32 v42, s1, s14, v8
	v_lshlrev_b64 v[6:7], 1, v[10:11]
	v_add_co_ci_u32_e64 v8, null, 0, v5, vcc_lo
	v_add_co_u32 v10, vcc_lo, v0, 12
	v_add_co_ci_u32_e64 v11, null, 0, v5, vcc_lo
	v_add_co_ci_u32_e64 v43, null, s15, v9, s1
	v_mul_lo_u32 v13, s11, v12
	v_mul_lo_u32 v14, s10, v8
	v_mad_u64_u32 v[8:9], null, s10, v12, 0
	v_mul_lo_u32 v12, s11, v10
	v_mul_lo_u32 v15, s10, v11
	v_mad_u64_u32 v[10:11], null, s10, v10, 0
	v_add_co_u32 v44, vcc_lo, s12, v6
	v_add_co_ci_u32_e64 v45, null, s13, v7, vcc_lo
	v_add_co_u32 v46, vcc_lo, s14, v6
	v_add_co_ci_u32_e64 v47, null, s15, v7, vcc_lo
	v_add3_u32 v11, v11, v15, v12
	v_add_co_u32 v12, vcc_lo, v0, 11
	v_add3_u32 v9, v9, v14, v13
	v_add_co_ci_u32_e64 v13, null, 0, v5, vcc_lo
	v_mul_lo_u32 v14, s11, v12
	s_mul_i32 s22, s10, s29
	v_lshlrev_b64 v[6:7], 1, v[8:9]
	v_lshlrev_b64 v[8:9], 1, v[10:11]
	v_mul_lo_u32 v13, s10, v13
	v_mad_u64_u32 v[10:11], null, s10, v12, 0
	s_lshl_b64 s[22:23], s[22:23], 1
	v_add_co_u32 v48, vcc_lo, s12, v6
	v_add_co_ci_u32_e64 v49, null, s13, v7, vcc_lo
	v_add_co_u32 v50, vcc_lo, s14, v6
	v_add3_u32 v11, v11, v13, v14
	v_add_co_ci_u32_e64 v51, null, s15, v7, vcc_lo
	v_add_co_u32 v52, vcc_lo, s12, v8
	v_add_co_ci_u32_e64 v53, null, s13, v9, vcc_lo
	v_add_co_u32 v12, vcc_lo, v0, 10
	v_add_co_u32 v54, s1, s14, v8
	v_lshlrev_b64 v[6:7], 1, v[10:11]
	v_add_co_ci_u32_e64 v8, null, 0, v5, vcc_lo
	v_add_co_u32 v10, vcc_lo, v0, 9
	v_add_co_ci_u32_e64 v11, null, 0, v5, vcc_lo
	v_add_co_ci_u32_e64 v55, null, s15, v9, s1
	v_mul_lo_u32 v13, s11, v12
	v_mul_lo_u32 v14, s10, v8
	v_mad_u64_u32 v[8:9], null, s10, v12, 0
	v_mul_lo_u32 v12, s11, v10
	v_mul_lo_u32 v15, s10, v11
	v_mad_u64_u32 v[10:11], null, s10, v10, 0
	v_add_co_u32 v57, vcc_lo, s12, v6
	v_add_co_ci_u32_e64 v58, null, s13, v7, vcc_lo
	v_add_co_u32 v59, vcc_lo, s14, v6
	v_add_co_ci_u32_e64 v60, null, s15, v7, vcc_lo
	v_add3_u32 v11, v11, v15, v12
	v_add_co_u32 v12, vcc_lo, v0, 8
	v_add3_u32 v9, v9, v14, v13
	v_add_co_ci_u32_e64 v13, null, 0, v5, vcc_lo
	v_mul_lo_u32 v14, s11, v12
	s_add_u32 s24, s2, 0xff
	v_lshlrev_b64 v[6:7], 1, v[8:9]
	v_lshlrev_b64 v[8:9], 1, v[10:11]
	v_mul_lo_u32 v13, s10, v13
	v_mad_u64_u32 v[10:11], null, s10, v12, 0
	s_addc_u32 s25, 0, 0
	v_add_co_u32 v61, vcc_lo, s12, v6
	v_add_co_ci_u32_e64 v62, null, s13, v7, vcc_lo
	v_add_co_u32 v63, vcc_lo, s14, v6
	v_add3_u32 v11, v11, v13, v14
	v_add_co_ci_u32_e64 v64, null, s15, v7, vcc_lo
	v_add_co_u32 v65, vcc_lo, s12, v8
	v_add_co_ci_u32_e64 v66, null, s13, v9, vcc_lo
	v_add_co_u32 v12, vcc_lo, v0, 7
	v_add_co_u32 v67, s1, s14, v8
	v_lshlrev_b64 v[6:7], 1, v[10:11]
	v_add_co_ci_u32_e64 v8, null, 0, v5, vcc_lo
	v_add_co_u32 v10, vcc_lo, v0, 6
	v_add_co_ci_u32_e64 v11, null, 0, v5, vcc_lo
	v_add_co_ci_u32_e64 v68, null, s15, v9, s1
	v_mul_lo_u32 v13, s11, v12
	v_mul_lo_u32 v14, s10, v8
	v_mad_u64_u32 v[8:9], null, s10, v12, 0
	v_mul_lo_u32 v12, s11, v10
	v_mul_lo_u32 v15, s10, v11
	v_mad_u64_u32 v[10:11], null, s10, v10, 0
	v_add_co_u32 v69, vcc_lo, s12, v6
	v_add_co_ci_u32_e64 v70, null, s13, v7, vcc_lo
	v_add_co_u32 v71, vcc_lo, s14, v6
	v_add3_u32 v9, v9, v14, v13
	v_add_co_ci_u32_e64 v72, null, s15, v7, vcc_lo
	v_add3_u32 v11, v11, v15, v12
	v_add_co_u32 v12, vcc_lo, v0, 5
	v_add_co_ci_u32_e64 v13, null, 0, v5, vcc_lo
	v_lshlrev_b64 v[6:7], 1, v[8:9]
	v_lshlrev_b64 v[8:9], 1, v[10:11]
	v_mul_lo_u32 v14, s11, v12
	v_mul_lo_u32 v13, s10, v13
	v_mad_u64_u32 v[10:11], null, s10, v12, 0
	v_add_co_u32 v73, vcc_lo, s12, v6
	v_add_co_ci_u32_e64 v74, null, s13, v7, vcc_lo
	v_add_co_u32 v75, vcc_lo, s14, v6
	v_add_co_ci_u32_e64 v76, null, s15, v7, vcc_lo
	v_add_co_u32 v77, vcc_lo, s12, v8
	v_add3_u32 v11, v11, v13, v14
	v_add_co_ci_u32_e64 v78, null, s13, v9, vcc_lo
	v_add_co_u32 v12, vcc_lo, v0, 4
	v_add_co_u32 v79, s1, s14, v8
	v_add_co_ci_u32_e64 v8, null, 0, v5, vcc_lo
	v_lshlrev_b64 v[6:7], 1, v[10:11]
	v_add_co_u32 v10, vcc_lo, v0, 3
	v_add_co_ci_u32_e64 v11, null, 0, v5, vcc_lo
	v_add_co_ci_u32_e64 v80, null, s15, v9, s1
	v_mul_lo_u32 v13, s11, v12
	v_mul_lo_u32 v14, s10, v8
	v_mad_u64_u32 v[8:9], null, s10, v12, 0
	v_mul_lo_u32 v12, s11, v10
	v_mul_lo_u32 v15, s10, v11
	v_mad_u64_u32 v[10:11], null, s10, v10, 0
	v_add_co_u32 v81, vcc_lo, s12, v6
	v_add_co_ci_u32_e64 v82, null, s13, v7, vcc_lo
	v_add3_u32 v9, v9, v14, v13
	v_add_co_u32 v83, vcc_lo, s14, v6
	v_add_co_ci_u32_e64 v84, null, s15, v7, vcc_lo
	v_add_co_u32 v0, vcc_lo, v0, 2
	v_add3_u32 v11, v11, v15, v12
	v_add_co_ci_u32_e64 v5, null, 0, v5, vcc_lo
	v_lshlrev_b64 v[6:7], 1, v[8:9]
	v_mul_lo_u32 v12, s11, v0
	v_lshlrev_b64 v[8:9], 1, v[10:11]
	v_mul_lo_u32 v5, s10, v5
	v_mad_u64_u32 v[10:11], null, s10, v0, 0
	v_add_co_u32 v85, vcc_lo, s12, v6
	v_add_co_ci_u32_e64 v86, null, s13, v7, vcc_lo
	v_add_co_u32 v87, vcc_lo, s14, v6
	v_add_co_ci_u32_e64 v88, null, s15, v7, vcc_lo
	;; [unrolled: 2-line block ×3, first 2 shown]
	v_add3_u32 v11, v11, v5, v12
	v_add_co_u32 v91, vcc_lo, s14, v8
	v_add_co_ci_u32_e64 v92, null, s15, v9, vcc_lo
	v_add_co_u32 v3, vcc_lo, v3, s10
	v_add_co_ci_u32_e64 v4, null, s11, v4, vcc_lo
	v_lshlrev_b64 v[5:6], 1, v[10:11]
	v_mov_b32_e32 v0, 0
	v_lshlrev_b64 v[3:4], 1, v[3:4]
	v_add_co_u32 v93, vcc_lo, s12, v5
	v_add_co_ci_u32_e64 v94, null, s13, v6, vcc_lo
	v_add_co_u32 v95, vcc_lo, s14, v5
	v_add_co_ci_u32_e64 v96, null, s15, v6, vcc_lo
	;; [unrolled: 2-line block ×4, first 2 shown]
.LBB105_3:                              ; =>This Inner Loop Header: Depth=1
	v_cmp_ge_i64_e64 s1, s[24:25], s[8:9]
	v_add_co_u32 v102, s30, v56, s24
	v_add_co_ci_u32_e64 v103, null, 0, s25, s30
                                        ; implicit-def: $vgpr19_vgpr20_vgpr21_vgpr22_vgpr23_vgpr24_vgpr25_vgpr26_vgpr27_vgpr28_vgpr29_vgpr30_vgpr31_vgpr32_vgpr33_vgpr34
                                        ; implicit-def: $vgpr3_vgpr4_vgpr5_vgpr6_vgpr7_vgpr8_vgpr9_vgpr10_vgpr11_vgpr12_vgpr13_vgpr14_vgpr15_vgpr16_vgpr17_vgpr18
                                        ; implicit-def: $vgpr105
                                        ; implicit-def: $vgpr3
	s_and_b32 vcc_lo, exec_lo, s1
	s_mov_b32 s1, -1
                                        ; implicit-def: $vgpr19
                                        ; implicit-def: $vgpr4
	s_cbranch_vccz .LBB105_41
; %bb.4:                                ;   in Loop: Header=BB105_3 Depth=1
	s_load_dword s1, s[20:21], 0xc
	v_mov_b32_e32 v105, 0
	v_mov_b32_e32 v104, 0
	s_waitcnt lgkmcnt(0)
	s_and_b32 s1, s1, 0xffff
	v_mad_u32_u24 v3, v1, s1, v125
	s_mov_b32 s1, exec_lo
	v_and_b32_e32 v3, 31, v3
	v_cmpx_gt_u32_e32 16, v3
	s_cbranch_execz .LBB105_8
; %bb.5:                                ;   in Loop: Header=BB105_3 Depth=1
	v_add_co_u32 v3, vcc_lo, v102, v3
	v_add_co_ci_u32_e64 v4, null, 0, v103, vcc_lo
	v_mov_b32_e32 v104, 0
	v_add_co_u32 v3, vcc_lo, 0xffffff01, v3
	v_add_co_ci_u32_e64 v4, null, -1, v4, vcc_lo
	v_mov_b32_e32 v105, 0
	s_mov_b32 s30, exec_lo
	v_cmpx_gt_i64_e64 s[8:9], v[3:4]
	s_cbranch_execz .LBB105_7
; %bb.6:                                ;   in Loop: Header=BB105_3 Depth=1
	v_lshlrev_b64 v[3:4], 2, v[3:4]
	v_add_co_u32 v5, vcc_lo, s16, v3
	v_add_co_ci_u32_e64 v6, null, s17, v4, vcc_lo
	v_add_co_u32 v3, vcc_lo, s18, v3
	v_add_co_ci_u32_e64 v4, null, s19, v4, vcc_lo
	global_load_dword v104, v[5:6], off
	global_load_dword v105, v[3:4], off
.LBB105_7:                              ;   in Loop: Header=BB105_3 Depth=1
	s_or_b32 exec_lo, exec_lo, s30
.LBB105_8:                              ;   in Loop: Header=BB105_3 Depth=1
	s_or_b32 exec_lo, exec_lo, s1
	v_add_co_u32 v18, vcc_lo, 0xffffff01, v102
	v_add_co_ci_u32_e64 v19, null, -1, v103, vcc_lo
	v_mov_b32_e32 v17, v2
	v_mov_b32_e32 v3, v2
	;; [unrolled: 1-line block ×15, first 2 shown]
	v_cmp_gt_i64_e32 vcc_lo, s[8:9], v[18:19]
	v_mov_b32_e32 v34, v17
	v_mov_b32_e32 v31, v14
	;; [unrolled: 1-line block ×32, first 2 shown]
	s_and_b32 s30, s0, vcc_lo
	s_and_saveexec_b32 s1, s30
	s_cbranch_execz .LBB105_10
; %bb.9:                                ;   in Loop: Header=BB105_3 Depth=1
	v_add_co_u32 v3, vcc_lo, v126, v35
	v_add_co_ci_u32_e64 v4, null, v37, v36, vcc_lo
	v_add_co_u32 v5, vcc_lo, v38, v35
	v_add_co_ci_u32_e64 v6, null, v39, v36, vcc_lo
	global_load_ushort v3, v[3:4], off
	global_load_ushort v19, v[5:6], off
	v_mov_b32_e32 v4, v2
	v_mov_b32_e32 v5, v2
	;; [unrolled: 1-line block ×30, first 2 shown]
	s_waitcnt vmcnt(1)
	v_lshlrev_b32_e32 v3, 16, v3
	s_waitcnt vmcnt(0)
	v_lshlrev_b32_e32 v19, 16, v19
.LBB105_10:                             ;   in Loop: Header=BB105_3 Depth=1
	s_or_b32 exec_lo, exec_lo, s1
	v_add_co_u32 v106, vcc_lo, 0xffffff02, v102
	v_add_co_ci_u32_e64 v107, null, -1, v103, vcc_lo
	v_cmp_gt_i64_e32 vcc_lo, s[8:9], v[106:107]
	s_and_b32 s30, s0, vcc_lo
	s_and_saveexec_b32 s1, s30
	s_cbranch_execz .LBB105_12
; %bb.11:                               ;   in Loop: Header=BB105_3 Depth=1
	v_add_co_u32 v106, vcc_lo, v97, v35
	v_add_co_ci_u32_e64 v107, null, v98, v36, vcc_lo
	v_add_co_u32 v108, vcc_lo, v99, v35
	v_add_co_ci_u32_e64 v109, null, v100, v36, vcc_lo
	global_load_ushort v4, v[106:107], off
	global_load_ushort v20, v[108:109], off
	s_waitcnt vmcnt(1)
	v_lshlrev_b32_e32 v4, 16, v4
	s_waitcnt vmcnt(0)
	v_lshlrev_b32_e32 v20, 16, v20
.LBB105_12:                             ;   in Loop: Header=BB105_3 Depth=1
	s_or_b32 exec_lo, exec_lo, s1
	v_add_co_u32 v106, vcc_lo, 0xffffff03, v102
	v_add_co_ci_u32_e64 v107, null, -1, v103, vcc_lo
	v_cmp_gt_i64_e32 vcc_lo, s[8:9], v[106:107]
	s_and_b32 s30, s0, vcc_lo
	s_and_saveexec_b32 s1, s30
	s_cbranch_execz .LBB105_14
; %bb.13:                               ;   in Loop: Header=BB105_3 Depth=1
	v_add_co_u32 v106, vcc_lo, v93, v35
	v_add_co_ci_u32_e64 v107, null, v94, v36, vcc_lo
	v_add_co_u32 v108, vcc_lo, v95, v35
	v_add_co_ci_u32_e64 v109, null, v96, v36, vcc_lo
	global_load_ushort v5, v[106:107], off
	global_load_ushort v21, v[108:109], off
	s_waitcnt vmcnt(1)
	v_lshlrev_b32_e32 v5, 16, v5
	s_waitcnt vmcnt(0)
	v_lshlrev_b32_e32 v21, 16, v21
.LBB105_14:                             ;   in Loop: Header=BB105_3 Depth=1
	;; [unrolled: 19-line block ×15, first 2 shown]
	s_or_b32 exec_lo, exec_lo, s1
	s_waitcnt vmcnt(1)
	ds_bpermute_b32 v106, v2, v104
	ds_bpermute_b32 v107, v2, v104 offset:4
	s_waitcnt vmcnt(0)
	ds_bpermute_b32 v108, v2, v105
	ds_bpermute_b32 v110, v2, v104 offset:8
	ds_bpermute_b32 v111, v2, v105 offset:4
	;; [unrolled: 1-line block ×5, first 2 shown]
	v_add_f32_e32 v109, v0, v3
	ds_bpermute_b32 v113, v2, v105 offset:12
	ds_bpermute_b32 v118, v2, v104 offset:20
	;; [unrolled: 1-line block ×10, first 2 shown]
	s_mov_b32 s1, 0
	s_waitcnt lgkmcnt(17)
	v_sub_f32_e32 v19, v19, v106
	s_waitcnt lgkmcnt(16)
	v_sub_f32_e32 v20, v20, v107
	ds_bpermute_b32 v106, v2, v104 offset:28
	s_waitcnt lgkmcnt(15)
	v_sub_f32_e32 v21, v21, v110
	ds_bpermute_b32 v107, v2, v105 offset:36
	v_mul_f32_e32 v3, v3, v19
	v_mul_f32_e32 v20, v4, v20
	s_waitcnt lgkmcnt(14)
	v_sub_f32_e32 v22, v22, v114
	v_mul_f32_e32 v21, v5, v21
	v_add_f32_e32 v4, v4, v109
	v_fma_f32 v19, v3, v108, v101
	s_waitcnt lgkmcnt(12)
	v_sub_f32_e32 v23, v23, v116
	v_mul_f32_e32 v22, v6, v22
	ds_bpermute_b32 v108, v2, v104 offset:40
	v_add_f32_e32 v4, v5, v4
	v_fmac_f32_e32 v19, v20, v111
	v_mul_f32_e32 v23, v7, v23
	ds_bpermute_b32 v5, v2, v104 offset:44
	ds_bpermute_b32 v3, v2, v105 offset:40
	v_add_f32_e32 v4, v6, v4
	v_fmac_f32_e32 v19, v21, v112
	s_waitcnt lgkmcnt(13)
	v_sub_f32_e32 v21, v24, v118
	ds_bpermute_b32 v20, v2, v105 offset:44
	ds_bpermute_b32 v6, v2, v105 offset:48
	v_add_f32_e32 v4, v7, v4
	v_fmac_f32_e32 v19, v22, v113
	s_waitcnt lgkmcnt(13)
	v_sub_f32_e32 v22, v25, v120
	v_mul_f32_e32 v21, v8, v21
	ds_bpermute_b32 v7, v2, v104 offset:48
	v_add_f32_e32 v4, v8, v4
	v_fmac_f32_e32 v19, v23, v115
	s_waitcnt lgkmcnt(7)
	v_sub_f32_e32 v23, v26, v106
	v_mul_f32_e32 v22, v9, v22
	ds_bpermute_b32 v8, v2, v105 offset:52
	v_add_f32_e32 v4, v9, v4
	v_fmac_f32_e32 v19, v21, v117
	v_sub_f32_e32 v21, v27, v123
	v_mul_f32_e32 v23, v10, v23
	ds_bpermute_b32 v9, v2, v104 offset:52
	v_add_f32_e32 v4, v10, v4
	v_fmac_f32_e32 v19, v22, v119
	;; [unrolled: 5-line block ×3, first 2 shown]
	s_waitcnt lgkmcnt(8)
	v_sub_f32_e32 v23, v29, v108
	v_mul_f32_e32 v22, v12, v22
	s_waitcnt lgkmcnt(7)
	v_sub_f32_e32 v5, v30, v5
	v_add_f32_e32 v4, v12, v4
	v_fmac_f32_e32 v19, v21, v122
	v_mul_f32_e32 v21, v13, v23
	ds_bpermute_b32 v11, v2, v105 offset:56
	s_waitcnt lgkmcnt(4)
	v_sub_f32_e32 v7, v31, v7
	v_mul_f32_e32 v5, v14, v5
	v_fmac_f32_e32 v19, v22, v107
	v_add_f32_e32 v4, v13, v4
	ds_bpermute_b32 v105, v2, v105 offset:60
	s_waitcnt lgkmcnt(3)
	v_sub_f32_e32 v9, v32, v9
	v_mul_f32_e32 v7, v15, v7
	v_fmac_f32_e32 v19, v21, v3
	ds_bpermute_b32 v3, v2, v104 offset:60
	v_add_f32_e32 v4, v14, v4
	v_mul_f32_e32 v9, v16, v9
	v_fmac_f32_e32 v19, v5, v20
	s_waitcnt lgkmcnt(3)
	v_sub_f32_e32 v5, v33, v10
	v_add_f32_e32 v4, v15, v4
	v_fmac_f32_e32 v19, v7, v6
	v_mul_f32_e32 v5, v17, v5
	v_add_f32_e32 v4, v16, v4
	v_fmac_f32_e32 v19, v9, v8
	v_add_f32_e32 v4, v17, v4
	s_waitcnt lgkmcnt(2)
	v_fmac_f32_e32 v19, v5, v11
.LBB105_41:                             ;   in Loop: Header=BB105_3 Depth=1
	s_and_b32 vcc_lo, exec_lo, s1
	s_cbranch_vccz .LBB105_64
; %bb.42:                               ;   in Loop: Header=BB105_3 Depth=1
	s_load_dword s1, s[20:21], 0x0
	s_waitcnt lgkmcnt(0)
	v_mov_b32_e32 v105, 0
	v_mov_b32_e32 v104, 0
	s_cmp_lt_u32 s6, s1
	s_cselect_b32 s1, 12, 18
	s_add_u32 s30, s20, s1
	s_addc_u32 s31, s21, 0
	s_mov_b32 s1, exec_lo
	global_load_ushort v3, v2, s[30:31]
	s_waitcnt vmcnt(0)
	v_mad_u32_u24 v3, v1, v3, v125
	v_and_b32_e32 v3, 31, v3
	v_cmpx_gt_u32_e32 16, v3
	s_cbranch_execz .LBB105_46
; %bb.43:                               ;   in Loop: Header=BB105_3 Depth=1
	v_add_co_u32 v3, vcc_lo, v102, v3
	v_add_co_ci_u32_e64 v4, null, 0, v103, vcc_lo
	v_mov_b32_e32 v104, 0
	v_add_co_u32 v3, vcc_lo, 0xffffff01, v3
	v_add_co_ci_u32_e64 v4, null, -1, v4, vcc_lo
	v_mov_b32_e32 v105, 0
	s_mov_b32 s30, exec_lo
	v_cmpx_gt_i64_e64 s[8:9], v[3:4]
	s_cbranch_execz .LBB105_45
; %bb.44:                               ;   in Loop: Header=BB105_3 Depth=1
	v_lshlrev_b64 v[3:4], 2, v[3:4]
	v_add_co_u32 v5, vcc_lo, s16, v3
	v_add_co_ci_u32_e64 v6, null, s17, v4, vcc_lo
	v_add_co_u32 v3, vcc_lo, s18, v3
	v_add_co_ci_u32_e64 v4, null, s19, v4, vcc_lo
	global_load_dword v104, v[5:6], off
	global_load_dword v105, v[3:4], off
.LBB105_45:                             ;   in Loop: Header=BB105_3 Depth=1
	s_or_b32 exec_lo, exec_lo, s30
.LBB105_46:                             ;   in Loop: Header=BB105_3 Depth=1
	s_or_b32 exec_lo, exec_lo, s1
	v_mov_b32_e32 v17, v2
	v_mov_b32_e32 v3, v2
	;; [unrolled: 1-line block ×47, first 2 shown]
	s_and_saveexec_b32 s1, s0
	s_cbranch_execnz .LBB105_66
; %bb.47:                               ;   in Loop: Header=BB105_3 Depth=1
	s_or_b32 exec_lo, exec_lo, s1
	s_and_saveexec_b32 s1, s0
	s_cbranch_execnz .LBB105_67
.LBB105_48:                             ;   in Loop: Header=BB105_3 Depth=1
	s_or_b32 exec_lo, exec_lo, s1
	s_and_saveexec_b32 s1, s0
	s_cbranch_execnz .LBB105_68
.LBB105_49:                             ;   in Loop: Header=BB105_3 Depth=1
	s_or_b32 exec_lo, exec_lo, s1
	s_and_saveexec_b32 s1, s0
	s_cbranch_execnz .LBB105_69
.LBB105_50:                             ;   in Loop: Header=BB105_3 Depth=1
	s_or_b32 exec_lo, exec_lo, s1
	s_and_saveexec_b32 s1, s0
	s_cbranch_execnz .LBB105_70
.LBB105_51:                             ;   in Loop: Header=BB105_3 Depth=1
	s_or_b32 exec_lo, exec_lo, s1
	s_and_saveexec_b32 s1, s0
	s_cbranch_execnz .LBB105_71
.LBB105_52:                             ;   in Loop: Header=BB105_3 Depth=1
	s_or_b32 exec_lo, exec_lo, s1
	s_and_saveexec_b32 s1, s0
	s_cbranch_execnz .LBB105_72
.LBB105_53:                             ;   in Loop: Header=BB105_3 Depth=1
	s_or_b32 exec_lo, exec_lo, s1
	s_and_saveexec_b32 s1, s0
	s_cbranch_execnz .LBB105_73
.LBB105_54:                             ;   in Loop: Header=BB105_3 Depth=1
	s_or_b32 exec_lo, exec_lo, s1
	s_and_saveexec_b32 s1, s0
	s_cbranch_execnz .LBB105_74
.LBB105_55:                             ;   in Loop: Header=BB105_3 Depth=1
	s_or_b32 exec_lo, exec_lo, s1
	s_and_saveexec_b32 s1, s0
	s_cbranch_execnz .LBB105_75
.LBB105_56:                             ;   in Loop: Header=BB105_3 Depth=1
	s_or_b32 exec_lo, exec_lo, s1
	s_and_saveexec_b32 s1, s0
	s_cbranch_execnz .LBB105_76
.LBB105_57:                             ;   in Loop: Header=BB105_3 Depth=1
	s_or_b32 exec_lo, exec_lo, s1
	s_and_saveexec_b32 s1, s0
	s_cbranch_execnz .LBB105_77
.LBB105_58:                             ;   in Loop: Header=BB105_3 Depth=1
	s_or_b32 exec_lo, exec_lo, s1
	s_and_saveexec_b32 s1, s0
	s_cbranch_execnz .LBB105_78
.LBB105_59:                             ;   in Loop: Header=BB105_3 Depth=1
	s_or_b32 exec_lo, exec_lo, s1
	s_and_saveexec_b32 s1, s0
	s_cbranch_execnz .LBB105_79
.LBB105_60:                             ;   in Loop: Header=BB105_3 Depth=1
	s_or_b32 exec_lo, exec_lo, s1
	s_and_saveexec_b32 s1, s0
	s_cbranch_execnz .LBB105_80
.LBB105_61:                             ;   in Loop: Header=BB105_3 Depth=1
	s_or_b32 exec_lo, exec_lo, s1
	s_and_saveexec_b32 s1, s0
	s_cbranch_execz .LBB105_63
.LBB105_62:                             ;   in Loop: Header=BB105_3 Depth=1
	v_add_co_u32 v102, vcc_lo, v40, v35
	v_add_co_ci_u32_e64 v103, null, v41, v36, vcc_lo
	v_add_co_u32 v106, vcc_lo, v42, v35
	v_add_co_ci_u32_e64 v107, null, v43, v36, vcc_lo
	global_load_ushort v18, v[102:103], off
	global_load_ushort v34, v[106:107], off
	s_waitcnt vmcnt(1)
	v_lshlrev_b32_e32 v18, 16, v18
	s_waitcnt vmcnt(0)
	v_lshlrev_b32_e32 v34, 16, v34
.LBB105_63:                             ;   in Loop: Header=BB105_3 Depth=1
	s_or_b32 exec_lo, exec_lo, s1
	s_waitcnt vmcnt(1)
	ds_bpermute_b32 v102, v2, v104
	ds_bpermute_b32 v103, v2, v104 offset:4
	s_waitcnt vmcnt(0)
	ds_bpermute_b32 v106, v2, v105
	ds_bpermute_b32 v107, v2, v104 offset:8
	ds_bpermute_b32 v108, v2, v105 offset:4
	;; [unrolled: 1-line block ×5, first 2 shown]
	v_add_f32_e32 v0, v0, v3
	ds_bpermute_b32 v110, v2, v105 offset:12
	ds_bpermute_b32 v115, v2, v104 offset:20
	;; [unrolled: 1-line block ×7, first 2 shown]
	v_add_f32_e32 v0, v4, v0
	ds_bpermute_b32 v119, v2, v105 offset:32
	s_waitcnt lgkmcnt(15)
	v_sub_f32_e32 v19, v19, v102
	s_waitcnt lgkmcnt(14)
	v_sub_f32_e32 v20, v20, v103
	ds_bpermute_b32 v102, v2, v105 offset:28
	s_waitcnt lgkmcnt(13)
	v_sub_f32_e32 v21, v21, v107
	v_add_f32_e32 v0, v5, v0
	v_mul_f32_e32 v3, v3, v19
	v_mul_f32_e32 v20, v4, v20
	s_waitcnt lgkmcnt(11)
	v_sub_f32_e32 v22, v22, v111
	v_mul_f32_e32 v21, v5, v21
	ds_bpermute_b32 v19, v2, v104 offset:32
	v_fmac_f32_e32 v101, v3, v106
	s_waitcnt lgkmcnt(10)
	v_sub_f32_e32 v4, v23, v113
	v_mul_f32_e32 v22, v6, v22
	ds_bpermute_b32 v3, v2, v104 offset:36
	s_waitcnt lgkmcnt(9)
	v_sub_f32_e32 v5, v24, v115
	v_fmac_f32_e32 v101, v20, v108
	v_mul_f32_e32 v4, v7, v4
	ds_bpermute_b32 v20, v2, v104 offset:40
	v_add_f32_e32 v0, v6, v0
	s_waitcnt lgkmcnt(8)
	v_sub_f32_e32 v6, v25, v117
	v_fmac_f32_e32 v101, v21, v109
	v_mul_f32_e32 v5, v8, v5
	ds_bpermute_b32 v103, v2, v105 offset:36
	v_add_f32_e32 v0, v7, v0
	s_waitcnt lgkmcnt(7)
	v_sub_f32_e32 v7, v26, v118
	v_fmac_f32_e32 v101, v22, v110
	ds_bpermute_b32 v22, v2, v104 offset:44
	v_mul_f32_e32 v6, v9, v6
	ds_bpermute_b32 v106, v2, v105 offset:40
	s_waitcnt lgkmcnt(5)
	v_sub_f32_e32 v19, v27, v19
	v_fmac_f32_e32 v101, v4, v112
	v_add_f32_e32 v0, v8, v0
	v_mul_f32_e32 v7, v10, v7
	ds_bpermute_b32 v21, v2, v105 offset:44
	s_waitcnt lgkmcnt(5)
	v_sub_f32_e32 v3, v28, v3
	v_fmac_f32_e32 v101, v5, v114
	ds_bpermute_b32 v5, v2, v104 offset:48
	v_mul_f32_e32 v8, v11, v19
	v_add_f32_e32 v0, v9, v0
	ds_bpermute_b32 v4, v2, v105 offset:48
	v_fmac_f32_e32 v101, v6, v116
	ds_bpermute_b32 v6, v2, v104 offset:52
	s_waitcnt lgkmcnt(7)
	v_sub_f32_e32 v9, v29, v20
	v_mul_f32_e32 v3, v12, v3
	v_add_f32_e32 v0, v10, v0
	v_fmac_f32_e32 v101, v7, v102
	ds_bpermute_b32 v7, v2, v105 offset:52
	s_waitcnt lgkmcnt(6)
	v_sub_f32_e32 v10, v30, v22
	v_mul_f32_e32 v9, v13, v9
	v_add_f32_e32 v0, v11, v0
	v_fmac_f32_e32 v101, v8, v119
	ds_bpermute_b32 v8, v2, v104 offset:56
	v_add_f32_e32 v0, v12, v0
	v_fmac_f32_e32 v101, v3, v103
	s_waitcnt lgkmcnt(4)
	v_sub_f32_e32 v3, v31, v5
	v_mul_f32_e32 v5, v14, v10
	v_add_f32_e32 v0, v13, v0
	v_fmac_f32_e32 v101, v9, v106
	ds_bpermute_b32 v9, v2, v105 offset:56
	s_waitcnt lgkmcnt(3)
	v_sub_f32_e32 v6, v32, v6
	v_mul_f32_e32 v10, v15, v3
	ds_bpermute_b32 v105, v2, v105 offset:60
	v_fmac_f32_e32 v101, v5, v21
	ds_bpermute_b32 v3, v2, v104 offset:60
	v_mul_f32_e32 v5, v16, v6
	v_add_f32_e32 v0, v14, v0
	v_fmac_f32_e32 v101, v10, v4
	s_waitcnt lgkmcnt(3)
	v_sub_f32_e32 v4, v33, v8
	v_add_f32_e32 v0, v15, v0
	v_fmac_f32_e32 v101, v5, v7
	v_mul_f32_e32 v4, v17, v4
	v_add_f32_e32 v0, v16, v0
	s_waitcnt lgkmcnt(2)
	v_fmac_f32_e32 v101, v4, v9
	v_add_f32_e32 v4, v17, v0
	v_mov_b32_e32 v19, v101
.LBB105_64:                             ;   in Loop: Header=BB105_3 Depth=1
	v_add_co_u32 v126, vcc_lo, v126, s22
	v_add_co_ci_u32_e64 v37, null, s23, v37, vcc_lo
	v_add_co_u32 v38, vcc_lo, v38, s22
	v_add_co_ci_u32_e64 v39, null, s23, v39, vcc_lo
	;; [unrolled: 2-line block ×26, first 2 shown]
	v_add_co_u32 v89, vcc_lo, v89, s22
	s_waitcnt lgkmcnt(0)
	v_sub_f32_e32 v3, v34, v3
	v_add_co_ci_u32_e64 v90, null, s23, v90, vcc_lo
	v_add_co_u32 v91, vcc_lo, v91, s22
	v_add_co_ci_u32_e64 v92, null, s23, v92, vcc_lo
	v_add_co_u32 v93, vcc_lo, v93, s22
	s_add_u32 s26, s26, s29
	v_add_co_ci_u32_e64 v94, null, s23, v94, vcc_lo
	v_add_co_u32 v95, vcc_lo, v95, s22
	v_mul_f32_e32 v3, v18, v3
	s_addc_u32 s27, s27, 0
	v_add_co_ci_u32_e64 v96, null, s23, v96, vcc_lo
	v_add_co_u32 v97, vcc_lo, v97, s22
	v_cmp_lt_i64_e64 s1, s[26:27], s[8:9]
	v_add_co_ci_u32_e64 v98, null, s23, v98, vcc_lo
	v_add_co_u32 v99, vcc_lo, v99, s22
	v_add_f32_e32 v0, v4, v18
	v_fmac_f32_e32 v19, v3, v105
	v_add_co_ci_u32_e64 v100, null, s23, v100, vcc_lo
	s_add_u32 s24, s24, s29
	s_addc_u32 s25, s25, 0
	s_and_b32 vcc_lo, exec_lo, s1
	s_cbranch_vccz .LBB105_82
; %bb.65:                               ;   in Loop: Header=BB105_3 Depth=1
	v_mov_b32_e32 v101, v19
	s_branch .LBB105_3
.LBB105_66:                             ;   in Loop: Header=BB105_3 Depth=1
	v_add_co_u32 v3, vcc_lo, v126, v35
	v_add_co_ci_u32_e64 v4, null, v37, v36, vcc_lo
	v_add_co_u32 v5, vcc_lo, v38, v35
	v_add_co_ci_u32_e64 v6, null, v39, v36, vcc_lo
	global_load_ushort v3, v[3:4], off
	global_load_ushort v19, v[5:6], off
	v_mov_b32_e32 v4, v2
	v_mov_b32_e32 v5, v2
	;; [unrolled: 1-line block ×30, first 2 shown]
	s_waitcnt vmcnt(1)
	v_lshlrev_b32_e32 v3, 16, v3
	s_waitcnt vmcnt(0)
	v_lshlrev_b32_e32 v19, 16, v19
	s_or_b32 exec_lo, exec_lo, s1
	s_and_saveexec_b32 s1, s0
	s_cbranch_execz .LBB105_48
.LBB105_67:                             ;   in Loop: Header=BB105_3 Depth=1
	v_add_co_u32 v102, vcc_lo, v97, v35
	v_add_co_ci_u32_e64 v103, null, v98, v36, vcc_lo
	v_add_co_u32 v106, vcc_lo, v99, v35
	v_add_co_ci_u32_e64 v107, null, v100, v36, vcc_lo
	global_load_ushort v4, v[102:103], off
	global_load_ushort v20, v[106:107], off
	s_waitcnt vmcnt(1)
	v_lshlrev_b32_e32 v4, 16, v4
	s_waitcnt vmcnt(0)
	v_lshlrev_b32_e32 v20, 16, v20
	s_or_b32 exec_lo, exec_lo, s1
	s_and_saveexec_b32 s1, s0
	s_cbranch_execz .LBB105_49
.LBB105_68:                             ;   in Loop: Header=BB105_3 Depth=1
	v_add_co_u32 v102, vcc_lo, v93, v35
	v_add_co_ci_u32_e64 v103, null, v94, v36, vcc_lo
	v_add_co_u32 v106, vcc_lo, v95, v35
	v_add_co_ci_u32_e64 v107, null, v96, v36, vcc_lo
	global_load_ushort v5, v[102:103], off
	global_load_ushort v21, v[106:107], off
	s_waitcnt vmcnt(1)
	v_lshlrev_b32_e32 v5, 16, v5
	s_waitcnt vmcnt(0)
	v_lshlrev_b32_e32 v21, 16, v21
	s_or_b32 exec_lo, exec_lo, s1
	s_and_saveexec_b32 s1, s0
	s_cbranch_execz .LBB105_50
.LBB105_69:                             ;   in Loop: Header=BB105_3 Depth=1
	v_add_co_u32 v102, vcc_lo, v89, v35
	v_add_co_ci_u32_e64 v103, null, v90, v36, vcc_lo
	v_add_co_u32 v106, vcc_lo, v91, v35
	v_add_co_ci_u32_e64 v107, null, v92, v36, vcc_lo
	global_load_ushort v6, v[102:103], off
	global_load_ushort v22, v[106:107], off
	s_waitcnt vmcnt(1)
	v_lshlrev_b32_e32 v6, 16, v6
	s_waitcnt vmcnt(0)
	v_lshlrev_b32_e32 v22, 16, v22
	s_or_b32 exec_lo, exec_lo, s1
	s_and_saveexec_b32 s1, s0
	s_cbranch_execz .LBB105_51
.LBB105_70:                             ;   in Loop: Header=BB105_3 Depth=1
	v_add_co_u32 v102, vcc_lo, v85, v35
	v_add_co_ci_u32_e64 v103, null, v86, v36, vcc_lo
	v_add_co_u32 v106, vcc_lo, v87, v35
	v_add_co_ci_u32_e64 v107, null, v88, v36, vcc_lo
	global_load_ushort v7, v[102:103], off
	global_load_ushort v23, v[106:107], off
	s_waitcnt vmcnt(1)
	v_lshlrev_b32_e32 v7, 16, v7
	s_waitcnt vmcnt(0)
	v_lshlrev_b32_e32 v23, 16, v23
	s_or_b32 exec_lo, exec_lo, s1
	s_and_saveexec_b32 s1, s0
	s_cbranch_execz .LBB105_52
.LBB105_71:                             ;   in Loop: Header=BB105_3 Depth=1
	v_add_co_u32 v102, vcc_lo, v81, v35
	v_add_co_ci_u32_e64 v103, null, v82, v36, vcc_lo
	v_add_co_u32 v106, vcc_lo, v83, v35
	v_add_co_ci_u32_e64 v107, null, v84, v36, vcc_lo
	global_load_ushort v8, v[102:103], off
	global_load_ushort v24, v[106:107], off
	s_waitcnt vmcnt(1)
	v_lshlrev_b32_e32 v8, 16, v8
	s_waitcnt vmcnt(0)
	v_lshlrev_b32_e32 v24, 16, v24
	s_or_b32 exec_lo, exec_lo, s1
	s_and_saveexec_b32 s1, s0
	s_cbranch_execz .LBB105_53
.LBB105_72:                             ;   in Loop: Header=BB105_3 Depth=1
	v_add_co_u32 v102, vcc_lo, v77, v35
	v_add_co_ci_u32_e64 v103, null, v78, v36, vcc_lo
	v_add_co_u32 v106, vcc_lo, v79, v35
	v_add_co_ci_u32_e64 v107, null, v80, v36, vcc_lo
	global_load_ushort v9, v[102:103], off
	global_load_ushort v25, v[106:107], off
	s_waitcnt vmcnt(1)
	v_lshlrev_b32_e32 v9, 16, v9
	s_waitcnt vmcnt(0)
	v_lshlrev_b32_e32 v25, 16, v25
	s_or_b32 exec_lo, exec_lo, s1
	s_and_saveexec_b32 s1, s0
	s_cbranch_execz .LBB105_54
.LBB105_73:                             ;   in Loop: Header=BB105_3 Depth=1
	v_add_co_u32 v102, vcc_lo, v73, v35
	v_add_co_ci_u32_e64 v103, null, v74, v36, vcc_lo
	v_add_co_u32 v106, vcc_lo, v75, v35
	v_add_co_ci_u32_e64 v107, null, v76, v36, vcc_lo
	global_load_ushort v10, v[102:103], off
	global_load_ushort v26, v[106:107], off
	s_waitcnt vmcnt(1)
	v_lshlrev_b32_e32 v10, 16, v10
	s_waitcnt vmcnt(0)
	v_lshlrev_b32_e32 v26, 16, v26
	s_or_b32 exec_lo, exec_lo, s1
	s_and_saveexec_b32 s1, s0
	s_cbranch_execz .LBB105_55
.LBB105_74:                             ;   in Loop: Header=BB105_3 Depth=1
	v_add_co_u32 v102, vcc_lo, v69, v35
	v_add_co_ci_u32_e64 v103, null, v70, v36, vcc_lo
	v_add_co_u32 v106, vcc_lo, v71, v35
	v_add_co_ci_u32_e64 v107, null, v72, v36, vcc_lo
	global_load_ushort v11, v[102:103], off
	global_load_ushort v27, v[106:107], off
	s_waitcnt vmcnt(1)
	v_lshlrev_b32_e32 v11, 16, v11
	s_waitcnt vmcnt(0)
	v_lshlrev_b32_e32 v27, 16, v27
	s_or_b32 exec_lo, exec_lo, s1
	s_and_saveexec_b32 s1, s0
	s_cbranch_execz .LBB105_56
.LBB105_75:                             ;   in Loop: Header=BB105_3 Depth=1
	v_add_co_u32 v102, vcc_lo, v65, v35
	v_add_co_ci_u32_e64 v103, null, v66, v36, vcc_lo
	v_add_co_u32 v106, vcc_lo, v67, v35
	v_add_co_ci_u32_e64 v107, null, v68, v36, vcc_lo
	global_load_ushort v12, v[102:103], off
	global_load_ushort v28, v[106:107], off
	s_waitcnt vmcnt(1)
	v_lshlrev_b32_e32 v12, 16, v12
	s_waitcnt vmcnt(0)
	v_lshlrev_b32_e32 v28, 16, v28
	s_or_b32 exec_lo, exec_lo, s1
	s_and_saveexec_b32 s1, s0
	s_cbranch_execz .LBB105_57
.LBB105_76:                             ;   in Loop: Header=BB105_3 Depth=1
	v_add_co_u32 v102, vcc_lo, v61, v35
	v_add_co_ci_u32_e64 v103, null, v62, v36, vcc_lo
	v_add_co_u32 v106, vcc_lo, v63, v35
	v_add_co_ci_u32_e64 v107, null, v64, v36, vcc_lo
	global_load_ushort v13, v[102:103], off
	global_load_ushort v29, v[106:107], off
	s_waitcnt vmcnt(1)
	v_lshlrev_b32_e32 v13, 16, v13
	s_waitcnt vmcnt(0)
	v_lshlrev_b32_e32 v29, 16, v29
	s_or_b32 exec_lo, exec_lo, s1
	s_and_saveexec_b32 s1, s0
	s_cbranch_execz .LBB105_58
.LBB105_77:                             ;   in Loop: Header=BB105_3 Depth=1
	v_add_co_u32 v102, vcc_lo, v57, v35
	v_add_co_ci_u32_e64 v103, null, v58, v36, vcc_lo
	v_add_co_u32 v106, vcc_lo, v59, v35
	v_add_co_ci_u32_e64 v107, null, v60, v36, vcc_lo
	global_load_ushort v14, v[102:103], off
	global_load_ushort v30, v[106:107], off
	s_waitcnt vmcnt(1)
	v_lshlrev_b32_e32 v14, 16, v14
	s_waitcnt vmcnt(0)
	v_lshlrev_b32_e32 v30, 16, v30
	s_or_b32 exec_lo, exec_lo, s1
	s_and_saveexec_b32 s1, s0
	s_cbranch_execz .LBB105_59
.LBB105_78:                             ;   in Loop: Header=BB105_3 Depth=1
	v_add_co_u32 v102, vcc_lo, v52, v35
	v_add_co_ci_u32_e64 v103, null, v53, v36, vcc_lo
	v_add_co_u32 v106, vcc_lo, v54, v35
	v_add_co_ci_u32_e64 v107, null, v55, v36, vcc_lo
	global_load_ushort v15, v[102:103], off
	global_load_ushort v31, v[106:107], off
	s_waitcnt vmcnt(1)
	v_lshlrev_b32_e32 v15, 16, v15
	s_waitcnt vmcnt(0)
	v_lshlrev_b32_e32 v31, 16, v31
	s_or_b32 exec_lo, exec_lo, s1
	s_and_saveexec_b32 s1, s0
	s_cbranch_execz .LBB105_60
.LBB105_79:                             ;   in Loop: Header=BB105_3 Depth=1
	v_add_co_u32 v102, vcc_lo, v48, v35
	v_add_co_ci_u32_e64 v103, null, v49, v36, vcc_lo
	v_add_co_u32 v106, vcc_lo, v50, v35
	v_add_co_ci_u32_e64 v107, null, v51, v36, vcc_lo
	global_load_ushort v16, v[102:103], off
	global_load_ushort v32, v[106:107], off
	s_waitcnt vmcnt(1)
	v_lshlrev_b32_e32 v16, 16, v16
	s_waitcnt vmcnt(0)
	v_lshlrev_b32_e32 v32, 16, v32
	s_or_b32 exec_lo, exec_lo, s1
	s_and_saveexec_b32 s1, s0
	s_cbranch_execz .LBB105_61
.LBB105_80:                             ;   in Loop: Header=BB105_3 Depth=1
	v_add_co_u32 v102, vcc_lo, v44, v35
	v_add_co_ci_u32_e64 v103, null, v45, v36, vcc_lo
	v_add_co_u32 v106, vcc_lo, v46, v35
	v_add_co_ci_u32_e64 v107, null, v47, v36, vcc_lo
	global_load_ushort v17, v[102:103], off
	global_load_ushort v33, v[106:107], off
	s_waitcnt vmcnt(1)
	v_lshlrev_b32_e32 v17, 16, v17
	s_waitcnt vmcnt(0)
	v_lshlrev_b32_e32 v33, 16, v33
	s_or_b32 exec_lo, exec_lo, s1
	s_and_saveexec_b32 s1, s0
	s_cbranch_execnz .LBB105_62
	s_branch .LBB105_63
.LBB105_81:
                                        ; implicit-def: $vgpr19
                                        ; implicit-def: $vgpr0
	s_branch .LBB105_83
.LBB105_82:
	s_cbranch_execnz .LBB105_132
.LBB105_83:
	v_mov_b32_e32 v19, 0
	v_mov_b32_e32 v0, 0
	s_andn2_b32 vcc_lo, exec_lo, s7
	s_cbranch_vccnz .LBB105_132
; %bb.84:
	v_lshlrev_b32_e32 v0, 4, v1
	v_mov_b32_e32 v2, 0
	v_add_nc_u32_e32 v3, s28, v125
	s_load_dword s7, s[4:5], 0x44
	s_add_u32 s0, s4, 64
	buffer_store_dword v0, off, s[36:39], 0 offset:164 ; 4-byte Folded Spill
	v_add_co_u32 v0, s20, v0, s2
	v_mov_b32_e32 v4, v2
	v_add_co_ci_u32_e64 v97, null, 0, 0, s20
	v_mul_lo_u32 v5, s11, v0
	s_addc_u32 s1, s5, 0
	v_lshlrev_b64 v[35:36], 1, v[3:4]
	v_mul_lo_u32 v6, s10, v97
	v_mad_u64_u32 v[3:4], null, s10, v0, 0
	buffer_store_dword v1, off, s[36:39], 0 offset:160 ; 4-byte Folded Spill
	buffer_store_dword v125, off, s[36:39], 0 offset:156 ; 4-byte Folded Spill
	v_mov_b32_e32 v103, 0
	v_mov_b32_e32 v98, 0
	v_add3_u32 v4, v4, v6, v5
	s_waitcnt lgkmcnt(0)
	s_lshl_b32 s7, s7, 8
	s_mul_i32 s20, s11, s7
	s_mul_hi_u32 s21, s10, s7
	v_lshlrev_b64 v[5:6], 1, v[3:4]
	s_add_i32 s21, s21, s20
	s_mul_i32 s20, s10, s7
	s_lshl_b64 s[20:21], s[20:21], 1
	s_add_u32 s22, s2, 0xff
	v_add_co_u32 v7, vcc_lo, s12, v5
	s_addc_u32 s23, 0, 0
	s_lshl_b64 s[24:25], s[2:3], 1
	buffer_store_dword v7, off, s[36:39], 0 ; 4-byte Folded Spill
	v_add_co_ci_u32_e64 v7, null, s13, v6, vcc_lo
	v_add_co_u32 v5, vcc_lo, s14, v5
	buffer_store_dword v7, off, s[36:39], 0 offset:4 ; 4-byte Folded Spill
	buffer_store_dword v5, off, s[36:39], 0 offset:8 ; 4-byte Folded Spill
	v_add_co_ci_u32_e64 v5, null, s15, v6, vcc_lo
	buffer_store_dword v5, off, s[36:39], 0 offset:12 ; 4-byte Folded Spill
	v_lshlrev_b32_e32 v5, 5, v1
	v_add_co_u32 v5, s24, v5, s24
	v_add_co_ci_u32_e64 v6, null, 0, s25, s24
	v_add_co_u32 v67, vcc_lo, v5, 2
	v_add_co_ci_u32_e64 v7, null, 0, v6, vcc_lo
	v_add_co_u32 v70, vcc_lo, v5, 4
	v_mad_u64_u32 v[37:38], null, s10, v67, s[12:13]
	v_mul_lo_u32 v69, s10, v7
	v_add_co_ci_u32_e64 v7, null, 0, v6, vcc_lo
	v_add_co_u32 v71, vcc_lo, v5, 6
	v_mul_lo_u32 v72, s11, v67
	v_mul_lo_u32 v81, s10, v7
	v_add_co_ci_u32_e64 v7, null, 0, v6, vcc_lo
	v_add_co_u32 v73, vcc_lo, v5, 8
	v_mad_u64_u32 v[67:68], null, s10, v67, s[14:15]
	v_mul_lo_u32 v74, s10, v7
	v_add_co_ci_u32_e64 v7, null, 0, v6, vcc_lo
	v_add_co_u32 v75, vcc_lo, v5, 10
	v_add3_u32 v38, v72, v38, v69
	v_mul_lo_u32 v76, s10, v7
	v_add_co_ci_u32_e64 v7, null, 0, v6, vcc_lo
	v_add_co_u32 v32, vcc_lo, v5, 12
	v_mad_u64_u32 v[41:42], null, s10, v71, s[12:13]
	v_mul_lo_u32 v77, s10, v7
	v_add_co_ci_u32_e64 v7, null, 0, v6, vcc_lo
	v_add_co_u32 v31, vcc_lo, v5, 14
	v_mul_lo_u32 v80, s11, v71
	v_mul_lo_u32 v33, s10, v7
	v_add_co_ci_u32_e64 v7, null, 0, v6, vcc_lo
	v_add_co_u32 v26, vcc_lo, v5, 16
	v_add3_u32 v68, v72, v68, v69
	v_mul_lo_u32 v29, s10, v7
	v_add_co_ci_u32_e64 v7, null, 0, v6, vcc_lo
	v_add_co_u32 v25, vcc_lo, v5, 18
	v_mad_u64_u32 v[71:72], null, s10, v71, s[14:15]
	v_mul_lo_u32 v27, s10, v7
	v_add_co_ci_u32_e64 v7, null, 0, v6, vcc_lo
	v_add_co_u32 v20, vcc_lo, v5, 20
	v_add3_u32 v42, v80, v42, v74
	v_mul_lo_u32 v23, s10, v7
	v_add_co_ci_u32_e64 v7, null, 0, v6, vcc_lo
	v_add_co_u32 v19, vcc_lo, v5, 22
	v_mad_u64_u32 v[43:44], null, s10, v73, s[12:13]
	v_mul_lo_u32 v21, s10, v7
	v_add_co_ci_u32_e64 v7, null, 0, v6, vcc_lo
	v_add_co_u32 v14, vcc_lo, v5, 24
	v_mul_lo_u32 v79, s11, v73
	v_mul_lo_u32 v17, s10, v7
	v_add_co_ci_u32_e64 v7, null, 0, v6, vcc_lo
	v_add_co_u32 v11, vcc_lo, v5, 26
	v_add3_u32 v72, v80, v72, v74
	v_mul_lo_u32 v15, s10, v7
	v_add_co_ci_u32_e64 v7, null, 0, v6, vcc_lo
	v_add_co_u32 v8, vcc_lo, v5, 28
	v_mad_u64_u32 v[73:74], null, s10, v73, s[14:15]
	v_mul_lo_u32 v12, s10, v7
	v_add_co_ci_u32_e64 v7, null, 0, v6, vcc_lo
	v_add_co_u32 v5, vcc_lo, v5, 30
	v_add_co_ci_u32_e64 v6, null, 0, v6, vcc_lo
	v_mul_lo_u32 v9, s10, v7
	v_mad_u64_u32 v[65:66], null, s10, v5, s[12:13]
	v_mul_lo_u32 v6, s10, v6
	v_mul_lo_u32 v7, s11, v5
	v_mad_u64_u32 v[95:96], null, s10, v5, s[14:15]
	v_add_co_u32 v5, vcc_lo, v0, 15
	v_mad_u64_u32 v[63:64], null, s10, v8, s[12:13]
	v_mul_lo_u32 v10, s11, v8
	v_add3_u32 v66, v7, v66, v6
	v_add3_u32 v96, v7, v96, v6
	v_add_co_ci_u32_e64 v6, null, 0, v97, vcc_lo
	v_mad_u64_u32 v[93:94], null, s10, v8, s[14:15]
	v_mul_lo_u32 v7, s11, v5
	v_mul_lo_u32 v8, s10, v6
	v_mad_u64_u32 v[5:6], null, s10, v5, 0
	v_mad_u64_u32 v[39:40], null, s10, v70, s[12:13]
	v_mul_lo_u32 v82, s11, v70
	v_add3_u32 v44, v79, v44, v76
	v_mad_u64_u32 v[45:46], null, s10, v75, s[12:13]
	v_add3_u32 v6, v6, v8, v7
	v_mul_lo_u32 v78, s11, v75
	v_mad_u64_u32 v[69:70], null, s10, v70, s[14:15]
	v_add3_u32 v74, v79, v74, v76
	v_lshlrev_b64 v[5:6], 1, v[5:6]
	v_mad_u64_u32 v[75:76], null, s10, v75, s[14:15]
	v_add3_u32 v40, v82, v40, v81
	v_add3_u32 v46, v78, v46, v77
	v_mad_u64_u32 v[47:48], null, s10, v32, s[12:13]
	v_add_co_u32 v1, vcc_lo, s12, v5
	v_mul_lo_u32 v34, s11, v32
	v_mad_u64_u32 v[49:50], null, s10, v31, s[12:13]
	buffer_store_dword v1, off, s[36:39], 0 offset:16 ; 4-byte Folded Spill
	v_add_co_ci_u32_e64 v1, null, s13, v6, vcc_lo
	v_mul_lo_u32 v30, s11, v31
	v_mad_u64_u32 v[51:52], null, s10, v26, s[12:13]
	buffer_store_dword v1, off, s[36:39], 0 offset:20 ; 4-byte Folded Spill
	v_add_co_u32 v1, vcc_lo, s14, v5
	v_mul_lo_u32 v28, s11, v26
	v_mad_u64_u32 v[53:54], null, s10, v25, s[12:13]
	buffer_store_dword v1, off, s[36:39], 0 offset:24 ; 4-byte Folded Spill
	v_add_co_ci_u32_e64 v1, null, s15, v6, vcc_lo
	v_add_co_u32 v5, vcc_lo, v0, 14
	v_add_co_ci_u32_e64 v6, null, 0, v97, vcc_lo
	buffer_store_dword v1, off, s[36:39], 0 offset:28 ; 4-byte Folded Spill
	v_mul_lo_u32 v7, s11, v5
	v_mul_lo_u32 v24, s11, v25
	v_mul_lo_u32 v8, s10, v6
	v_mad_u64_u32 v[5:6], null, s10, v5, 0
	v_mad_u64_u32 v[55:56], null, s10, v20, s[12:13]
	v_mul_lo_u32 v22, s11, v20
	v_mad_u64_u32 v[57:58], null, s10, v19, s[12:13]
	v_mul_lo_u32 v18, s11, v19
	v_add3_u32 v6, v6, v8, v7
	v_mad_u64_u32 v[59:60], null, s10, v14, s[12:13]
	v_mul_lo_u32 v16, s11, v14
	v_mad_u64_u32 v[61:62], null, s10, v11, s[12:13]
	v_lshlrev_b64 v[5:6], 1, v[5:6]
	v_mul_lo_u32 v13, s11, v11
	v_add3_u32 v70, v82, v70, v81
	v_add3_u32 v76, v78, v76, v77
	v_mad_u64_u32 v[77:78], null, s10, v32, s[14:15]
	v_add_co_u32 v1, vcc_lo, s12, v5
	v_mad_u64_u32 v[79:80], null, s10, v31, s[14:15]
	v_mad_u64_u32 v[81:82], null, s10, v26, s[14:15]
	buffer_store_dword v1, off, s[36:39], 0 offset:32 ; 4-byte Folded Spill
	v_add_co_ci_u32_e64 v1, null, s13, v6, vcc_lo
	v_mad_u64_u32 v[83:84], null, s10, v25, s[14:15]
	v_mad_u64_u32 v[85:86], null, s10, v20, s[14:15]
	buffer_store_dword v1, off, s[36:39], 0 offset:36 ; 4-byte Folded Spill
	v_add_co_u32 v1, vcc_lo, s14, v5
	v_mad_u64_u32 v[87:88], null, s10, v19, s[14:15]
	v_mad_u64_u32 v[89:90], null, s10, v14, s[14:15]
	buffer_store_dword v1, off, s[36:39], 0 offset:40 ; 4-byte Folded Spill
	v_add_co_ci_u32_e64 v1, null, s15, v6, vcc_lo
	v_add_co_u32 v5, vcc_lo, v0, 13
	v_add_co_ci_u32_e64 v6, null, 0, v97, vcc_lo
	buffer_store_dword v1, off, s[36:39], 0 offset:44 ; 4-byte Folded Spill
	v_mul_lo_u32 v7, s11, v5
	v_mad_u64_u32 v[91:92], null, s10, v11, s[14:15]
	v_mul_lo_u32 v8, s10, v6
	v_mad_u64_u32 v[5:6], null, s10, v5, 0
	v_add3_u32 v48, v34, v48, v33
	v_add3_u32 v50, v30, v50, v29
	;; [unrolled: 1-line block ×11, first 2 shown]
	v_lshlrev_b64 v[5:6], 1, v[5:6]
	v_add3_u32 v80, v30, v80, v29
	v_add3_u32 v82, v28, v82, v27
	;; [unrolled: 1-line block ×5, first 2 shown]
	v_add_co_u32 v1, vcc_lo, s12, v5
	v_add3_u32 v90, v16, v90, v15
	v_add3_u32 v92, v13, v92, v12
	;; [unrolled: 1-line block ×3, first 2 shown]
	buffer_store_dword v1, off, s[36:39], 0 offset:48 ; 4-byte Folded Spill
	v_add_co_ci_u32_e64 v1, null, s13, v6, vcc_lo
	buffer_store_dword v1, off, s[36:39], 0 offset:52 ; 4-byte Folded Spill
	v_add_co_u32 v1, vcc_lo, s14, v5
	buffer_store_dword v1, off, s[36:39], 0 offset:56 ; 4-byte Folded Spill
	v_add_co_ci_u32_e64 v1, null, s15, v6, vcc_lo
	v_add_co_u32 v5, vcc_lo, v0, 12
	v_add_co_ci_u32_e64 v6, null, 0, v97, vcc_lo
	buffer_store_dword v1, off, s[36:39], 0 offset:60 ; 4-byte Folded Spill
	v_mul_lo_u32 v7, s11, v5
	v_mul_lo_u32 v8, s10, v6
	v_mad_u64_u32 v[5:6], null, s10, v5, 0
	v_add3_u32 v6, v6, v8, v7
	v_lshlrev_b64 v[5:6], 1, v[5:6]
	v_add_co_u32 v1, vcc_lo, s12, v5
	buffer_store_dword v1, off, s[36:39], 0 offset:64 ; 4-byte Folded Spill
	v_add_co_ci_u32_e64 v1, null, s13, v6, vcc_lo
	buffer_store_dword v1, off, s[36:39], 0 offset:68 ; 4-byte Folded Spill
	v_add_co_u32 v1, vcc_lo, s14, v5
	buffer_store_dword v1, off, s[36:39], 0 offset:72 ; 4-byte Folded Spill
	v_add_co_ci_u32_e64 v1, null, s15, v6, vcc_lo
	v_add_co_u32 v5, vcc_lo, v0, 11
	v_add_co_ci_u32_e64 v6, null, 0, v97, vcc_lo
	buffer_store_dword v1, off, s[36:39], 0 offset:76 ; 4-byte Folded Spill
	v_mul_lo_u32 v7, s11, v5
	v_mul_lo_u32 v8, s10, v6
	v_mad_u64_u32 v[5:6], null, s10, v5, 0
	v_add3_u32 v6, v6, v8, v7
	v_lshlrev_b64 v[5:6], 1, v[5:6]
	v_add_co_u32 v1, vcc_lo, s12, v5
	;; [unrolled: 15-line block ×6, first 2 shown]
	buffer_store_dword v1, off, s[36:39], 0 offset:144 ; 4-byte Folded Spill
	v_add_co_ci_u32_e64 v1, null, s13, v6, vcc_lo
	buffer_store_dword v1, off, s[36:39], 0 offset:148 ; 4-byte Folded Spill
	v_add_co_u32 v1, vcc_lo, s14, v5
	v_add_co_ci_u32_e64 v104, null, s15, v6, vcc_lo
	v_add_co_u32 v5, vcc_lo, v0, 6
	v_add_co_ci_u32_e64 v6, null, 0, v97, vcc_lo
	buffer_store_dword v1, off, s[36:39], 0 offset:152 ; 4-byte Folded Spill
	v_mul_lo_u32 v7, s11, v5
	v_mul_lo_u32 v8, s10, v6
	v_mad_u64_u32 v[5:6], null, s10, v5, 0
	v_add3_u32 v6, v6, v8, v7
	v_lshlrev_b64 v[5:6], 1, v[5:6]
	v_add_co_u32 v105, vcc_lo, s12, v5
	v_add_co_ci_u32_e64 v106, null, s13, v6, vcc_lo
	v_add_co_u32 v107, vcc_lo, s14, v5
	v_add_co_ci_u32_e64 v108, null, s15, v6, vcc_lo
	v_add_co_u32 v5, vcc_lo, v0, 5
	v_add_co_ci_u32_e64 v6, null, 0, v97, vcc_lo
	v_mul_lo_u32 v7, s11, v5
	v_mul_lo_u32 v8, s10, v6
	v_mad_u64_u32 v[5:6], null, s10, v5, 0
	v_add3_u32 v6, v6, v8, v7
	v_lshlrev_b64 v[5:6], 1, v[5:6]
	v_add_co_u32 v109, vcc_lo, s12, v5
	v_add_co_ci_u32_e64 v110, null, s13, v6, vcc_lo
	v_add_co_u32 v111, vcc_lo, s14, v5
	v_add_co_ci_u32_e64 v112, null, s15, v6, vcc_lo
	v_add_co_u32 v5, vcc_lo, v0, 4
	v_add_co_ci_u32_e64 v6, null, 0, v97, vcc_lo
	;; [unrolled: 11-line block ×5, first 2 shown]
	v_lshlrev_b64 v[0:1], 1, v[0:1]
	v_add_co_u32 v125, vcc_lo, s12, v0
	v_add_co_ci_u32_e64 v126, null, s13, v1, vcc_lo
	v_add_co_u32 v127, vcc_lo, s14, v0
	v_add_co_ci_u32_e64 v97, null, s15, v1, vcc_lo
.LBB105_85:                             ; =>This Inner Loop Header: Depth=1
	buffer_load_dword v0, off, s[36:39], 0 offset:164 ; 4-byte Folded Reload
	v_cmp_ge_i64_e64 s13, s[22:23], s[8:9]
                                        ; implicit-def: $vgpr19
	s_and_b32 vcc_lo, exec_lo, s13
	s_waitcnt vmcnt(0)
	v_add_co_u32 v1, s12, v0, s22
	v_add_co_ci_u32_e64 v99, null, 0, s23, s12
	s_mov_b32 s12, -1
                                        ; implicit-def: $vgpr0
	s_cbranch_vccz .LBB105_123
; %bb.86:                               ;   in Loop: Header=BB105_85 Depth=1
	buffer_store_dword v103, off, s[36:39], 0 offset:168 ; 4-byte Folded Spill
	s_load_dword s12, s[0:1], 0xc
	s_clause 0x1
	buffer_load_dword v0, off, s[36:39], 0 offset:156
	buffer_load_dword v3, off, s[36:39], 0 offset:160
	v_mov_b32_e32 v100, 0
	s_waitcnt lgkmcnt(0)
	s_and_b32 s12, s12, 0xffff
	s_waitcnt vmcnt(0)
	v_mad_u32_u24 v0, v3, s12, v0
	s_mov_b32 s12, exec_lo
	v_and_b32_e32 v3, 31, v0
	v_mov_b32_e32 v0, 0
	v_cmpx_gt_u32_e32 16, v3
	s_cbranch_execz .LBB105_90
; %bb.87:                               ;   in Loop: Header=BB105_85 Depth=1
	v_add_co_u32 v0, vcc_lo, v1, v3
	v_add_co_ci_u32_e64 v4, null, 0, v99, vcc_lo
	v_mov_b32_e32 v100, 0
	v_add_co_u32 v3, vcc_lo, 0xffffff01, v0
	v_add_co_ci_u32_e64 v4, null, -1, v4, vcc_lo
	v_mov_b32_e32 v0, 0
	s_mov_b32 s13, exec_lo
	v_cmpx_gt_i64_e64 s[8:9], v[3:4]
	s_cbranch_execz .LBB105_89
; %bb.88:                               ;   in Loop: Header=BB105_85 Depth=1
	v_lshlrev_b64 v[3:4], 2, v[3:4]
	v_add_co_u32 v5, vcc_lo, s16, v3
	v_add_co_ci_u32_e64 v6, null, s17, v4, vcc_lo
	v_add_co_u32 v3, vcc_lo, s18, v3
	v_add_co_ci_u32_e64 v4, null, s19, v4, vcc_lo
	global_load_dword v0, v[5:6], off
	global_load_dword v100, v[3:4], off
.LBB105_89:                             ;   in Loop: Header=BB105_85 Depth=1
	s_or_b32 exec_lo, exec_lo, s13
.LBB105_90:                             ;   in Loop: Header=BB105_85 Depth=1
	s_or_b32 exec_lo, exec_lo, s12
	v_add_co_u32 v18, vcc_lo, 0xffffff01, v1
	v_add_co_ci_u32_e64 v19, null, -1, v99, vcc_lo
	v_mov_b32_e32 v17, v2
	v_mov_b32_e32 v3, v2
	;; [unrolled: 1-line block ×15, first 2 shown]
	v_cmp_gt_i64_e32 vcc_lo, s[8:9], v[18:19]
	v_mov_b32_e32 v34, v17
	v_mov_b32_e32 v31, v14
	;; [unrolled: 1-line block ×32, first 2 shown]
	s_and_saveexec_b32 s12, vcc_lo
	s_cbranch_execz .LBB105_92
; %bb.91:                               ;   in Loop: Header=BB105_85 Depth=1
	s_clause 0x3
	buffer_load_dword v3, off, s[36:39], 0
	buffer_load_dword v4, off, s[36:39], 0 offset:4
	buffer_load_dword v5, off, s[36:39], 0 offset:8
	;; [unrolled: 1-line block ×3, first 2 shown]
	v_mov_b32_e32 v7, v2
	v_mov_b32_e32 v8, v2
	;; [unrolled: 1-line block ×27, first 2 shown]
	s_waitcnt vmcnt(3)
	v_add_co_u32 v3, vcc_lo, v3, v35
	s_waitcnt vmcnt(2)
	v_add_co_ci_u32_e64 v4, null, v4, v36, vcc_lo
	s_waitcnt vmcnt(1)
	v_add_co_u32 v5, vcc_lo, v5, v35
	s_waitcnt vmcnt(0)
	v_add_co_ci_u32_e64 v6, null, v6, v36, vcc_lo
	global_load_ushort v3, v[3:4], off
	global_load_ushort v19, v[5:6], off
	v_mov_b32_e32 v4, v2
	v_mov_b32_e32 v5, v2
	;; [unrolled: 1-line block ×3, first 2 shown]
	s_waitcnt vmcnt(1)
	v_lshlrev_b32_e32 v3, 16, v3
	s_waitcnt vmcnt(0)
	v_lshlrev_b32_e32 v19, 16, v19
.LBB105_92:                             ;   in Loop: Header=BB105_85 Depth=1
	s_or_b32 exec_lo, exec_lo, s12
	v_add_co_u32 v101, vcc_lo, 0xffffff02, v1
	v_add_co_ci_u32_e64 v102, null, -1, v99, vcc_lo
	s_mov_b32 s12, exec_lo
	v_cmpx_gt_i64_e64 s[8:9], v[101:102]
	s_cbranch_execz .LBB105_94
; %bb.93:                               ;   in Loop: Header=BB105_85 Depth=1
	v_add_co_u32 v101, vcc_lo, v125, v35
	v_add_co_ci_u32_e64 v102, null, v126, v36, vcc_lo
	global_load_ushort v4, v[101:102], off
	v_add_co_u32 v101, vcc_lo, v127, v35
	v_add_co_ci_u32_e64 v102, null, v97, v36, vcc_lo
	global_load_ushort v20, v[101:102], off
	s_waitcnt vmcnt(1)
	v_lshlrev_b32_e32 v4, 16, v4
	s_waitcnt vmcnt(0)
	v_lshlrev_b32_e32 v20, 16, v20
.LBB105_94:                             ;   in Loop: Header=BB105_85 Depth=1
	s_or_b32 exec_lo, exec_lo, s12
	v_add_co_u32 v101, vcc_lo, 0xffffff03, v1
	v_add_co_ci_u32_e64 v102, null, -1, v99, vcc_lo
	s_mov_b32 s12, exec_lo
	v_cmpx_gt_i64_e64 s[8:9], v[101:102]
	s_cbranch_execz .LBB105_96
; %bb.95:                               ;   in Loop: Header=BB105_85 Depth=1
	v_add_co_u32 v101, vcc_lo, v121, v35
	v_add_co_ci_u32_e64 v102, null, v122, v36, vcc_lo
	global_load_ushort v5, v[101:102], off
	v_add_co_u32 v101, vcc_lo, v123, v35
	v_add_co_ci_u32_e64 v102, null, v124, v36, vcc_lo
	global_load_ushort v21, v[101:102], off
	s_waitcnt vmcnt(1)
	v_lshlrev_b32_e32 v5, 16, v5
	s_waitcnt vmcnt(0)
	v_lshlrev_b32_e32 v21, 16, v21
.LBB105_96:                             ;   in Loop: Header=BB105_85 Depth=1
	s_or_b32 exec_lo, exec_lo, s12
	v_add_co_u32 v101, vcc_lo, 0xffffff04, v1
	v_add_co_ci_u32_e64 v102, null, -1, v99, vcc_lo
	s_mov_b32 s12, exec_lo
	v_cmpx_gt_i64_e64 s[8:9], v[101:102]
	s_cbranch_execz .LBB105_98
; %bb.97:                               ;   in Loop: Header=BB105_85 Depth=1
	v_add_co_u32 v101, vcc_lo, v117, v35
	v_add_co_ci_u32_e64 v102, null, v118, v36, vcc_lo
	global_load_ushort v6, v[101:102], off
	v_add_co_u32 v101, vcc_lo, v119, v35
	v_add_co_ci_u32_e64 v102, null, v120, v36, vcc_lo
	global_load_ushort v22, v[101:102], off
	s_waitcnt vmcnt(1)
	v_lshlrev_b32_e32 v6, 16, v6
	s_waitcnt vmcnt(0)
	v_lshlrev_b32_e32 v22, 16, v22
.LBB105_98:                             ;   in Loop: Header=BB105_85 Depth=1
	s_or_b32 exec_lo, exec_lo, s12
	v_add_co_u32 v101, vcc_lo, 0xffffff05, v1
	v_add_co_ci_u32_e64 v102, null, -1, v99, vcc_lo
	s_mov_b32 s12, exec_lo
	v_cmpx_gt_i64_e64 s[8:9], v[101:102]
	s_cbranch_execz .LBB105_100
; %bb.99:                               ;   in Loop: Header=BB105_85 Depth=1
	v_add_co_u32 v101, vcc_lo, v113, v35
	v_add_co_ci_u32_e64 v102, null, v114, v36, vcc_lo
	global_load_ushort v7, v[101:102], off
	v_add_co_u32 v101, vcc_lo, v115, v35
	v_add_co_ci_u32_e64 v102, null, v116, v36, vcc_lo
	global_load_ushort v23, v[101:102], off
	s_waitcnt vmcnt(1)
	v_lshlrev_b32_e32 v7, 16, v7
	s_waitcnt vmcnt(0)
	v_lshlrev_b32_e32 v23, 16, v23
.LBB105_100:                            ;   in Loop: Header=BB105_85 Depth=1
	s_or_b32 exec_lo, exec_lo, s12
	v_add_co_u32 v101, vcc_lo, 0xffffff06, v1
	v_add_co_ci_u32_e64 v102, null, -1, v99, vcc_lo
	s_mov_b32 s12, exec_lo
	v_cmpx_gt_i64_e64 s[8:9], v[101:102]
	s_cbranch_execz .LBB105_102
; %bb.101:                              ;   in Loop: Header=BB105_85 Depth=1
	v_add_co_u32 v101, vcc_lo, v109, v35
	v_add_co_ci_u32_e64 v102, null, v110, v36, vcc_lo
	global_load_ushort v8, v[101:102], off
	v_add_co_u32 v101, vcc_lo, v111, v35
	v_add_co_ci_u32_e64 v102, null, v112, v36, vcc_lo
	global_load_ushort v24, v[101:102], off
	s_waitcnt vmcnt(1)
	v_lshlrev_b32_e32 v8, 16, v8
	s_waitcnt vmcnt(0)
	v_lshlrev_b32_e32 v24, 16, v24
.LBB105_102:                            ;   in Loop: Header=BB105_85 Depth=1
	s_or_b32 exec_lo, exec_lo, s12
	v_add_co_u32 v101, vcc_lo, 0xffffff07, v1
	v_add_co_ci_u32_e64 v102, null, -1, v99, vcc_lo
	s_mov_b32 s12, exec_lo
	v_cmpx_gt_i64_e64 s[8:9], v[101:102]
	s_cbranch_execz .LBB105_104
; %bb.103:                              ;   in Loop: Header=BB105_85 Depth=1
	v_add_co_u32 v101, vcc_lo, v105, v35
	v_add_co_ci_u32_e64 v102, null, v106, v36, vcc_lo
	global_load_ushort v9, v[101:102], off
	v_add_co_u32 v101, vcc_lo, v107, v35
	v_add_co_ci_u32_e64 v102, null, v108, v36, vcc_lo
	global_load_ushort v25, v[101:102], off
	s_waitcnt vmcnt(1)
	v_lshlrev_b32_e32 v9, 16, v9
	s_waitcnt vmcnt(0)
	v_lshlrev_b32_e32 v25, 16, v25
.LBB105_104:                            ;   in Loop: Header=BB105_85 Depth=1
	s_or_b32 exec_lo, exec_lo, s12
	v_add_co_u32 v101, vcc_lo, 0xffffff08, v1
	v_add_co_ci_u32_e64 v102, null, -1, v99, vcc_lo
	s_mov_b32 s12, exec_lo
	v_cmpx_gt_i64_e64 s[8:9], v[101:102]
	s_cbranch_execz .LBB105_106
; %bb.105:                              ;   in Loop: Header=BB105_85 Depth=1
	s_clause 0x1
	buffer_load_dword v10, off, s[36:39], 0 offset:144
	buffer_load_dword v26, off, s[36:39], 0 offset:152
	s_waitcnt vmcnt(1)
	v_add_co_u32 v101, vcc_lo, v10, v35
	buffer_load_dword v10, off, s[36:39], 0 offset:148 ; 4-byte Folded Reload
	s_waitcnt vmcnt(0)
	v_add_co_ci_u32_e64 v102, null, v10, v36, vcc_lo
	global_load_ushort v10, v[101:102], off
	v_add_co_u32 v101, vcc_lo, v26, v35
	v_add_co_ci_u32_e64 v102, null, v104, v36, vcc_lo
	global_load_ushort v26, v[101:102], off
	s_waitcnt vmcnt(1)
	v_lshlrev_b32_e32 v10, 16, v10
	s_waitcnt vmcnt(0)
	v_lshlrev_b32_e32 v26, 16, v26
.LBB105_106:                            ;   in Loop: Header=BB105_85 Depth=1
	s_or_b32 exec_lo, exec_lo, s12
	v_add_co_u32 v101, vcc_lo, 0xffffff09, v1
	v_add_co_ci_u32_e64 v102, null, -1, v99, vcc_lo
	s_mov_b32 s12, exec_lo
	v_cmpx_gt_i64_e64 s[8:9], v[101:102]
	s_cbranch_execz .LBB105_108
; %bb.107:                              ;   in Loop: Header=BB105_85 Depth=1
	s_clause 0x1
	buffer_load_dword v11, off, s[36:39], 0 offset:128
	buffer_load_dword v27, off, s[36:39], 0 offset:136
	s_waitcnt vmcnt(1)
	v_add_co_u32 v101, vcc_lo, v11, v35
	buffer_load_dword v11, off, s[36:39], 0 offset:132 ; 4-byte Folded Reload
	s_waitcnt vmcnt(0)
	v_add_co_ci_u32_e64 v102, null, v11, v36, vcc_lo
	global_load_ushort v11, v[101:102], off
	v_add_co_u32 v101, vcc_lo, v27, v35
	buffer_load_dword v27, off, s[36:39], 0 offset:140 ; 4-byte Folded Reload
	s_waitcnt vmcnt(1)
	v_lshlrev_b32_e32 v11, 16, v11
	s_waitcnt vmcnt(0)
	v_add_co_ci_u32_e64 v102, null, v27, v36, vcc_lo
	global_load_ushort v27, v[101:102], off
	s_waitcnt vmcnt(0)
	v_lshlrev_b32_e32 v27, 16, v27
.LBB105_108:                            ;   in Loop: Header=BB105_85 Depth=1
	s_or_b32 exec_lo, exec_lo, s12
	v_add_co_u32 v101, vcc_lo, 0xffffff0a, v1
	v_add_co_ci_u32_e64 v102, null, -1, v99, vcc_lo
	s_mov_b32 s12, exec_lo
	v_cmpx_gt_i64_e64 s[8:9], v[101:102]
	s_cbranch_execz .LBB105_110
; %bb.109:                              ;   in Loop: Header=BB105_85 Depth=1
	s_clause 0x1
	buffer_load_dword v12, off, s[36:39], 0 offset:112
	buffer_load_dword v28, off, s[36:39], 0 offset:120
	s_waitcnt vmcnt(1)
	v_add_co_u32 v101, vcc_lo, v12, v35
	buffer_load_dword v12, off, s[36:39], 0 offset:116 ; 4-byte Folded Reload
	s_waitcnt vmcnt(0)
	v_add_co_ci_u32_e64 v102, null, v12, v36, vcc_lo
	global_load_ushort v12, v[101:102], off
	v_add_co_u32 v101, vcc_lo, v28, v35
	buffer_load_dword v28, off, s[36:39], 0 offset:124 ; 4-byte Folded Reload
	s_waitcnt vmcnt(1)
	v_lshlrev_b32_e32 v12, 16, v12
	s_waitcnt vmcnt(0)
	v_add_co_ci_u32_e64 v102, null, v28, v36, vcc_lo
	global_load_ushort v28, v[101:102], off
	s_waitcnt vmcnt(0)
	v_lshlrev_b32_e32 v28, 16, v28
.LBB105_110:                            ;   in Loop: Header=BB105_85 Depth=1
	;; [unrolled: 26-line block ×8, first 2 shown]
	s_or_b32 exec_lo, exec_lo, s12
	buffer_load_dword v103, off, s[36:39], 0 offset:168 ; 4-byte Folded Reload
	s_waitcnt vmcnt(2)
	ds_bpermute_b32 v102, v2, v0
	s_waitcnt vmcnt(1)
	ds_bpermute_b32 v101, v2, v100
	s_mov_b32 s12, 0
	s_waitcnt lgkmcnt(1)
	v_sub_f32_e32 v19, v19, v102
	ds_bpermute_b32 v102, v2, v0 offset:4
	v_mul_f32_e32 v19, v3, v19
	s_waitcnt lgkmcnt(1)
	v_fma_f32 v19, v19, v101, v98
	ds_bpermute_b32 v101, v2, v100 offset:4
	s_waitcnt lgkmcnt(1)
	v_sub_f32_e32 v20, v20, v102
	v_mul_f32_e32 v20, v4, v20
	s_waitcnt lgkmcnt(0)
	v_fmac_f32_e32 v19, v20, v101
	ds_bpermute_b32 v20, v2, v0 offset:8
	s_waitcnt lgkmcnt(0)
	v_sub_f32_e32 v20, v21, v20
	v_mul_f32_e32 v20, v5, v20
	s_waitcnt vmcnt(0)
	v_add_f32_e32 v3, v103, v3
	v_add_f32_e32 v3, v4, v3
	ds_bpermute_b32 v4, v2, v100 offset:8
	v_add_f32_e32 v3, v5, v3
	ds_bpermute_b32 v5, v2, v0 offset:12
	v_add_f32_e32 v3, v6, v3
	v_add_f32_e32 v3, v7, v3
	;; [unrolled: 1-line block ×3, first 2 shown]
	s_waitcnt lgkmcnt(1)
	v_fmac_f32_e32 v19, v20, v4
	ds_bpermute_b32 v4, v2, v100 offset:12
	v_add_f32_e32 v3, v9, v3
	s_waitcnt lgkmcnt(1)
	v_sub_f32_e32 v5, v22, v5
	v_add_f32_e32 v3, v10, v3
	v_mul_f32_e32 v5, v6, v5
	v_add_f32_e32 v3, v11, v3
	v_add_f32_e32 v3, v12, v3
	s_waitcnt lgkmcnt(0)
	v_fmac_f32_e32 v19, v5, v4
	ds_bpermute_b32 v5, v2, v0 offset:16
	ds_bpermute_b32 v4, v2, v100 offset:16
	v_add_f32_e32 v3, v13, v3
	v_add_f32_e32 v3, v14, v3
	;; [unrolled: 1-line block ×4, first 2 shown]
	s_waitcnt lgkmcnt(1)
	v_sub_f32_e32 v5, v23, v5
	v_add_f32_e32 v3, v17, v3
	v_mul_f32_e32 v5, v7, v5
	s_waitcnt lgkmcnt(0)
	v_fmac_f32_e32 v19, v5, v4
	ds_bpermute_b32 v5, v2, v0 offset:20
	ds_bpermute_b32 v4, v2, v100 offset:20
	s_waitcnt lgkmcnt(1)
	v_sub_f32_e32 v5, v24, v5
	v_mul_f32_e32 v5, v8, v5
	s_waitcnt lgkmcnt(0)
	v_fmac_f32_e32 v19, v5, v4
	ds_bpermute_b32 v5, v2, v0 offset:24
	ds_bpermute_b32 v4, v2, v100 offset:24
	s_waitcnt lgkmcnt(1)
	v_sub_f32_e32 v5, v25, v5
	;; [unrolled: 7-line block ×9, first 2 shown]
	v_mul_f32_e32 v5, v16, v5
	s_waitcnt lgkmcnt(0)
	v_fmac_f32_e32 v19, v5, v4
	ds_bpermute_b32 v5, v2, v0 offset:56
	ds_bpermute_b32 v4, v2, v100 offset:56
	;; [unrolled: 1-line block ×3, first 2 shown]
	s_waitcnt lgkmcnt(2)
	v_sub_f32_e32 v5, v33, v5
	s_waitcnt lgkmcnt(0)
	v_sub_f32_e32 v0, v34, v0
	v_mul_f32_e32 v5, v17, v5
	v_mul_f32_e32 v0, v18, v0
	v_fmac_f32_e32 v19, v5, v4
	ds_bpermute_b32 v4, v2, v100 offset:60
	s_waitcnt lgkmcnt(0)
	v_fmac_f32_e32 v19, v0, v4
	v_add_f32_e32 v0, v18, v3
.LBB105_123:                            ;   in Loop: Header=BB105_85 Depth=1
	s_and_b32 vcc_lo, exec_lo, s12
	s_cbranch_vccz .LBB105_129
; %bb.124:                              ;   in Loop: Header=BB105_85 Depth=1
	s_load_dword s12, s[0:1], 0x0
	v_mov_b32_e32 v5, 0
	s_waitcnt lgkmcnt(0)
	s_cmp_lt_u32 s6, s12
	s_cselect_b32 s12, 12, 18
	s_add_u32 s12, s0, s12
	s_addc_u32 s13, s1, 0
	global_load_ushort v0, v2, s[12:13]
	s_clause 0x1
	buffer_load_dword v3, off, s[36:39], 0 offset:156
	buffer_load_dword v4, off, s[36:39], 0 offset:160
	s_mov_b32 s12, exec_lo
	s_waitcnt vmcnt(0)
	v_mad_u32_u24 v0, v4, v0, v3
	v_and_b32_e32 v3, 31, v0
	v_mov_b32_e32 v0, 0
	v_cmpx_gt_u32_e32 16, v3
	s_cbranch_execz .LBB105_128
; %bb.125:                              ;   in Loop: Header=BB105_85 Depth=1
	v_add_co_u32 v0, vcc_lo, v1, v3
	v_add_co_ci_u32_e64 v1, null, 0, v99, vcc_lo
	v_mov_b32_e32 v5, 0
	v_add_co_u32 v3, vcc_lo, 0xffffff01, v0
	v_add_co_ci_u32_e64 v4, null, -1, v1, vcc_lo
	v_mov_b32_e32 v0, 0
	s_mov_b32 s13, exec_lo
	v_cmpx_gt_i64_e64 s[8:9], v[3:4]
	s_cbranch_execz .LBB105_127
; %bb.126:                              ;   in Loop: Header=BB105_85 Depth=1
	v_lshlrev_b64 v[0:1], 2, v[3:4]
	v_add_co_u32 v3, vcc_lo, s16, v0
	v_add_co_ci_u32_e64 v4, null, s17, v1, vcc_lo
	v_add_co_u32 v0, vcc_lo, s18, v0
	v_add_co_ci_u32_e64 v1, null, s19, v1, vcc_lo
	global_load_dword v5, v[3:4], off
	global_load_dword v0, v[0:1], off
.LBB105_127:                            ;   in Loop: Header=BB105_85 Depth=1
	s_or_b32 exec_lo, exec_lo, s13
.LBB105_128:                            ;   in Loop: Header=BB105_85 Depth=1
	s_or_b32 exec_lo, exec_lo, s12
	buffer_load_dword v1, off, s[36:39], 0 offset:8 ; 4-byte Folded Reload
	s_waitcnt vmcnt(0)
	v_add_co_u32 v3, vcc_lo, v1, v35
	buffer_load_dword v1, off, s[36:39], 0 offset:12 ; 4-byte Folded Reload
	s_waitcnt vmcnt(0)
	v_add_co_ci_u32_e64 v4, null, v1, v36, vcc_lo
	buffer_load_dword v1, off, s[36:39], 0  ; 4-byte Folded Reload
	global_load_ushort v6, v[3:4], off
	s_waitcnt vmcnt(1)
	v_add_co_u32 v3, vcc_lo, v1, v35
	buffer_load_dword v1, off, s[36:39], 0 offset:4 ; 4-byte Folded Reload
	s_waitcnt vmcnt(0)
	v_add_co_ci_u32_e64 v4, null, v1, v36, vcc_lo
	global_load_ushort v1, v[3:4], off
	ds_bpermute_b32 v4, v2, v5
	v_lshlrev_b32_e32 v3, 16, v6
	s_waitcnt lgkmcnt(0)
	v_sub_f32_e32 v3, v3, v4
	ds_bpermute_b32 v4, v2, v0
	s_waitcnt vmcnt(0)
	v_lshlrev_b32_e32 v1, 16, v1
	v_mul_f32_e32 v3, v3, v1
	s_waitcnt lgkmcnt(0)
	v_fmac_f32_e32 v98, v3, v4
	v_add_co_u32 v3, vcc_lo, v67, v35
	v_add_co_ci_u32_e64 v4, null, v68, v36, vcc_lo
	global_load_ushort v6, v[3:4], off
	v_add_co_u32 v3, vcc_lo, v37, v35
	v_add_co_ci_u32_e64 v4, null, v38, v36, vcc_lo
	global_load_ushort v3, v[3:4], off
	s_waitcnt vmcnt(1)
	v_lshlrev_b32_e32 v4, 16, v6
	ds_bpermute_b32 v6, v2, v5 offset:4
	s_waitcnt vmcnt(0)
	v_lshlrev_b32_e32 v3, 16, v3
	s_waitcnt lgkmcnt(0)
	v_sub_f32_e32 v4, v4, v6
	ds_bpermute_b32 v6, v2, v0 offset:4
	v_mul_f32_e32 v4, v4, v3
	s_waitcnt lgkmcnt(0)
	v_fmac_f32_e32 v98, v4, v6
	v_add_co_u32 v6, vcc_lo, v69, v35
	v_add_co_ci_u32_e64 v7, null, v70, v36, vcc_lo
	global_load_ushort v4, v[6:7], off
	v_add_co_u32 v6, vcc_lo, v39, v35
	v_add_co_ci_u32_e64 v7, null, v40, v36, vcc_lo
	global_load_ushort v6, v[6:7], off
	ds_bpermute_b32 v7, v2, v5 offset:8
	s_waitcnt vmcnt(1)
	v_lshlrev_b32_e32 v4, 16, v4
	s_waitcnt lgkmcnt(0)
	v_sub_f32_e32 v7, v4, v7
	s_waitcnt vmcnt(0)
	v_lshlrev_b32_e32 v4, 16, v6
	v_mul_f32_e32 v6, v7, v4
	ds_bpermute_b32 v7, v2, v0 offset:8
	s_waitcnt lgkmcnt(0)
	v_fmac_f32_e32 v98, v6, v7
	v_add_co_u32 v6, vcc_lo, v71, v35
	v_add_co_ci_u32_e64 v7, null, v72, v36, vcc_lo
	global_load_ushort v8, v[6:7], off
	v_add_co_u32 v6, vcc_lo, v41, v35
	v_add_co_ci_u32_e64 v7, null, v42, v36, vcc_lo
	global_load_ushort v6, v[6:7], off
	s_waitcnt vmcnt(1)
	v_lshlrev_b32_e32 v7, 16, v8
	ds_bpermute_b32 v8, v2, v5 offset:12
	s_waitcnt vmcnt(0)
	v_lshlrev_b32_e32 v6, 16, v6
	s_waitcnt lgkmcnt(0)
	v_sub_f32_e32 v7, v7, v8
	ds_bpermute_b32 v8, v2, v0 offset:12
	v_mul_f32_e32 v7, v7, v6
	s_waitcnt lgkmcnt(0)
	v_fmac_f32_e32 v98, v7, v8
	v_add_co_u32 v7, vcc_lo, v73, v35
	v_add_co_ci_u32_e64 v8, null, v74, v36, vcc_lo
	global_load_ushort v9, v[7:8], off
	v_add_co_u32 v7, vcc_lo, v43, v35
	v_add_co_ci_u32_e64 v8, null, v44, v36, vcc_lo
	global_load_ushort v7, v[7:8], off
	s_waitcnt vmcnt(1)
	v_lshlrev_b32_e32 v8, 16, v9
	ds_bpermute_b32 v9, v2, v5 offset:16
	s_waitcnt vmcnt(0)
	v_lshlrev_b32_e32 v7, 16, v7
	s_waitcnt lgkmcnt(0)
	v_sub_f32_e32 v8, v8, v9
	ds_bpermute_b32 v9, v2, v0 offset:16
	v_mul_f32_e32 v8, v8, v7
	;; [unrolled: 17-line block ×4, first 2 shown]
	s_waitcnt lgkmcnt(0)
	v_fmac_f32_e32 v98, v10, v11
	v_add_co_u32 v10, vcc_lo, v79, v35
	v_add_co_ci_u32_e64 v11, null, v80, v36, vcc_lo
	global_load_ushort v12, v[10:11], off
	v_add_co_u32 v10, vcc_lo, v49, v35
	v_add_co_ci_u32_e64 v11, null, v50, v36, vcc_lo
	global_load_ushort v10, v[10:11], off
	s_waitcnt vmcnt(1)
	v_lshlrev_b32_e32 v11, 16, v12
	ds_bpermute_b32 v12, v2, v5 offset:28
	s_waitcnt lgkmcnt(0)
	v_sub_f32_e32 v11, v11, v12
	s_waitcnt vmcnt(0)
	v_lshlrev_b32_e32 v12, 16, v10
	v_mul_f32_e32 v10, v11, v12
	ds_bpermute_b32 v11, v2, v0 offset:28
	s_waitcnt lgkmcnt(0)
	v_fmac_f32_e32 v98, v10, v11
	v_add_co_u32 v10, vcc_lo, v81, v35
	v_add_co_ci_u32_e64 v11, null, v82, v36, vcc_lo
	global_load_ushort v13, v[10:11], off
	v_add_co_u32 v10, vcc_lo, v51, v35
	v_add_co_ci_u32_e64 v11, null, v52, v36, vcc_lo
	global_load_ushort v10, v[10:11], off
	s_waitcnt vmcnt(1)
	v_lshlrev_b32_e32 v11, 16, v13
	ds_bpermute_b32 v13, v2, v5 offset:32
	s_waitcnt lgkmcnt(0)
	v_sub_f32_e32 v11, v11, v13
	s_waitcnt vmcnt(0)
	v_lshlrev_b32_e32 v13, 16, v10
	v_mul_f32_e32 v10, v11, v13
	ds_bpermute_b32 v11, v2, v0 offset:32
	;; [unrolled: 17-line block ×7, first 2 shown]
	s_waitcnt lgkmcnt(0)
	v_fmac_f32_e32 v98, v10, v11
	v_add_co_u32 v10, vcc_lo, v93, v35
	v_add_co_ci_u32_e64 v11, null, v94, v36, vcc_lo
	global_load_ushort v19, v[10:11], off
	v_add_co_u32 v10, vcc_lo, v63, v35
	v_add_co_ci_u32_e64 v11, null, v64, v36, vcc_lo
	global_load_ushort v10, v[10:11], off
	s_waitcnt vmcnt(1)
	v_lshlrev_b32_e32 v11, 16, v19
	ds_bpermute_b32 v19, v2, v5 offset:56
	ds_bpermute_b32 v5, v2, v5 offset:60
	s_waitcnt lgkmcnt(1)
	v_sub_f32_e32 v11, v11, v19
	s_waitcnt vmcnt(0)
	v_lshlrev_b32_e32 v19, 16, v10
	v_mul_f32_e32 v10, v11, v19
	ds_bpermute_b32 v11, v2, v0 offset:56
	ds_bpermute_b32 v0, v2, v0 offset:60
	s_waitcnt lgkmcnt(1)
	v_fmac_f32_e32 v98, v10, v11
	v_add_co_u32 v10, vcc_lo, v95, v35
	v_add_co_ci_u32_e64 v11, null, v96, v36, vcc_lo
	global_load_ushort v20, v[10:11], off
	v_add_co_u32 v10, vcc_lo, v65, v35
	v_add_co_ci_u32_e64 v11, null, v66, v36, vcc_lo
	global_load_ushort v10, v[10:11], off
	s_waitcnt vmcnt(1)
	v_lshlrev_b32_e32 v11, 16, v20
	v_sub_f32_e32 v5, v11, v5
	s_waitcnt vmcnt(0)
	v_lshlrev_b32_e32 v10, 16, v10
	v_mul_f32_e32 v5, v5, v10
	s_waitcnt lgkmcnt(0)
	v_fmac_f32_e32 v98, v5, v0
	v_add_f32_e32 v0, v103, v1
	v_add_f32_e32 v0, v0, v3
	v_add_f32_e32 v0, v0, v4
	v_add_f32_e32 v0, v0, v6
	v_add_f32_e32 v0, v0, v7
	v_add_f32_e32 v0, v0, v8
	v_add_f32_e32 v0, v0, v9
	v_add_f32_e32 v0, v0, v12
	v_add_f32_e32 v0, v0, v13
	v_add_f32_e32 v0, v0, v14
	v_add_f32_e32 v0, v0, v15
	v_add_f32_e32 v0, v0, v16
	v_add_f32_e32 v0, v0, v17
	v_add_f32_e32 v0, v0, v18
	v_add_f32_e32 v0, v0, v19
	v_mov_b32_e32 v19, v98
	v_add_f32_e32 v0, v0, v10
.LBB105_129:                            ;   in Loop: Header=BB105_85 Depth=1
	buffer_load_dword v1, off, s[36:39], 0  ; 4-byte Folded Reload
	s_add_u32 s2, s2, s7
	s_addc_u32 s3, s3, 0
	s_add_u32 s22, s22, s7
	v_cmp_ge_i64_e64 s12, s[2:3], s[8:9]
	s_addc_u32 s23, s23, 0
	s_waitcnt vmcnt(0)
	v_add_co_u32 v1, vcc_lo, v1, s20
	buffer_store_dword v1, off, s[36:39], 0 ; 4-byte Folded Spill
	buffer_load_dword v1, off, s[36:39], 0 offset:4 ; 4-byte Folded Reload
	s_waitcnt vmcnt(0)
	v_add_co_ci_u32_e64 v1, null, s21, v1, vcc_lo
	buffer_store_dword v1, off, s[36:39], 0 offset:4 ; 4-byte Folded Spill
	buffer_load_dword v1, off, s[36:39], 0 offset:8 ; 4-byte Folded Reload
	s_waitcnt vmcnt(0)
	v_add_co_u32 v1, vcc_lo, v1, s20
	buffer_store_dword v1, off, s[36:39], 0 offset:8 ; 4-byte Folded Spill
	buffer_load_dword v1, off, s[36:39], 0 offset:12 ; 4-byte Folded Reload
	s_waitcnt vmcnt(0)
	v_add_co_ci_u32_e64 v1, null, s21, v1, vcc_lo
	v_add_co_u32 v37, vcc_lo, v37, s20
	v_add_co_ci_u32_e64 v38, null, s21, v38, vcc_lo
	buffer_store_dword v1, off, s[36:39], 0 offset:12 ; 4-byte Folded Spill
	buffer_load_dword v1, off, s[36:39], 0 offset:16 ; 4-byte Folded Reload
	v_add_co_u32 v39, vcc_lo, v39, s20
	v_add_co_ci_u32_e64 v40, null, s21, v40, vcc_lo
	v_add_co_u32 v41, vcc_lo, v41, s20
	v_add_co_ci_u32_e64 v42, null, s21, v42, vcc_lo
	;; [unrolled: 2-line block ×29, first 2 shown]
	s_waitcnt vmcnt(0)
	v_add_co_u32 v1, vcc_lo, v1, s20
	buffer_store_dword v1, off, s[36:39], 0 offset:16 ; 4-byte Folded Spill
	buffer_load_dword v1, off, s[36:39], 0 offset:20 ; 4-byte Folded Reload
	s_waitcnt vmcnt(0)
	v_add_co_ci_u32_e64 v1, null, s21, v1, vcc_lo
	buffer_store_dword v1, off, s[36:39], 0 offset:20 ; 4-byte Folded Spill
	buffer_load_dword v1, off, s[36:39], 0 offset:24 ; 4-byte Folded Reload
	s_waitcnt vmcnt(0)
	v_add_co_u32 v1, vcc_lo, v1, s20
	buffer_store_dword v1, off, s[36:39], 0 offset:24 ; 4-byte Folded Spill
	buffer_load_dword v1, off, s[36:39], 0 offset:28 ; 4-byte Folded Reload
	s_waitcnt vmcnt(0)
	v_add_co_ci_u32_e64 v1, null, s21, v1, vcc_lo
	buffer_store_dword v1, off, s[36:39], 0 offset:28 ; 4-byte Folded Spill
	buffer_load_dword v1, off, s[36:39], 0 offset:32 ; 4-byte Folded Reload
	;; [unrolled: 8-line block ×17, first 2 shown]
	s_waitcnt vmcnt(0)
	v_add_co_u32 v1, vcc_lo, v1, s20
	v_add_co_ci_u32_e64 v104, null, s21, v104, vcc_lo
	v_add_co_u32 v105, vcc_lo, v105, s20
	v_add_co_ci_u32_e64 v106, null, s21, v106, vcc_lo
	;; [unrolled: 2-line block ×13, first 2 shown]
	s_and_b32 vcc_lo, exec_lo, s12
	buffer_store_dword v1, off, s[36:39], 0 offset:152 ; 4-byte Folded Spill
	s_cbranch_vccnz .LBB105_131
; %bb.130:                              ;   in Loop: Header=BB105_85 Depth=1
	v_mov_b32_e32 v103, v0
	v_mov_b32_e32 v98, v19
	s_branch .LBB105_85
.LBB105_131:
	s_clause 0x1
	buffer_load_dword v125, off, s[36:39], 0 offset:156
	buffer_load_dword v1, off, s[36:39], 0 offset:160
.LBB105_132:
	s_waitcnt vmcnt(0)
	v_mad_u32_u24 v3, 0x41, v1, v125
	s_mov_b32 s0, exec_lo
	v_lshl_add_u32 v2, v3, 2, 0
	v_sub_nc_u32_e32 v4, v3, v1
	ds_write_b32 v2, v19
	ds_write_b32 v2, v0 offset:4160
	s_waitcnt lgkmcnt(0)
	s_waitcnt_vscnt null, 0x0
	s_barrier
	buffer_gl0_inv
	v_cmpx_gt_u32_e32 0x800, v4
	s_cbranch_execz .LBB105_148
; %bb.133:
	s_load_dwordx4 s[12:15], s[4:5], 0x30
	v_and_b32_e32 v0, 31, v125
	v_lshrrev_b32_e32 v3, 5, v4
                                        ; implicit-def: $vgpr1
	v_cmp_gt_u32_e64 s0, 16, v0
	v_mul_u32_u24_e32 v5, 0x41, v0
                                        ; implicit-def: $vgpr0
	s_and_saveexec_b32 s1, s0
	s_cbranch_execz .LBB105_135
; %bb.134:
	v_add_nc_u32_e32 v0, v3, v5
	v_lshl_add_u32 v0, v0, 2, 0
	ds_read_b32 v1, v0
	ds_read_b32 v0, v0 offset:4160
.LBB105_135:
	s_or_b32 exec_lo, exec_lo, s1
	v_mbcnt_lo_u32_b32 v2, -1, 0
	s_mov_b32 s7, 0
	v_cmp_eq_u32_e64 s1, 0, v125
	s_lshl_b64 s[2:3], s[6:7], 6
	s_waitcnt lgkmcnt(0)
	s_cmp_lg_u64 s[12:13], 0
	v_xor_b32_e32 v6, 8, v2
	v_xor_b32_e32 v7, 4, v2
	s_cselect_b32 s5, -1, 0
	s_cmp_lg_u64 s[14:15], 0
	s_cselect_b32 s4, -1, 0
	v_cmp_gt_i32_e32 vcc_lo, 32, v6
	v_cndmask_b32_e32 v6, v2, v6, vcc_lo
	v_cmp_gt_i32_e32 vcc_lo, 32, v7
	v_lshlrev_b32_e32 v6, 2, v6
	v_cndmask_b32_e32 v7, v2, v7, vcc_lo
	ds_bpermute_b32 v8, v6, v1
	ds_bpermute_b32 v9, v6, v0
	v_lshlrev_b32_e32 v7, 2, v7
	s_waitcnt lgkmcnt(1)
	v_add_f32_e32 v1, v1, v8
	s_waitcnt lgkmcnt(0)
	v_add_f32_e32 v0, v0, v9
	v_xor_b32_e32 v8, 2, v2
	ds_bpermute_b32 v9, v7, v1
	ds_bpermute_b32 v10, v7, v0
	v_cmp_gt_i32_e32 vcc_lo, 32, v8
	v_cndmask_b32_e32 v8, v2, v8, vcc_lo
	v_lshlrev_b32_e32 v8, 2, v8
	s_waitcnt lgkmcnt(1)
	v_add_f32_e32 v1, v1, v9
	s_waitcnt lgkmcnt(0)
	v_add_f32_e32 v0, v0, v10
	v_xor_b32_e32 v9, 1, v2
	ds_bpermute_b32 v10, v8, v1
	ds_bpermute_b32 v11, v8, v0
	v_cmp_gt_i32_e32 vcc_lo, 32, v9
	v_cndmask_b32_e32 v2, v2, v9, vcc_lo
	v_lshlrev_b32_e32 v9, 2, v2
	v_mov_b32_e32 v2, s3
	s_waitcnt lgkmcnt(1)
	v_add_f32_e32 v10, v1, v10
	s_waitcnt lgkmcnt(0)
	v_add_f32_e32 v0, v0, v11
	v_or_b32_e32 v1, s2, v3
	ds_bpermute_b32 v11, v9, v10
	ds_bpermute_b32 v12, v9, v0
	v_cmp_gt_i64_e32 vcc_lo, s[10:11], v[1:2]
	s_and_b32 s7, s1, vcc_lo
	s_waitcnt lgkmcnt(1)
	v_add_f32_e32 v10, v10, v11
	s_waitcnt lgkmcnt(0)
	v_add_f32_e32 v11, v0, v12
	s_and_saveexec_b32 s6, s7
	s_cbranch_execz .LBB105_140
; %bb.136:
	v_lshlrev_b64 v[0:1], 1, v[1:2]
	s_andn2_b32 vcc_lo, exec_lo, s5
	s_cbranch_vccnz .LBB105_138
; %bb.137:
	v_bfe_u32 v2, v10, 16, 1
	v_cmp_o_f32_e32 vcc_lo, v10, v10
	v_mov_b32_e32 v12, 0x7fc0
	v_add3_u32 v2, v10, v2, 0x7fff
	v_cndmask_b32_sdwa v2, v12, v2, vcc_lo dst_sel:DWORD dst_unused:UNUSED_PAD src0_sel:DWORD src1_sel:WORD_1
	v_add_co_u32 v12, vcc_lo, s12, v0
	v_add_co_ci_u32_e64 v13, null, s13, v1, vcc_lo
	global_store_short v[12:13], v2, off
.LBB105_138:
	s_andn2_b32 vcc_lo, exec_lo, s4
	s_cbranch_vccnz .LBB105_140
; %bb.139:
	v_bfe_u32 v2, v11, 16, 1
	v_cmp_o_f32_e32 vcc_lo, v11, v11
	v_mov_b32_e32 v12, 0x7fc0
	v_add3_u32 v2, v11, v2, 0x7fff
	v_cndmask_b32_sdwa v2, v12, v2, vcc_lo dst_sel:DWORD dst_unused:UNUSED_PAD src0_sel:DWORD src1_sel:WORD_1
	v_add_co_u32 v0, vcc_lo, s14, v0
	v_add_co_ci_u32_e64 v1, null, s15, v1, vcc_lo
	global_store_short v[0:1], v2, off
.LBB105_140:
	s_or_b32 exec_lo, exec_lo, s6
	v_cmp_gt_u32_e32 vcc_lo, 0x400, v4
	s_and_b32 exec_lo, exec_lo, vcc_lo
	s_cbranch_execz .LBB105_148
; %bb.141:
	s_and_saveexec_b32 s6, s0
	s_cbranch_execz .LBB105_143
; %bb.142:
	v_add_nc_u32_e32 v0, v3, v5
	v_lshl_add_u32 v0, v0, 2, 0
	ds_read_b32 v10, v0 offset:128
	ds_read_b32 v11, v0 offset:4288
.LBB105_143:
	s_or_b32 exec_lo, exec_lo, s6
	s_waitcnt lgkmcnt(1)
	ds_bpermute_b32 v0, v6, v10
	s_waitcnt lgkmcnt(1)
	ds_bpermute_b32 v1, v6, v11
	v_add_nc_u32_e32 v5, 32, v3
	v_mov_b32_e32 v6, s3
	v_or_b32_e32 v5, s2, v5
	v_cmp_gt_i64_e32 vcc_lo, s[10:11], v[5:6]
	s_and_b32 s0, s1, vcc_lo
	s_waitcnt lgkmcnt(1)
	v_add_f32_e32 v0, v10, v0
	s_waitcnt lgkmcnt(0)
	v_add_f32_e32 v1, v11, v1
	ds_bpermute_b32 v2, v7, v0
	ds_bpermute_b32 v4, v7, v1
	s_waitcnt lgkmcnt(1)
	v_add_f32_e32 v0, v0, v2
	s_waitcnt lgkmcnt(0)
	v_add_f32_e32 v1, v1, v4
	ds_bpermute_b32 v2, v8, v0
	ds_bpermute_b32 v4, v8, v1
	;; [unrolled: 6-line block ×3, first 2 shown]
	s_and_b32 exec_lo, exec_lo, s0
	s_cbranch_execz .LBB105_148
; %bb.144:
	s_andn2_b32 vcc_lo, exec_lo, s5
	s_cbranch_vccnz .LBB105_146
; %bb.145:
	s_waitcnt lgkmcnt(1)
	v_add_f32_e32 v2, v2, v4
	v_add_co_u32 v4, s0, s2, v3
	v_add_co_ci_u32_e64 v5, null, s3, 0, s0
	v_bfe_u32 v6, v2, 16, 1
	v_cmp_o_f32_e32 vcc_lo, v2, v2
	v_mov_b32_e32 v7, 0x7fc0
	v_lshlrev_b64 v[4:5], 1, v[4:5]
	v_add3_u32 v2, v2, v6, 0x7fff
	v_cndmask_b32_sdwa v2, v7, v2, vcc_lo dst_sel:DWORD dst_unused:UNUSED_PAD src0_sel:DWORD src1_sel:WORD_1
	v_add_co_u32 v4, vcc_lo, s12, v4
	v_add_co_ci_u32_e64 v5, null, s13, v5, vcc_lo
	global_store_short v[4:5], v2, off offset:64
.LBB105_146:
	s_andn2_b32 vcc_lo, exec_lo, s4
	s_cbranch_vccnz .LBB105_148
; %bb.147:
	s_waitcnt lgkmcnt(0)
	v_add_f32_e32 v2, v0, v1
	v_add_co_u32 v0, s0, s2, v3
	v_add_co_ci_u32_e64 v1, null, s3, 0, s0
	v_bfe_u32 v4, v2, 16, 1
	v_cmp_o_f32_e32 vcc_lo, v2, v2
	v_mov_b32_e32 v3, 0x7fc0
	v_lshlrev_b64 v[0:1], 1, v[0:1]
	v_add3_u32 v2, v2, v4, 0x7fff
	v_cndmask_b32_sdwa v2, v3, v2, vcc_lo dst_sel:DWORD dst_unused:UNUSED_PAD src0_sel:DWORD src1_sel:WORD_1
	v_add_co_u32 v0, vcc_lo, s14, v0
	v_add_co_ci_u32_e64 v1, null, s15, v1, vcc_lo
	global_store_short v[0:1], v2, off offset:64
.LBB105_148:
	s_endpgm
	.section	.rodata,"a",@progbits
	.p2align	6, 0x0
	.amdhsa_kernel _ZN2at6native12_GLOBAL__N_135GammaBetaBackwardCUDAKernelTemplateIN3c108BFloat16EfLj64ELj16ELj256ELb0ELb0ELb0EEEvllPKT_S7_PKT0_SA_PS5_SB_
		.amdhsa_group_segment_fixed_size 0
		.amdhsa_private_segment_fixed_size 176
		.amdhsa_kernarg_size 320
		.amdhsa_user_sgpr_count 6
		.amdhsa_user_sgpr_private_segment_buffer 1
		.amdhsa_user_sgpr_dispatch_ptr 0
		.amdhsa_user_sgpr_queue_ptr 0
		.amdhsa_user_sgpr_kernarg_segment_ptr 1
		.amdhsa_user_sgpr_dispatch_id 0
		.amdhsa_user_sgpr_flat_scratch_init 0
		.amdhsa_user_sgpr_private_segment_size 0
		.amdhsa_wavefront_size32 1
		.amdhsa_uses_dynamic_stack 0
		.amdhsa_system_sgpr_private_segment_wavefront_offset 1
		.amdhsa_system_sgpr_workgroup_id_x 1
		.amdhsa_system_sgpr_workgroup_id_y 1
		.amdhsa_system_sgpr_workgroup_id_z 0
		.amdhsa_system_sgpr_workgroup_info 0
		.amdhsa_system_vgpr_workitem_id 1
		.amdhsa_next_free_vgpr 128
		.amdhsa_next_free_sgpr 40
		.amdhsa_reserve_vcc 1
		.amdhsa_reserve_flat_scratch 0
		.amdhsa_float_round_mode_32 0
		.amdhsa_float_round_mode_16_64 0
		.amdhsa_float_denorm_mode_32 3
		.amdhsa_float_denorm_mode_16_64 3
		.amdhsa_dx10_clamp 1
		.amdhsa_ieee_mode 1
		.amdhsa_fp16_overflow 0
		.amdhsa_workgroup_processor_mode 1
		.amdhsa_memory_ordered 1
		.amdhsa_forward_progress 1
		.amdhsa_shared_vgpr_count 0
		.amdhsa_exception_fp_ieee_invalid_op 0
		.amdhsa_exception_fp_denorm_src 0
		.amdhsa_exception_fp_ieee_div_zero 0
		.amdhsa_exception_fp_ieee_overflow 0
		.amdhsa_exception_fp_ieee_underflow 0
		.amdhsa_exception_fp_ieee_inexact 0
		.amdhsa_exception_int_div_zero 0
	.end_amdhsa_kernel
	.section	.text._ZN2at6native12_GLOBAL__N_135GammaBetaBackwardCUDAKernelTemplateIN3c108BFloat16EfLj64ELj16ELj256ELb0ELb0ELb0EEEvllPKT_S7_PKT0_SA_PS5_SB_,"axG",@progbits,_ZN2at6native12_GLOBAL__N_135GammaBetaBackwardCUDAKernelTemplateIN3c108BFloat16EfLj64ELj16ELj256ELb0ELb0ELb0EEEvllPKT_S7_PKT0_SA_PS5_SB_,comdat
.Lfunc_end105:
	.size	_ZN2at6native12_GLOBAL__N_135GammaBetaBackwardCUDAKernelTemplateIN3c108BFloat16EfLj64ELj16ELj256ELb0ELb0ELb0EEEvllPKT_S7_PKT0_SA_PS5_SB_, .Lfunc_end105-_ZN2at6native12_GLOBAL__N_135GammaBetaBackwardCUDAKernelTemplateIN3c108BFloat16EfLj64ELj16ELj256ELb0ELb0ELb0EEEvllPKT_S7_PKT0_SA_PS5_SB_
                                        ; -- End function
	.set _ZN2at6native12_GLOBAL__N_135GammaBetaBackwardCUDAKernelTemplateIN3c108BFloat16EfLj64ELj16ELj256ELb0ELb0ELb0EEEvllPKT_S7_PKT0_SA_PS5_SB_.num_vgpr, 128
	.set _ZN2at6native12_GLOBAL__N_135GammaBetaBackwardCUDAKernelTemplateIN3c108BFloat16EfLj64ELj16ELj256ELb0ELb0ELb0EEEvllPKT_S7_PKT0_SA_PS5_SB_.num_agpr, 0
	.set _ZN2at6native12_GLOBAL__N_135GammaBetaBackwardCUDAKernelTemplateIN3c108BFloat16EfLj64ELj16ELj256ELb0ELb0ELb0EEEvllPKT_S7_PKT0_SA_PS5_SB_.numbered_sgpr, 40
	.set _ZN2at6native12_GLOBAL__N_135GammaBetaBackwardCUDAKernelTemplateIN3c108BFloat16EfLj64ELj16ELj256ELb0ELb0ELb0EEEvllPKT_S7_PKT0_SA_PS5_SB_.num_named_barrier, 0
	.set _ZN2at6native12_GLOBAL__N_135GammaBetaBackwardCUDAKernelTemplateIN3c108BFloat16EfLj64ELj16ELj256ELb0ELb0ELb0EEEvllPKT_S7_PKT0_SA_PS5_SB_.private_seg_size, 176
	.set _ZN2at6native12_GLOBAL__N_135GammaBetaBackwardCUDAKernelTemplateIN3c108BFloat16EfLj64ELj16ELj256ELb0ELb0ELb0EEEvllPKT_S7_PKT0_SA_PS5_SB_.uses_vcc, 1
	.set _ZN2at6native12_GLOBAL__N_135GammaBetaBackwardCUDAKernelTemplateIN3c108BFloat16EfLj64ELj16ELj256ELb0ELb0ELb0EEEvllPKT_S7_PKT0_SA_PS5_SB_.uses_flat_scratch, 0
	.set _ZN2at6native12_GLOBAL__N_135GammaBetaBackwardCUDAKernelTemplateIN3c108BFloat16EfLj64ELj16ELj256ELb0ELb0ELb0EEEvllPKT_S7_PKT0_SA_PS5_SB_.has_dyn_sized_stack, 0
	.set _ZN2at6native12_GLOBAL__N_135GammaBetaBackwardCUDAKernelTemplateIN3c108BFloat16EfLj64ELj16ELj256ELb0ELb0ELb0EEEvllPKT_S7_PKT0_SA_PS5_SB_.has_recursion, 0
	.set _ZN2at6native12_GLOBAL__N_135GammaBetaBackwardCUDAKernelTemplateIN3c108BFloat16EfLj64ELj16ELj256ELb0ELb0ELb0EEEvllPKT_S7_PKT0_SA_PS5_SB_.has_indirect_call, 0
	.section	.AMDGPU.csdata,"",@progbits
; Kernel info:
; codeLenInByte = 18320
; TotalNumSgprs: 42
; NumVgprs: 128
; ScratchSize: 176
; MemoryBound: 0
; FloatMode: 240
; IeeeMode: 1
; LDSByteSize: 0 bytes/workgroup (compile time only)
; SGPRBlocks: 0
; VGPRBlocks: 15
; NumSGPRsForWavesPerEU: 42
; NumVGPRsForWavesPerEU: 128
; Occupancy: 8
; WaveLimiterHint : 0
; COMPUTE_PGM_RSRC2:SCRATCH_EN: 1
; COMPUTE_PGM_RSRC2:USER_SGPR: 6
; COMPUTE_PGM_RSRC2:TRAP_HANDLER: 0
; COMPUTE_PGM_RSRC2:TGID_X_EN: 1
; COMPUTE_PGM_RSRC2:TGID_Y_EN: 1
; COMPUTE_PGM_RSRC2:TGID_Z_EN: 0
; COMPUTE_PGM_RSRC2:TIDIG_COMP_CNT: 1
	.section	.text._ZN2at6native12_GLOBAL__N_135GammaBetaBackwardCUDAKernelTemplateIN3c108BFloat16EfLj32ELj1ELj32ELb1ELb1ELb0EEEvllPKT_S7_PKT0_SA_PS5_SB_,"axG",@progbits,_ZN2at6native12_GLOBAL__N_135GammaBetaBackwardCUDAKernelTemplateIN3c108BFloat16EfLj32ELj1ELj32ELb1ELb1ELb0EEEvllPKT_S7_PKT0_SA_PS5_SB_,comdat
	.globl	_ZN2at6native12_GLOBAL__N_135GammaBetaBackwardCUDAKernelTemplateIN3c108BFloat16EfLj32ELj1ELj32ELb1ELb1ELb0EEEvllPKT_S7_PKT0_SA_PS5_SB_ ; -- Begin function _ZN2at6native12_GLOBAL__N_135GammaBetaBackwardCUDAKernelTemplateIN3c108BFloat16EfLj32ELj1ELj32ELb1ELb1ELb0EEEvllPKT_S7_PKT0_SA_PS5_SB_
	.p2align	8
	.type	_ZN2at6native12_GLOBAL__N_135GammaBetaBackwardCUDAKernelTemplateIN3c108BFloat16EfLj32ELj1ELj32ELb1ELb1ELb0EEEvllPKT_S7_PKT0_SA_PS5_SB_,@function
_ZN2at6native12_GLOBAL__N_135GammaBetaBackwardCUDAKernelTemplateIN3c108BFloat16EfLj32ELj1ELj32ELb1ELb1ELb0EEEvllPKT_S7_PKT0_SA_PS5_SB_: ; @_ZN2at6native12_GLOBAL__N_135GammaBetaBackwardCUDAKernelTemplateIN3c108BFloat16EfLj32ELj1ELj32ELb1ELb1ELb0EEEvllPKT_S7_PKT0_SA_PS5_SB_
; %bb.0:
	s_load_dwordx4 s[16:19], s[4:5], 0x0
	s_lshl_b32 s2, s7, 5
	s_mov_b32 s3, 0
	s_waitcnt lgkmcnt(0)
	v_cmp_gt_i64_e64 s0, s[16:17], s[2:3]
	s_and_b32 vcc_lo, exec_lo, s0
	s_cbranch_vccnz .LBB106_2
; %bb.1:
	s_add_u32 s24, s4, 64
	s_addc_u32 s25, s5, 0
	s_mov_b32 s0, s3
	s_branch .LBB106_3
.LBB106_2:
	s_mov_b32 s0, -1
                                        ; implicit-def: $sgpr24_sgpr25
.LBB106_3:
	s_load_dwordx4 s[20:23], s[4:5], 0x30
	v_mov_b32_e32 v26, 0
	v_mov_b32_e32 v43, 0
	s_andn2_b32 vcc_lo, exec_lo, s0
	s_cbranch_vccnz .LBB106_8
; %bb.4:
	s_clause 0x2
	s_load_dword s0, s[4:5], 0x4c
	s_load_dword s1, s[4:5], 0x44
	s_load_dwordx8 s[8:15], s[4:5], 0x10
	v_lshlrev_b32_e32 v4, 5, v1
	s_add_u32 s24, s4, 64
	s_addc_u32 s25, s5, 0
	v_mov_b32_e32 v3, 0
	v_lshl_or_b32 v2, s6, 5, v0
	v_mov_b32_e32 v8, 4
	v_mov_b32_e32 v9, 8
	;; [unrolled: 1-line block ×4, first 2 shown]
	v_lshlrev_b64 v[40:41], 1, v[2:3]
	v_mov_b32_e32 v12, 20
	v_mov_b32_e32 v13, 24
	;; [unrolled: 1-line block ×7, first 2 shown]
	s_waitcnt lgkmcnt(0)
	s_and_b32 s0, s0, 0xffff
	s_lshl_b32 s26, s1, 5
	v_mad_u32_u24 v5, v1, s0, v0
	v_add_co_u32 v42, s0, v4, s2
	v_add_co_ci_u32_e64 v43, null, 0, 0, s0
	v_and_b32_e32 v26, 31, v5
	v_mul_lo_u32 v6, s19, v42
	v_mad_u64_u32 v[4:5], null, s18, v42, 0
	v_mul_lo_u32 v7, s18, v43
	s_mul_i32 s0, s19, s26
	s_mul_hi_u32 s1, s18, s26
	v_mov_b32_e32 v19, 48
	v_mov_b32_e32 v20, 52
	;; [unrolled: 1-line block ×5, first 2 shown]
	v_add3_u32 v5, v5, v7, v6
	v_mov_b32_e32 v24, 0x44
	v_mov_b32_e32 v25, 0x48
	;; [unrolled: 1-line block ×4, first 2 shown]
	v_lshlrev_b64 v[6:7], 1, v[4:5]
	v_add_co_u32 v4, vcc_lo, v42, v26
	v_add_co_ci_u32_e64 v5, null, 0, v43, vcc_lo
	v_mov_b32_e32 v29, 0x54
	v_add_co_u32 v2, vcc_lo, v6, v40
	v_add_co_ci_u32_e64 v40, null, v7, v41, vcc_lo
	v_lshlrev_b64 v[6:7], 2, v[4:5]
	v_mov_b32_e32 v30, 0x58
	v_mov_b32_e32 v31, 0x5c
	v_mov_b32_e32 v32, 0x60
	v_mov_b32_e32 v33, 0x64
	v_mov_b32_e32 v34, 0x68
	v_mov_b32_e32 v35, 0x6c
	v_mov_b32_e32 v36, 0x70
	v_mov_b32_e32 v37, 0x74
	v_mov_b32_e32 v38, 0x78
	v_mov_b32_e32 v39, 0x7c
	v_mov_b32_e32 v43, 0
	v_mov_b32_e32 v26, 0
	s_mov_b32 s27, 0
	s_add_i32 s1, s1, s0
	s_mul_i32 s0, s18, s26
	s_lshl_b64 s[28:29], s[26:27], 2
	s_lshl_b64 s[4:5], s[0:1], 1
	;; [unrolled: 1-line block ×3, first 2 shown]
	s_branch .LBB106_6
.LBB106_5:                              ;   in Loop: Header=BB106_6 Depth=1
	s_or_b32 exec_lo, exec_lo, s0
	v_add_co_u32 v45, vcc_lo, s10, v2
	v_add_co_ci_u32_e64 v46, null, s11, v40, vcc_lo
	v_add_co_u32 v47, vcc_lo, s8, v2
	v_add_co_ci_u32_e64 v48, null, s9, v40, vcc_lo
	v_add_co_u32 v49, vcc_lo, v45, s30
	global_load_ushort v55, v[45:46], off
	v_add_co_ci_u32_e64 v50, null, s31, v46, vcc_lo
	v_add_co_u32 v46, vcc_lo, v47, s30
	global_load_ushort v44, v[47:48], off
	global_load_ushort v54, v[49:50], off
	v_add_co_ci_u32_e64 v47, null, s31, v48, vcc_lo
	v_add_co_u32 v48, vcc_lo, v49, s30
	v_add_co_ci_u32_e64 v49, null, s31, v50, vcc_lo
	global_load_ushort v45, v[46:47], off
	v_add_co_u32 v50, vcc_lo, v46, s30
	global_load_ushort v52, v[48:49], off
	v_add_co_ci_u32_e64 v51, null, s31, v47, vcc_lo
	v_add_co_u32 v48, vcc_lo, v48, s30
	v_add_co_ci_u32_e64 v49, null, s31, v49, vcc_lo
	global_load_ushort v46, v[50:51], off
	v_add_co_u32 v56, vcc_lo, v50, s30
	;; [unrolled: 6-line block ×4, first 2 shown]
	global_load_ushort v49, v[58:59], off
	v_add_co_ci_u32_e64 v57, null, s31, v57, vcc_lo
	v_add_co_u32 v58, s0, v58, s30
	v_add_co_ci_u32_e64 v59, null, s31, v59, s0
	global_load_ushort v53, v[56:57], off
	v_add_co_u32 v56, vcc_lo, v56, s30
	v_add_co_ci_u32_e64 v57, null, s31, v57, vcc_lo
	global_load_ushort v65, v[58:59], off
	v_add_co_u32 v62, s0, v58, s30
	global_load_ushort v64, v[56:57], off
	v_add_co_ci_u32_e64 v63, null, s31, v59, s0
	v_add_co_u32 v60, vcc_lo, v56, s30
	v_add_co_ci_u32_e64 v61, null, s31, v57, vcc_lo
	global_load_ushort v66, v[62:63], off
	v_add_co_u32 v56, vcc_lo, v62, s30
	global_load_ushort v67, v[60:61], off
	v_add_co_ci_u32_e64 v57, null, s31, v63, vcc_lo
	s_add_u32 s2, s2, s26
	s_addc_u32 s3, s3, 0
	global_load_ushort v69, v[56:57], off
	v_add_co_u32 v58, s0, v60, s30
	v_add_co_ci_u32_e64 v59, null, s31, v61, s0
	v_add_co_u32 v62, s0, v56, s30
	v_add_co_ci_u32_e64 v63, null, s31, v57, s0
	global_load_ushort v68, v[58:59], off
	v_add_co_u32 v60, vcc_lo, v58, s30
	v_add_co_ci_u32_e64 v61, null, s31, v59, vcc_lo
	v_add_co_u32 v56, vcc_lo, v62, s30
	global_load_ushort v62, v[62:63], off
	v_add_co_ci_u32_e64 v57, null, s31, v63, vcc_lo
	global_load_ushort v63, v[60:61], off
	v_add_co_u32 v58, s0, v60, s30
	v_add_co_u32 v60, vcc_lo, v56, s30
	global_load_ushort v70, v[56:57], off
	s_waitcnt vmcnt(22)
	ds_bpermute_b32 v56, v3, v42
	v_add_co_ci_u32_e64 v59, null, s31, v61, s0
	v_add_co_ci_u32_e64 v61, null, s31, v57, vcc_lo
	ds_bpermute_b32 v57, v8, v42
	global_load_ushort v71, v[58:59], off
	v_cmp_lt_i64_e64 s0, s[2:3], s[16:17]
	global_load_ushort v72, v[60:61], off
	s_waitcnt vmcnt(22)
	v_lshlrev_b32_e32 v55, 16, v55
	s_waitcnt vmcnt(21)
	v_lshlrev_b32_e32 v44, 16, v44
	s_waitcnt lgkmcnt(1)
	v_sub_f32_e32 v55, v55, v56
	ds_bpermute_b32 v56, v3, v41
	s_waitcnt vmcnt(20)
	v_lshlrev_b32_e32 v54, 16, v54
	v_add_f32_e32 v43, v43, v44
	v_mul_f32_e32 v55, v55, v44
	ds_bpermute_b32 v44, v32, v42
	s_waitcnt lgkmcnt(2)
	v_sub_f32_e32 v54, v54, v57
	ds_bpermute_b32 v57, v8, v41
	s_waitcnt vmcnt(19)
	v_lshlrev_b32_e32 v45, 16, v45
	s_waitcnt vmcnt(18)
	v_lshlrev_b32_e32 v52, 16, v52
	v_mul_f32_e32 v54, v54, v45
	v_add_f32_e32 v43, v43, v45
	ds_bpermute_b32 v45, v33, v42
	s_waitcnt vmcnt(17)
	v_lshlrev_b32_e32 v46, 16, v46
	s_waitcnt vmcnt(16)
	v_lshlrev_b32_e32 v47, 16, v47
	s_waitcnt lgkmcnt(3)
	v_fmac_f32_e32 v26, v55, v56
	v_add_co_u32 v55, vcc_lo, v58, s30
	v_add_co_ci_u32_e64 v56, null, s31, v59, vcc_lo
	v_add_f32_e32 v43, v43, v46
	s_waitcnt lgkmcnt(1)
	v_fmac_f32_e32 v26, v54, v57
	ds_bpermute_b32 v54, v9, v42
	v_add_co_u32 v57, vcc_lo, v60, s30
	v_add_co_ci_u32_e64 v58, null, s31, v61, vcc_lo
	v_add_co_u32 v59, vcc_lo, v55, s30
	global_load_ushort v73, v[55:56], off
	ds_bpermute_b32 v55, v11, v41
	s_waitcnt vmcnt(15)
	v_lshlrev_b32_e32 v48, 16, v48
	v_add_co_ci_u32_e64 v60, null, s31, v56, vcc_lo
	ds_bpermute_b32 v56, v12, v41
	s_waitcnt vmcnt(13)
	v_lshlrev_b32_e32 v49, 16, v49
	global_load_ushort v74, v[57:58], off
	global_load_ushort v75, v[59:60], off
	s_waitcnt lgkmcnt(2)
	v_sub_f32_e32 v52, v52, v54
	ds_bpermute_b32 v54, v9, v41
	v_mul_f32_e32 v52, v52, v46
	s_waitcnt lgkmcnt(0)
	v_fmac_f32_e32 v26, v52, v54
	ds_bpermute_b32 v52, v10, v42
	ds_bpermute_b32 v54, v10, v41
	s_waitcnt lgkmcnt(1)
	v_sub_f32_e32 v52, v47, v52
	v_lshlrev_b32_e32 v47, 16, v51
	v_mul_f32_e32 v51, v52, v47
	v_add_f32_e32 v43, v43, v47
	ds_bpermute_b32 v47, v32, v41
	s_waitcnt lgkmcnt(1)
	v_fmac_f32_e32 v26, v51, v54
	ds_bpermute_b32 v54, v11, v42
	v_add_co_u32 v51, vcc_lo, v57, s30
	v_add_co_ci_u32_e64 v52, null, s31, v58, vcc_lo
	global_load_ushort v76, v[51:52], off
	s_waitcnt lgkmcnt(0)
	v_sub_f32_e32 v54, v48, v54
	v_lshlrev_b32_e32 v48, 16, v50
	v_mul_f32_e32 v50, v54, v48
	v_add_co_u32 v54, vcc_lo, v59, s30
	v_add_f32_e32 v43, v43, v48
	ds_bpermute_b32 v48, v34, v42
	v_fmac_f32_e32 v26, v50, v55
	ds_bpermute_b32 v50, v12, v42
	v_add_co_ci_u32_e64 v55, null, s31, v60, vcc_lo
	ds_bpermute_b32 v60, v17, v41
	s_waitcnt lgkmcnt(1)
	v_sub_f32_e32 v50, v49, v50
	s_waitcnt vmcnt(15)
	v_lshlrev_b32_e32 v49, 16, v53
	ds_bpermute_b32 v53, v14, v41
	v_mul_f32_e32 v50, v50, v49
	v_add_f32_e32 v43, v43, v49
	ds_bpermute_b32 v49, v33, v41
	v_fmac_f32_e32 v26, v50, v56
	ds_bpermute_b32 v50, v13, v42
	v_add_co_u32 v56, vcc_lo, v51, s30
	v_add_co_ci_u32_e64 v57, null, s31, v52, vcc_lo
	ds_bpermute_b32 v52, v13, v41
	s_waitcnt vmcnt(14)
	v_lshlrev_b32_e32 v51, 16, v65
	v_add_co_u32 v58, vcc_lo, v54, s30
	global_load_ushort v65, v[56:57], off
	v_add_co_ci_u32_e64 v59, null, s31, v55, vcc_lo
	s_waitcnt lgkmcnt(1)
	v_sub_f32_e32 v51, v51, v50
	s_waitcnt vmcnt(14)
	v_lshlrev_b32_e32 v50, 16, v64
	global_load_ushort v64, v[54:55], off
	v_add_co_u32 v54, vcc_lo, v56, s30
	ds_bpermute_b32 v56, v15, v41
	v_mul_f32_e32 v51, v51, v50
	v_add_co_ci_u32_e64 v55, null, s31, v57, vcc_lo
	v_add_f32_e32 v43, v43, v50
	s_waitcnt lgkmcnt(1)
	v_fmac_f32_e32 v26, v51, v52
	ds_bpermute_b32 v51, v14, v42
	s_waitcnt vmcnt(14)
	v_lshlrev_b32_e32 v52, 16, v66
	global_load_ushort v66, v[58:59], off
	s_waitcnt lgkmcnt(0)
	v_sub_f32_e32 v52, v52, v51
	s_waitcnt vmcnt(14)
	v_lshlrev_b32_e32 v51, 16, v67
	v_mul_f32_e32 v52, v52, v51
	v_add_f32_e32 v43, v43, v51
	v_fmac_f32_e32 v26, v52, v53
	ds_bpermute_b32 v52, v15, v42
	s_waitcnt vmcnt(13)
	v_lshlrev_b32_e32 v53, 16, v69
	s_waitcnt lgkmcnt(0)
	v_sub_f32_e32 v53, v53, v52
	s_waitcnt vmcnt(12)
	v_lshlrev_b32_e32 v52, 16, v68
	v_mul_f32_e32 v53, v53, v52
	v_add_f32_e32 v43, v43, v52
	v_fmac_f32_e32 v26, v53, v56
	ds_bpermute_b32 v53, v16, v42
	v_add_co_u32 v56, vcc_lo, v58, s30
	v_add_co_ci_u32_e64 v57, null, s31, v59, vcc_lo
	s_waitcnt vmcnt(11)
	v_lshlrev_b32_e32 v58, 16, v62
	ds_bpermute_b32 v59, v16, v41
	global_load_ushort v62, v[54:55], off
	s_waitcnt lgkmcnt(1)
	v_sub_f32_e32 v58, v58, v53
	s_waitcnt vmcnt(11)
	v_lshlrev_b32_e32 v53, 16, v63
	global_load_ushort v63, v[56:57], off
	v_mul_f32_e32 v58, v58, v53
	v_add_f32_e32 v43, v43, v53
	s_waitcnt lgkmcnt(0)
	v_fmac_f32_e32 v26, v58, v59
	v_add_co_u32 v58, vcc_lo, v54, s30
	v_add_co_ci_u32_e64 v59, null, s31, v55, vcc_lo
	ds_bpermute_b32 v54, v17, v42
	s_waitcnt vmcnt(11)
	v_lshlrev_b32_e32 v55, 16, v70
	global_load_ushort v68, v[58:59], off
	s_waitcnt lgkmcnt(0)
	v_sub_f32_e32 v55, v55, v54
	s_waitcnt vmcnt(11)
	v_lshlrev_b32_e32 v54, 16, v71
	v_mul_f32_e32 v55, v55, v54
	v_add_f32_e32 v43, v43, v54
	v_fmac_f32_e32 v26, v55, v60
	ds_bpermute_b32 v55, v18, v42
	v_add_co_u32 v60, vcc_lo, v56, s30
	s_waitcnt vmcnt(10)
	v_lshlrev_b32_e32 v56, 16, v72
	v_add_co_ci_u32_e64 v61, null, s31, v57, vcc_lo
	ds_bpermute_b32 v57, v19, v42
	s_waitcnt lgkmcnt(1)
	v_sub_f32_e32 v55, v56, v55
	ds_bpermute_b32 v56, v18, v41
	s_waitcnt vmcnt(9)
	v_lshlrev_b32_e32 v67, 16, v73
	v_mul_f32_e32 v55, v55, v67
	v_add_f32_e32 v43, v43, v67
	s_waitcnt vmcnt(7)
	v_lshlrev_b32_e32 v69, 16, v75
	v_add_f32_e32 v43, v43, v69
	s_waitcnt lgkmcnt(0)
	v_fmac_f32_e32 v26, v55, v56
	v_add_co_u32 v55, vcc_lo, v58, s30
	v_lshlrev_b32_e32 v58, 16, v74
	v_add_co_ci_u32_e64 v56, null, s31, v59, vcc_lo
	ds_bpermute_b32 v59, v20, v42
	v_sub_f32_e32 v57, v58, v57
	ds_bpermute_b32 v58, v19, v41
	global_load_ushort v70, v[55:56], off
	v_mul_f32_e32 v57, v57, v69
	s_waitcnt lgkmcnt(0)
	v_fmac_f32_e32 v26, v57, v58
	v_add_co_u32 v57, vcc_lo, v60, s30
	v_add_co_ci_u32_e64 v58, null, s31, v61, vcc_lo
	global_load_ushort v61, v[60:61], off
	s_waitcnt vmcnt(8)
	v_lshlrev_b32_e32 v60, 16, v76
	v_sub_f32_e32 v59, v60, v59
	ds_bpermute_b32 v60, v20, v41
	s_waitcnt vmcnt(6)
	v_lshlrev_b32_e32 v64, 16, v64
	v_mul_f32_e32 v59, v59, v64
	v_add_f32_e32 v43, v43, v64
	s_waitcnt lgkmcnt(0)
	v_fmac_f32_e32 v26, v59, v60
	v_add_co_u32 v59, vcc_lo, v55, s30
	ds_bpermute_b32 v55, v21, v42
	v_add_co_ci_u32_e64 v60, null, s31, v56, vcc_lo
	v_lshlrev_b32_e32 v56, 16, v65
	s_waitcnt vmcnt(5)
	v_lshlrev_b32_e32 v65, 16, v66
	global_load_ushort v66, v[57:58], off
	v_add_f32_e32 v43, v43, v65
	s_waitcnt lgkmcnt(0)
	v_sub_f32_e32 v55, v56, v55
	ds_bpermute_b32 v56, v21, v41
	v_mul_f32_e32 v55, v55, v65
	s_waitcnt lgkmcnt(0)
	v_fmac_f32_e32 v26, v55, v56
	v_add_co_u32 v55, vcc_lo, v57, s30
	ds_bpermute_b32 v57, v22, v42
	v_add_co_ci_u32_e64 v56, null, s31, v58, vcc_lo
	s_waitcnt vmcnt(5)
	v_lshlrev_b32_e32 v58, 16, v62
	s_waitcnt lgkmcnt(0)
	v_sub_f32_e32 v57, v58, v57
	ds_bpermute_b32 v58, v22, v41
	s_waitcnt vmcnt(4)
	v_lshlrev_b32_e32 v62, 16, v63
	global_load_ushort v63, v[59:60], off
	v_mul_f32_e32 v57, v57, v62
	v_add_f32_e32 v43, v43, v62
	s_waitcnt lgkmcnt(0)
	v_fmac_f32_e32 v26, v57, v58
	v_add_co_u32 v57, vcc_lo, v59, s30
	v_add_co_ci_u32_e64 v58, null, s31, v60, vcc_lo
	ds_bpermute_b32 v59, v23, v42
	s_waitcnt vmcnt(4)
	v_lshlrev_b32_e32 v60, 16, v68
	global_load_ushort v68, v[55:56], off
	s_waitcnt lgkmcnt(0)
	v_sub_f32_e32 v59, v60, v59
	ds_bpermute_b32 v60, v23, v41
	s_waitcnt vmcnt(3)
	v_lshlrev_b32_e32 v61, 16, v61
	v_mul_f32_e32 v59, v59, v61
	v_add_f32_e32 v43, v43, v61
	s_waitcnt lgkmcnt(0)
	v_fmac_f32_e32 v26, v59, v60
	v_add_co_u32 v59, vcc_lo, v55, s30
	ds_bpermute_b32 v55, v24, v42
	v_add_co_ci_u32_e64 v60, null, s31, v56, vcc_lo
	v_lshlrev_b32_e32 v56, 16, v70
	global_load_ushort v70, v[57:58], off
	s_waitcnt lgkmcnt(0)
	v_sub_f32_e32 v55, v56, v55
	ds_bpermute_b32 v56, v24, v41
	s_waitcnt vmcnt(3)
	v_lshlrev_b32_e32 v66, 16, v66
	v_mul_f32_e32 v55, v55, v66
	v_add_f32_e32 v43, v43, v66
	s_waitcnt lgkmcnt(0)
	v_fmac_f32_e32 v26, v55, v56
	v_add_co_u32 v55, vcc_lo, v57, s30
	ds_bpermute_b32 v57, v25, v42
	v_add_co_ci_u32_e64 v56, null, s31, v58, vcc_lo
	s_waitcnt vmcnt(2)
	v_lshlrev_b32_e32 v58, 16, v63
	s_waitcnt lgkmcnt(0)
	v_sub_f32_e32 v57, v58, v57
	ds_bpermute_b32 v58, v25, v41
	s_waitcnt vmcnt(1)
	v_lshlrev_b32_e32 v63, 16, v68
	v_mul_f32_e32 v57, v57, v63
	v_add_f32_e32 v43, v43, v63
	s_waitcnt lgkmcnt(0)
	v_fmac_f32_e32 v26, v57, v58
	v_add_co_u32 v57, vcc_lo, v59, s30
	global_load_ushort v59, v[59:60], off
	v_add_co_ci_u32_e64 v58, null, s31, v60, vcc_lo
	ds_bpermute_b32 v60, v27, v42
	s_waitcnt vmcnt(1)
	v_lshlrev_b32_e32 v68, 16, v70
	s_waitcnt lgkmcnt(0)
	v_sub_f32_e32 v60, v68, v60
	ds_bpermute_b32 v68, v27, v41
	s_waitcnt vmcnt(0)
	v_lshlrev_b32_e32 v70, 16, v59
	v_mul_f32_e32 v59, v60, v70
	v_add_f32_e32 v43, v43, v70
	s_waitcnt lgkmcnt(0)
	v_fmac_f32_e32 v26, v59, v68
	global_load_ushort v68, v[55:56], off
	v_add_co_u32 v59, vcc_lo, v55, s30
	v_add_co_ci_u32_e64 v60, null, s31, v56, vcc_lo
	v_add_co_u32 v55, vcc_lo, v57, s30
	global_load_ushort v57, v[57:58], off
	v_add_co_ci_u32_e64 v56, null, s31, v58, vcc_lo
	global_load_ushort v71, v[59:60], off
	s_waitcnt vmcnt(2)
	v_lshlrev_b32_e32 v58, 16, v68
	ds_bpermute_b32 v68, v28, v42
	s_waitcnt lgkmcnt(0)
	v_sub_f32_e32 v58, v58, v68
	s_waitcnt vmcnt(1)
	v_lshlrev_b32_e32 v68, 16, v57
	v_mul_f32_e32 v57, v58, v68
	ds_bpermute_b32 v58, v28, v41
	v_add_f32_e32 v43, v43, v68
	s_waitcnt lgkmcnt(0)
	v_fmac_f32_e32 v26, v57, v58
	v_add_co_u32 v57, vcc_lo, v59, s30
	v_add_co_ci_u32_e64 v58, null, s31, v60, vcc_lo
	v_add_co_u32 v59, vcc_lo, v55, s30
	global_load_ushort v55, v[55:56], off
	v_add_co_ci_u32_e64 v60, null, s31, v56, vcc_lo
	s_waitcnt vmcnt(1)
	v_lshlrev_b32_e32 v56, 16, v71
	ds_bpermute_b32 v71, v29, v42
	global_load_ushort v72, v[57:58], off
	s_waitcnt lgkmcnt(0)
	v_sub_f32_e32 v56, v56, v71
	s_waitcnt vmcnt(1)
	v_lshlrev_b32_e32 v71, 16, v55
	v_mul_f32_e32 v55, v56, v71
	ds_bpermute_b32 v56, v29, v41
	v_add_f32_e32 v43, v43, v71
	s_waitcnt lgkmcnt(0)
	v_fmac_f32_e32 v26, v55, v56
	v_add_co_u32 v55, vcc_lo, v57, s30
	v_add_co_ci_u32_e64 v56, null, s31, v58, vcc_lo
	v_add_co_u32 v57, vcc_lo, v59, s30
	global_load_ushort v59, v[59:60], off
	v_add_co_ci_u32_e64 v58, null, s31, v60, vcc_lo
	s_waitcnt vmcnt(1)
	v_lshlrev_b32_e32 v60, 16, v72
	ds_bpermute_b32 v72, v30, v42
	global_load_ushort v73, v[55:56], off
	;; [unrolled: 18-line block ×3, first 2 shown]
	global_load_ushort v75, v[55:56], off
	s_waitcnt lgkmcnt(0)
	v_sub_f32_e32 v58, v58, v73
	s_waitcnt vmcnt(2)
	v_lshlrev_b32_e32 v73, 16, v57
	v_mul_f32_e32 v57, v58, v73
	ds_bpermute_b32 v58, v31, v41
	s_waitcnt vmcnt(1)
	v_lshlrev_b32_e32 v46, 16, v74
	v_add_f32_e32 v43, v43, v73
	v_sub_f32_e32 v44, v46, v44
	s_waitcnt vmcnt(0)
	v_lshlrev_b32_e32 v46, 16, v75
	v_mul_f32_e32 v44, v44, v46
	v_add_f32_e32 v43, v43, v46
	ds_bpermute_b32 v46, v36, v41
	s_waitcnt lgkmcnt(1)
	v_fmac_f32_e32 v26, v57, v58
	v_add_co_u32 v57, vcc_lo, v59, s30
	v_add_co_ci_u32_e64 v58, null, s31, v60, vcc_lo
	v_add_co_u32 v59, vcc_lo, v55, s30
	v_add_co_ci_u32_e64 v60, null, s31, v56, vcc_lo
	global_load_ushort v76, v[57:58], off
	v_add_co_u32 v55, vcc_lo, v57, s30
	v_add_co_ci_u32_e64 v56, null, s31, v58, vcc_lo
	global_load_ushort v77, v[59:60], off
	;; [unrolled: 3-line block ×3, first 2 shown]
	v_add_co_u32 v59, vcc_lo, v55, s30
	global_load_ushort v79, v[57:58], off
	v_add_co_ci_u32_e64 v60, null, s31, v56, vcc_lo
	v_add_co_u32 v55, vcc_lo, v57, s30
	v_add_co_ci_u32_e64 v56, null, s31, v58, vcc_lo
	global_load_ushort v81, v[59:60], off
	v_add_co_u32 v57, vcc_lo, v55, s30
	v_add_co_ci_u32_e64 v58, null, s31, v56, vcc_lo
	global_load_ushort v80, v[55:56], off
	v_add_co_u32 v55, vcc_lo, v59, s30
	v_add_co_ci_u32_e64 v56, null, s31, v60, vcc_lo
	v_add_co_u32 v59, vcc_lo, v57, s30
	v_add_co_ci_u32_e64 v60, null, s31, v58, vcc_lo
	global_load_ushort v82, v[57:58], off
	v_add_co_u32 v57, vcc_lo, v55, s30
	v_add_co_ci_u32_e64 v58, null, s31, v56, vcc_lo
	global_load_ushort v83, v[55:56], off
	;; [unrolled: 3-line block ×6, first 2 shown]
	global_load_ushort v55, v[55:56], off
	global_load_ushort v56, v[57:58], off
	v_fmac_f32_e32 v26, v44, v47
	ds_bpermute_b32 v60, v38, v41
	v_add_co_u32 v2, vcc_lo, v2, s4
	v_add_co_ci_u32_e64 v40, null, s5, v40, vcc_lo
	v_add_co_u32 v6, vcc_lo, v6, s28
	v_add_co_ci_u32_e64 v7, null, s29, v7, vcc_lo
	;; [unrolled: 2-line block ×3, first 2 shown]
	s_and_b32 vcc_lo, exec_lo, s0
	s_waitcnt vmcnt(13)
	v_lshlrev_b32_e32 v50, 16, v76
	v_sub_f32_e32 v45, v50, v45
	ds_bpermute_b32 v50, v34, v41
	s_waitcnt vmcnt(12)
	v_lshlrev_b32_e32 v51, 16, v77
	s_waitcnt vmcnt(11)
	v_lshlrev_b32_e32 v52, 16, v78
	v_mul_f32_e32 v44, v45, v51
	ds_bpermute_b32 v45, v35, v42
	v_add_f32_e32 v43, v43, v51
	v_sub_f32_e32 v47, v52, v48
	s_waitcnt vmcnt(10)
	v_lshlrev_b32_e32 v48, 16, v79
	v_fmac_f32_e32 v26, v44, v49
	ds_bpermute_b32 v51, v37, v41
	s_waitcnt vmcnt(9)
	v_lshlrev_b32_e32 v49, 16, v81
	v_mul_f32_e32 v44, v47, v48
	ds_bpermute_b32 v47, v36, v42
	v_add_f32_e32 v43, v43, v48
	s_waitcnt vmcnt(8)
	v_lshlrev_b32_e32 v52, 16, v80
	s_waitcnt lgkmcnt(3)
	v_fmac_f32_e32 v26, v44, v50
	ds_bpermute_b32 v44, v35, v41
	ds_bpermute_b32 v50, v37, v42
	;; [unrolled: 1-line block ×3, first 2 shown]
	v_add_f32_e32 v43, v43, v52
	s_waitcnt lgkmcnt(5)
	v_sub_f32_e32 v45, v49, v45
	ds_bpermute_b32 v49, v38, v42
	ds_bpermute_b32 v42, v39, v42
	s_waitcnt vmcnt(7)
	v_lshlrev_b32_e32 v53, 16, v82
	v_mul_f32_e32 v45, v45, v52
	s_waitcnt vmcnt(6)
	v_lshlrev_b32_e32 v54, 16, v83
	v_add_f32_e32 v43, v43, v53
	s_waitcnt lgkmcnt(5)
	v_sub_f32_e32 v47, v54, v47
	s_waitcnt vmcnt(5)
	v_lshlrev_b32_e32 v57, 16, v84
	s_waitcnt lgkmcnt(4)
	v_fmac_f32_e32 v26, v45, v44
	s_waitcnt vmcnt(4)
	v_lshlrev_b32_e32 v58, 16, v85
	v_mul_f32_e32 v44, v47, v53
	v_add_f32_e32 v43, v43, v57
	s_waitcnt lgkmcnt(3)
	v_sub_f32_e32 v45, v58, v50
	s_waitcnt vmcnt(3)
	v_lshlrev_b32_e32 v54, 16, v86
	v_fmac_f32_e32 v26, v44, v46
	s_waitcnt vmcnt(2)
	v_lshlrev_b32_e32 v47, 16, v59
	v_mul_f32_e32 v44, v45, v57
	s_waitcnt vmcnt(1)
	v_lshlrev_b32_e32 v46, 16, v55
	v_add_f32_e32 v43, v43, v54
	s_waitcnt lgkmcnt(1)
	v_sub_f32_e32 v45, v47, v49
	s_waitcnt vmcnt(0)
	v_lshlrev_b32_e32 v47, 16, v56
	v_fmac_f32_e32 v26, v44, v51
	s_waitcnt lgkmcnt(0)
	v_sub_f32_e32 v42, v46, v42
	v_mul_f32_e32 v44, v45, v54
	v_add_f32_e32 v43, v43, v47
	v_mul_f32_e32 v42, v42, v47
	v_fmac_f32_e32 v26, v44, v60
	v_fmac_f32_e32 v26, v42, v41
	s_cbranch_vccz .LBB106_8
.LBB106_6:                              ; =>This Inner Loop Header: Depth=1
	v_mov_b32_e32 v41, 0
	v_mov_b32_e32 v42, 0
	s_mov_b32 s0, exec_lo
	v_cmpx_gt_i64_e64 s[16:17], v[4:5]
	s_cbranch_execz .LBB106_5
; %bb.7:                                ;   in Loop: Header=BB106_6 Depth=1
	v_add_co_u32 v41, vcc_lo, s12, v6
	v_add_co_ci_u32_e64 v42, null, s13, v7, vcc_lo
	v_add_co_u32 v44, vcc_lo, s14, v6
	v_add_co_ci_u32_e64 v45, null, s15, v7, vcc_lo
	global_load_dword v42, v[41:42], off
	global_load_dword v41, v[44:45], off
	s_branch .LBB106_5
.LBB106_8:
	s_load_dword s0, s[24:25], 0xc
	v_mov_b32_e32 v2, 0
	s_waitcnt lgkmcnt(0)
	s_lshr_b32 s0, s0, 16
	v_mad_u64_u32 v[2:3], null, s0, s7, v[1:2]
	s_mov_b32 s7, 0
	s_lshl_b64 s[0:1], s[6:7], 5
	s_cmp_eq_u64 s[20:21], 0
	v_or_b32_e32 v0, s0, v0
	v_mov_b32_e32 v1, s1
	v_mul_lo_u32 v3, v3, s18
	v_mul_lo_u32 v4, v2, s19
	v_lshlrev_b64 v[0:1], 1, v[0:1]
	s_cbranch_scc1 .LBB106_10
; %bb.9:
	v_mad_u64_u32 v[5:6], null, v2, s18, 0
	v_bfe_u32 v7, v26, 16, 1
	v_cmp_o_f32_e32 vcc_lo, v26, v26
	v_mov_b32_e32 v8, 0x7fc0
	v_add3_u32 v7, v26, v7, 0x7fff
	v_add3_u32 v6, v6, v4, v3
	v_cndmask_b32_sdwa v7, v8, v7, vcc_lo dst_sel:DWORD dst_unused:UNUSED_PAD src0_sel:DWORD src1_sel:WORD_1
	v_lshlrev_b64 v[5:6], 1, v[5:6]
	v_add_co_u32 v5, s0, s20, v5
	v_add_co_ci_u32_e64 v6, null, s21, v6, s0
	v_add_co_u32 v5, vcc_lo, v5, v0
	v_add_co_ci_u32_e64 v6, null, v6, v1, vcc_lo
	global_store_short v[5:6], v7, off
.LBB106_10:
	s_cmp_eq_u64 s[22:23], 0
	s_cbranch_scc1 .LBB106_12
; %bb.11:
	v_mad_u64_u32 v[5:6], null, v2, s18, 0
	v_cmp_o_f32_e32 vcc_lo, v43, v43
	v_add3_u32 v6, v6, v4, v3
	v_bfe_u32 v4, v43, 16, 1
	v_lshlrev_b64 v[2:3], 1, v[5:6]
	v_mov_b32_e32 v5, 0x7fc0
	v_add3_u32 v4, v43, v4, 0x7fff
	v_add_co_u32 v2, s0, s22, v2
	v_add_co_ci_u32_e64 v3, null, s23, v3, s0
	v_cndmask_b32_sdwa v4, v5, v4, vcc_lo dst_sel:DWORD dst_unused:UNUSED_PAD src0_sel:DWORD src1_sel:WORD_1
	v_add_co_u32 v0, vcc_lo, v2, v0
	v_add_co_ci_u32_e64 v1, null, v3, v1, vcc_lo
	global_store_short v[0:1], v4, off
.LBB106_12:
	s_endpgm
	.section	.rodata,"a",@progbits
	.p2align	6, 0x0
	.amdhsa_kernel _ZN2at6native12_GLOBAL__N_135GammaBetaBackwardCUDAKernelTemplateIN3c108BFloat16EfLj32ELj1ELj32ELb1ELb1ELb0EEEvllPKT_S7_PKT0_SA_PS5_SB_
		.amdhsa_group_segment_fixed_size 0
		.amdhsa_private_segment_fixed_size 0
		.amdhsa_kernarg_size 320
		.amdhsa_user_sgpr_count 6
		.amdhsa_user_sgpr_private_segment_buffer 1
		.amdhsa_user_sgpr_dispatch_ptr 0
		.amdhsa_user_sgpr_queue_ptr 0
		.amdhsa_user_sgpr_kernarg_segment_ptr 1
		.amdhsa_user_sgpr_dispatch_id 0
		.amdhsa_user_sgpr_flat_scratch_init 0
		.amdhsa_user_sgpr_private_segment_size 0
		.amdhsa_wavefront_size32 1
		.amdhsa_uses_dynamic_stack 0
		.amdhsa_system_sgpr_private_segment_wavefront_offset 0
		.amdhsa_system_sgpr_workgroup_id_x 1
		.amdhsa_system_sgpr_workgroup_id_y 1
		.amdhsa_system_sgpr_workgroup_id_z 0
		.amdhsa_system_sgpr_workgroup_info 0
		.amdhsa_system_vgpr_workitem_id 1
		.amdhsa_next_free_vgpr 87
		.amdhsa_next_free_sgpr 32
		.amdhsa_reserve_vcc 1
		.amdhsa_reserve_flat_scratch 0
		.amdhsa_float_round_mode_32 0
		.amdhsa_float_round_mode_16_64 0
		.amdhsa_float_denorm_mode_32 3
		.amdhsa_float_denorm_mode_16_64 3
		.amdhsa_dx10_clamp 1
		.amdhsa_ieee_mode 1
		.amdhsa_fp16_overflow 0
		.amdhsa_workgroup_processor_mode 1
		.amdhsa_memory_ordered 1
		.amdhsa_forward_progress 1
		.amdhsa_shared_vgpr_count 0
		.amdhsa_exception_fp_ieee_invalid_op 0
		.amdhsa_exception_fp_denorm_src 0
		.amdhsa_exception_fp_ieee_div_zero 0
		.amdhsa_exception_fp_ieee_overflow 0
		.amdhsa_exception_fp_ieee_underflow 0
		.amdhsa_exception_fp_ieee_inexact 0
		.amdhsa_exception_int_div_zero 0
	.end_amdhsa_kernel
	.section	.text._ZN2at6native12_GLOBAL__N_135GammaBetaBackwardCUDAKernelTemplateIN3c108BFloat16EfLj32ELj1ELj32ELb1ELb1ELb0EEEvllPKT_S7_PKT0_SA_PS5_SB_,"axG",@progbits,_ZN2at6native12_GLOBAL__N_135GammaBetaBackwardCUDAKernelTemplateIN3c108BFloat16EfLj32ELj1ELj32ELb1ELb1ELb0EEEvllPKT_S7_PKT0_SA_PS5_SB_,comdat
.Lfunc_end106:
	.size	_ZN2at6native12_GLOBAL__N_135GammaBetaBackwardCUDAKernelTemplateIN3c108BFloat16EfLj32ELj1ELj32ELb1ELb1ELb0EEEvllPKT_S7_PKT0_SA_PS5_SB_, .Lfunc_end106-_ZN2at6native12_GLOBAL__N_135GammaBetaBackwardCUDAKernelTemplateIN3c108BFloat16EfLj32ELj1ELj32ELb1ELb1ELb0EEEvllPKT_S7_PKT0_SA_PS5_SB_
                                        ; -- End function
	.set _ZN2at6native12_GLOBAL__N_135GammaBetaBackwardCUDAKernelTemplateIN3c108BFloat16EfLj32ELj1ELj32ELb1ELb1ELb0EEEvllPKT_S7_PKT0_SA_PS5_SB_.num_vgpr, 87
	.set _ZN2at6native12_GLOBAL__N_135GammaBetaBackwardCUDAKernelTemplateIN3c108BFloat16EfLj32ELj1ELj32ELb1ELb1ELb0EEEvllPKT_S7_PKT0_SA_PS5_SB_.num_agpr, 0
	.set _ZN2at6native12_GLOBAL__N_135GammaBetaBackwardCUDAKernelTemplateIN3c108BFloat16EfLj32ELj1ELj32ELb1ELb1ELb0EEEvllPKT_S7_PKT0_SA_PS5_SB_.numbered_sgpr, 32
	.set _ZN2at6native12_GLOBAL__N_135GammaBetaBackwardCUDAKernelTemplateIN3c108BFloat16EfLj32ELj1ELj32ELb1ELb1ELb0EEEvllPKT_S7_PKT0_SA_PS5_SB_.num_named_barrier, 0
	.set _ZN2at6native12_GLOBAL__N_135GammaBetaBackwardCUDAKernelTemplateIN3c108BFloat16EfLj32ELj1ELj32ELb1ELb1ELb0EEEvllPKT_S7_PKT0_SA_PS5_SB_.private_seg_size, 0
	.set _ZN2at6native12_GLOBAL__N_135GammaBetaBackwardCUDAKernelTemplateIN3c108BFloat16EfLj32ELj1ELj32ELb1ELb1ELb0EEEvllPKT_S7_PKT0_SA_PS5_SB_.uses_vcc, 1
	.set _ZN2at6native12_GLOBAL__N_135GammaBetaBackwardCUDAKernelTemplateIN3c108BFloat16EfLj32ELj1ELj32ELb1ELb1ELb0EEEvllPKT_S7_PKT0_SA_PS5_SB_.uses_flat_scratch, 0
	.set _ZN2at6native12_GLOBAL__N_135GammaBetaBackwardCUDAKernelTemplateIN3c108BFloat16EfLj32ELj1ELj32ELb1ELb1ELb0EEEvllPKT_S7_PKT0_SA_PS5_SB_.has_dyn_sized_stack, 0
	.set _ZN2at6native12_GLOBAL__N_135GammaBetaBackwardCUDAKernelTemplateIN3c108BFloat16EfLj32ELj1ELj32ELb1ELb1ELb0EEEvllPKT_S7_PKT0_SA_PS5_SB_.has_recursion, 0
	.set _ZN2at6native12_GLOBAL__N_135GammaBetaBackwardCUDAKernelTemplateIN3c108BFloat16EfLj32ELj1ELj32ELb1ELb1ELb0EEEvllPKT_S7_PKT0_SA_PS5_SB_.has_indirect_call, 0
	.section	.AMDGPU.csdata,"",@progbits
; Kernel info:
; codeLenInByte = 4188
; TotalNumSgprs: 34
; NumVgprs: 87
; ScratchSize: 0
; MemoryBound: 0
; FloatMode: 240
; IeeeMode: 1
; LDSByteSize: 0 bytes/workgroup (compile time only)
; SGPRBlocks: 0
; VGPRBlocks: 10
; NumSGPRsForWavesPerEU: 34
; NumVGPRsForWavesPerEU: 87
; Occupancy: 10
; WaveLimiterHint : 0
; COMPUTE_PGM_RSRC2:SCRATCH_EN: 0
; COMPUTE_PGM_RSRC2:USER_SGPR: 6
; COMPUTE_PGM_RSRC2:TRAP_HANDLER: 0
; COMPUTE_PGM_RSRC2:TGID_X_EN: 1
; COMPUTE_PGM_RSRC2:TGID_Y_EN: 1
; COMPUTE_PGM_RSRC2:TGID_Z_EN: 0
; COMPUTE_PGM_RSRC2:TIDIG_COMP_CNT: 1
	.section	.text._ZN2at6native12_GLOBAL__N_135GammaBetaBackwardCUDAKernelTemplateIN3c108BFloat16EfLj32ELj1ELj32ELb1ELb0ELb0EEEvllPKT_S7_PKT0_SA_PS5_SB_,"axG",@progbits,_ZN2at6native12_GLOBAL__N_135GammaBetaBackwardCUDAKernelTemplateIN3c108BFloat16EfLj32ELj1ELj32ELb1ELb0ELb0EEEvllPKT_S7_PKT0_SA_PS5_SB_,comdat
	.globl	_ZN2at6native12_GLOBAL__N_135GammaBetaBackwardCUDAKernelTemplateIN3c108BFloat16EfLj32ELj1ELj32ELb1ELb0ELb0EEEvllPKT_S7_PKT0_SA_PS5_SB_ ; -- Begin function _ZN2at6native12_GLOBAL__N_135GammaBetaBackwardCUDAKernelTemplateIN3c108BFloat16EfLj32ELj1ELj32ELb1ELb0ELb0EEEvllPKT_S7_PKT0_SA_PS5_SB_
	.p2align	8
	.type	_ZN2at6native12_GLOBAL__N_135GammaBetaBackwardCUDAKernelTemplateIN3c108BFloat16EfLj32ELj1ELj32ELb1ELb0ELb0EEEvllPKT_S7_PKT0_SA_PS5_SB_,@function
_ZN2at6native12_GLOBAL__N_135GammaBetaBackwardCUDAKernelTemplateIN3c108BFloat16EfLj32ELj1ELj32ELb1ELb0ELb0EEEvllPKT_S7_PKT0_SA_PS5_SB_: ; @_ZN2at6native12_GLOBAL__N_135GammaBetaBackwardCUDAKernelTemplateIN3c108BFloat16EfLj32ELj1ELj32ELb1ELb0ELb0EEEvllPKT_S7_PKT0_SA_PS5_SB_
; %bb.0:
	s_mov_b64 s[38:39], s[2:3]
	s_mov_b64 s[36:37], s[0:1]
	s_mov_b32 s0, s7
	s_add_u32 s36, s36, s8
	s_clause 0x1
	s_load_dwordx8 s[8:15], s[4:5], 0x0
	s_load_dwordx4 s[16:19], s[4:5], 0x20
	s_addc_u32 s37, s37, 0
	s_lshl_b32 s7, s6, 5
	s_mov_b32 s21, 0
	s_or_b32 s20, s7, 31
	v_mov_b32_e32 v227, v0
	s_waitcnt lgkmcnt(0)
	v_cmp_le_i64_e64 s1, s[10:11], s[20:21]
	s_lshl_b32 s20, s0, 5
	v_cmp_gt_i64_e64 s28, s[8:9], s[20:21]
	s_and_b32 vcc_lo, exec_lo, s1
	v_cndmask_b32_e64 v0, 0, 1, s28
	v_cmp_ne_u32_e64 s1, 1, v0
	s_cbranch_vccz .LBB107_141
; %bb.1:
	v_mov_b32_e32 v203, 0
	v_mov_b32_e32 v201, 0
	s_and_b32 vcc_lo, exec_lo, s1
	s_cbranch_vccnz .LBB107_142
; %bb.2:
	v_lshlrev_b32_e32 v39, 5, v1
	v_mov_b32_e32 v2, 0
	v_add_nc_u32_e32 v9, s7, v227
	s_load_dword s2, s[4:5], 0x44
	s_add_u32 s22, s4, 64
	v_add_co_u32 v5, s1, v39, s20
	v_add_co_ci_u32_e64 v6, null, 0, 0, s1
	v_mov_b32_e32 v10, v2
	v_mul_lo_u32 v7, s11, v5
	v_mad_u64_u32 v[3:4], null, s10, v5, 0
	v_mul_lo_u32 v8, s10, v6
	v_cmp_gt_i64_e64 s1, s[10:11], v[9:10]
	v_lshlrev_b64 v[35:36], 1, v[9:10]
	s_addc_u32 s23, s5, 0
	v_mov_b32_e32 v40, v2
	v_mov_b32_e32 v201, 0
	v_mov_b32_e32 v167, 0
	s_mov_b64 s[26:27], s[20:21]
	v_add3_u32 v4, v4, v8, v7
	v_add_co_u32 v7, vcc_lo, v5, 31
	v_add_co_ci_u32_e64 v8, null, 0, v6, vcc_lo
	v_add_co_u32 v9, vcc_lo, v5, 30
	v_add_co_ci_u32_e64 v10, null, 0, v6, vcc_lo
	v_lshlrev_b64 v[15:16], 1, v[3:4]
	v_mul_lo_u32 v11, s11, v7
	v_mul_lo_u32 v12, s10, v8
	v_mad_u64_u32 v[7:8], null, s10, v7, 0
	v_mul_lo_u32 v13, s11, v9
	v_mul_lo_u32 v14, s10, v10
	v_mad_u64_u32 v[9:10], null, s10, v9, 0
	v_add_co_u32 v41, vcc_lo, s12, v15
	v_add_co_ci_u32_e64 v42, null, s13, v16, vcc_lo
	v_add_co_u32 v43, vcc_lo, s14, v15
	v_add3_u32 v8, v8, v12, v11
	v_add_co_ci_u32_e64 v44, null, s15, v16, vcc_lo
	v_add_co_u32 v11, vcc_lo, v5, 29
	v_add3_u32 v10, v10, v14, v13
	v_add_co_ci_u32_e64 v12, null, 0, v6, vcc_lo
	v_lshlrev_b64 v[15:16], 1, v[7:8]
	v_mul_lo_u32 v13, s11, v11
	v_lshlrev_b64 v[7:8], 1, v[9:10]
	v_mul_lo_u32 v12, s10, v12
	v_mad_u64_u32 v[9:10], null, s10, v11, 0
	v_add_co_u32 v45, vcc_lo, s12, v15
	v_add_co_ci_u32_e64 v46, null, s13, v16, vcc_lo
	v_add_co_u32 v47, vcc_lo, s14, v15
	v_add3_u32 v10, v10, v12, v13
	s_waitcnt lgkmcnt(0)
	s_lshl_b32 s29, s2, 5
	v_add_co_ci_u32_e64 v48, null, s15, v16, vcc_lo
	v_add_co_u32 v49, vcc_lo, s12, v7
	s_mul_i32 s2, s11, s29
	s_mul_hi_u32 s3, s10, s29
	v_add_co_ci_u32_e64 v50, null, s13, v8, vcc_lo
	v_add_co_u32 v11, vcc_lo, v5, 28
	s_add_i32 s25, s3, s2
	v_add_co_u32 v51, s2, s14, v7
	v_lshlrev_b64 v[15:16], 1, v[9:10]
	v_add_co_ci_u32_e64 v7, null, 0, v6, vcc_lo
	v_add_co_u32 v9, vcc_lo, v5, 27
	v_add_co_ci_u32_e64 v10, null, 0, v6, vcc_lo
	v_add_co_ci_u32_e64 v52, null, s15, v8, s2
	v_mul_lo_u32 v12, s11, v11
	v_mul_lo_u32 v13, s10, v7
	v_mad_u64_u32 v[7:8], null, s10, v11, 0
	v_mul_lo_u32 v11, s11, v9
	v_mul_lo_u32 v14, s10, v10
	v_mad_u64_u32 v[9:10], null, s10, v9, 0
	v_add_co_u32 v53, vcc_lo, s12, v15
	v_add_co_ci_u32_e64 v54, null, s13, v16, vcc_lo
	v_add_co_u32 v55, vcc_lo, s14, v15
	v_add_co_ci_u32_e64 v56, null, s15, v16, vcc_lo
	v_add3_u32 v10, v10, v14, v11
	v_add_co_u32 v11, vcc_lo, v5, 26
	v_add3_u32 v8, v8, v13, v12
	v_add_co_ci_u32_e64 v12, null, 0, v6, vcc_lo
	v_mul_lo_u32 v13, s11, v11
	s_mul_i32 s24, s10, s29
	v_lshlrev_b64 v[15:16], 1, v[7:8]
	v_lshlrev_b64 v[7:8], 1, v[9:10]
	v_mul_lo_u32 v12, s10, v12
	v_mad_u64_u32 v[9:10], null, s10, v11, 0
	v_add_co_u32 v57, vcc_lo, s12, v15
	v_add_co_ci_u32_e64 v58, null, s13, v16, vcc_lo
	v_add_co_u32 v59, vcc_lo, s14, v15
	v_add3_u32 v10, v10, v12, v13
	v_add_co_ci_u32_e64 v60, null, s15, v16, vcc_lo
	v_add_co_u32 v61, vcc_lo, s12, v7
	v_add_co_ci_u32_e64 v62, null, s13, v8, vcc_lo
	v_add_co_u32 v11, vcc_lo, v5, 25
	v_add_co_u32 v63, s2, s14, v7
	v_lshlrev_b64 v[15:16], 1, v[9:10]
	v_add_co_ci_u32_e64 v7, null, 0, v6, vcc_lo
	v_add_co_u32 v9, vcc_lo, v5, 24
	v_add_co_ci_u32_e64 v10, null, 0, v6, vcc_lo
	v_add_co_ci_u32_e64 v64, null, s15, v8, s2
	v_mul_lo_u32 v12, s11, v11
	v_mul_lo_u32 v13, s10, v7
	v_mad_u64_u32 v[7:8], null, s10, v11, 0
	v_mul_lo_u32 v11, s11, v9
	v_mul_lo_u32 v14, s10, v10
	v_mad_u64_u32 v[9:10], null, s10, v9, 0
	v_add_co_u32 v65, vcc_lo, s12, v15
	v_add_co_ci_u32_e64 v66, null, s13, v16, vcc_lo
	v_add_co_u32 v67, vcc_lo, s14, v15
	v_add_co_ci_u32_e64 v68, null, s15, v16, vcc_lo
	v_add3_u32 v10, v10, v14, v11
	v_add_co_u32 v11, vcc_lo, v5, 23
	v_add3_u32 v8, v8, v13, v12
	v_add_co_ci_u32_e64 v12, null, 0, v6, vcc_lo
	v_mul_lo_u32 v13, s11, v11
	v_lshlrev_b64 v[15:16], 1, v[7:8]
	v_lshlrev_b64 v[7:8], 1, v[9:10]
	v_mul_lo_u32 v12, s10, v12
	v_mad_u64_u32 v[9:10], null, s10, v11, 0
	v_add_co_u32 v69, vcc_lo, s12, v15
	v_add_co_ci_u32_e64 v70, null, s13, v16, vcc_lo
	v_add_co_u32 v71, vcc_lo, s14, v15
	v_add3_u32 v10, v10, v12, v13
	v_add_co_ci_u32_e64 v72, null, s15, v16, vcc_lo
	v_add_co_u32 v73, vcc_lo, s12, v7
	v_add_co_ci_u32_e64 v74, null, s13, v8, vcc_lo
	v_add_co_u32 v11, vcc_lo, v5, 22
	v_add_co_u32 v0, s2, s14, v7
	v_add_co_ci_u32_e64 v226, null, s15, v8, s2
	v_lshlrev_b64 v[7:8], 1, v[9:10]
	v_add_co_ci_u32_e64 v9, null, 0, v6, vcc_lo
	v_add_co_u32 v12, vcc_lo, v5, 21
	v_add_co_ci_u32_e64 v14, null, 0, v6, vcc_lo
	v_mul_lo_u32 v13, s11, v11
	v_mul_lo_u32 v15, s10, v9
	v_mad_u64_u32 v[9:10], null, s10, v11, 0
	v_mul_lo_u32 v16, s11, v12
	v_mul_lo_u32 v14, s10, v14
	v_mad_u64_u32 v[11:12], null, s10, v12, 0
	v_add_co_u32 v75, vcc_lo, s12, v7
	v_add_co_ci_u32_e64 v76, null, s13, v8, vcc_lo
	v_add_co_u32 v77, vcc_lo, s14, v7
	v_add3_u32 v10, v10, v15, v13
	v_add_co_ci_u32_e64 v78, null, s15, v8, vcc_lo
	v_add_co_u32 v13, vcc_lo, v5, 20
	v_add3_u32 v12, v12, v14, v16
	v_add_co_ci_u32_e64 v14, null, 0, v6, vcc_lo
	v_lshlrev_b64 v[7:8], 1, v[9:10]
	v_mul_lo_u32 v15, s11, v13
	v_lshlrev_b64 v[9:10], 1, v[11:12]
	v_mul_lo_u32 v14, s10, v14
	v_mad_u64_u32 v[11:12], null, s10, v13, 0
	v_add_co_u32 v79, vcc_lo, s12, v7
	v_add_co_ci_u32_e64 v80, null, s13, v8, vcc_lo
	v_add_co_u32 v81, vcc_lo, s14, v7
	v_add3_u32 v12, v12, v14, v15
	v_add_co_ci_u32_e64 v82, null, s15, v8, vcc_lo
	v_add_co_u32 v83, vcc_lo, s12, v9
	v_add_co_ci_u32_e64 v84, null, s13, v10, vcc_lo
	v_add_co_u32 v13, vcc_lo, v5, 19
	v_add_co_u32 v85, s2, s14, v9
	v_lshlrev_b64 v[7:8], 1, v[11:12]
	v_add_co_ci_u32_e64 v9, null, 0, v6, vcc_lo
	v_add_co_u32 v11, vcc_lo, v5, 18
	v_add_co_ci_u32_e64 v12, null, 0, v6, vcc_lo
	v_add_co_ci_u32_e64 v86, null, s15, v10, s2
	v_mul_lo_u32 v14, s11, v13
	v_mul_lo_u32 v15, s10, v9
	v_mad_u64_u32 v[9:10], null, s10, v13, 0
	v_mul_lo_u32 v13, s11, v11
	v_mul_lo_u32 v16, s10, v12
	v_mad_u64_u32 v[11:12], null, s10, v11, 0
	v_add_co_u32 v87, vcc_lo, s12, v7
	v_add_co_ci_u32_e64 v88, null, s13, v8, vcc_lo
	v_add_co_u32 v89, vcc_lo, s14, v7
	v_add_co_ci_u32_e64 v90, null, s15, v8, vcc_lo
	v_add3_u32 v12, v12, v16, v13
	v_add_co_u32 v13, vcc_lo, v5, 17
	v_add3_u32 v10, v10, v15, v14
	v_add_co_ci_u32_e64 v14, null, 0, v6, vcc_lo
	v_mul_lo_u32 v15, s11, v13
	v_lshlrev_b64 v[7:8], 1, v[9:10]
	v_lshlrev_b64 v[9:10], 1, v[11:12]
	v_mul_lo_u32 v14, s10, v14
	v_mad_u64_u32 v[11:12], null, s10, v13, 0
	v_add_co_u32 v91, vcc_lo, s12, v7
	v_add_co_ci_u32_e64 v92, null, s13, v8, vcc_lo
	v_add_co_u32 v93, vcc_lo, s14, v7
	v_add3_u32 v12, v12, v14, v15
	v_add_co_ci_u32_e64 v94, null, s15, v8, vcc_lo
	v_add_co_u32 v95, vcc_lo, s12, v9
	v_add_co_ci_u32_e64 v96, null, s13, v10, vcc_lo
	v_add_co_u32 v13, vcc_lo, v5, 16
	v_add_co_u32 v97, s2, s14, v9
	v_lshlrev_b64 v[7:8], 1, v[11:12]
	v_add_co_ci_u32_e64 v9, null, 0, v6, vcc_lo
	v_add_co_u32 v11, vcc_lo, v5, 15
	v_add_co_ci_u32_e64 v12, null, 0, v6, vcc_lo
	v_add_co_ci_u32_e64 v98, null, s15, v10, s2
	v_mul_lo_u32 v14, s11, v13
	v_mul_lo_u32 v15, s10, v9
	v_mad_u64_u32 v[9:10], null, s10, v13, 0
	v_mul_lo_u32 v13, s11, v11
	v_mul_lo_u32 v16, s10, v12
	v_mad_u64_u32 v[11:12], null, s10, v11, 0
	v_add_co_u32 v99, vcc_lo, s12, v7
	v_add_co_ci_u32_e64 v100, null, s13, v8, vcc_lo
	v_add_co_u32 v101, vcc_lo, s14, v7
	v_add_co_ci_u32_e64 v102, null, s15, v8, vcc_lo
	v_add3_u32 v12, v12, v16, v13
	v_add_co_u32 v13, vcc_lo, v5, 14
	v_add3_u32 v10, v10, v15, v14
	v_add_co_ci_u32_e64 v14, null, 0, v6, vcc_lo
	v_mul_lo_u32 v15, s11, v13
	v_lshlrev_b64 v[7:8], 1, v[9:10]
	;; [unrolled: 33-line block ×3, first 2 shown]
	v_lshlrev_b64 v[9:10], 1, v[11:12]
	v_mul_lo_u32 v14, s10, v14
	v_mad_u64_u32 v[11:12], null, s10, v13, 0
	v_add_co_u32 v115, vcc_lo, s12, v7
	v_add_co_ci_u32_e64 v116, null, s13, v8, vcc_lo
	v_add_co_u32 v117, vcc_lo, s14, v7
	v_add3_u32 v12, v12, v14, v15
	v_add_co_ci_u32_e64 v118, null, s15, v8, vcc_lo
	v_add_co_u32 v119, vcc_lo, s12, v9
	v_add_co_ci_u32_e64 v120, null, s13, v10, vcc_lo
	v_add_co_u32 v13, vcc_lo, v5, 10
	v_add_co_u32 v121, s2, s14, v9
	v_lshlrev_b64 v[7:8], 1, v[11:12]
	v_add_co_ci_u32_e64 v9, null, 0, v6, vcc_lo
	v_add_co_u32 v11, vcc_lo, v5, 9
	v_add_co_ci_u32_e64 v12, null, 0, v6, vcc_lo
	v_add_co_ci_u32_e64 v122, null, s15, v10, s2
	v_mul_lo_u32 v14, s11, v13
	v_mul_lo_u32 v15, s10, v9
	v_mad_u64_u32 v[9:10], null, s10, v13, 0
	v_mul_lo_u32 v13, s11, v11
	v_mul_lo_u32 v16, s10, v12
	v_mad_u64_u32 v[11:12], null, s10, v11, 0
	v_add_co_u32 v123, vcc_lo, s12, v7
	v_add_co_ci_u32_e64 v124, null, s13, v8, vcc_lo
	v_add_co_u32 v125, vcc_lo, s14, v7
	v_add3_u32 v10, v10, v15, v14
	v_add_co_ci_u32_e64 v126, null, s15, v8, vcc_lo
	v_add3_u32 v12, v12, v16, v13
	v_add_co_u32 v13, vcc_lo, v5, 8
	v_add_co_ci_u32_e64 v14, null, 0, v6, vcc_lo
	v_lshlrev_b64 v[7:8], 1, v[9:10]
	v_lshlrev_b64 v[9:10], 1, v[11:12]
	v_mul_lo_u32 v15, s11, v13
	v_mul_lo_u32 v14, s10, v14
	v_mad_u64_u32 v[11:12], null, s10, v13, 0
	v_add_co_u32 v127, vcc_lo, s12, v7
	v_add_co_ci_u32_e64 v128, null, s13, v8, vcc_lo
	v_add_co_u32 v129, vcc_lo, s14, v7
	v_add_co_ci_u32_e64 v130, null, s15, v8, vcc_lo
	v_add_co_u32 v131, vcc_lo, s12, v9
	v_add3_u32 v12, v12, v14, v15
	v_add_co_ci_u32_e64 v132, null, s13, v10, vcc_lo
	v_add_co_u32 v13, vcc_lo, v5, 7
	v_add_co_u32 v133, s2, s14, v9
	v_add_co_ci_u32_e64 v9, null, 0, v6, vcc_lo
	v_lshlrev_b64 v[7:8], 1, v[11:12]
	v_add_co_u32 v11, vcc_lo, v5, 6
	v_add_co_ci_u32_e64 v12, null, 0, v6, vcc_lo
	v_add_co_ci_u32_e64 v134, null, s15, v10, s2
	v_mul_lo_u32 v14, s11, v13
	v_mul_lo_u32 v15, s10, v9
	v_mad_u64_u32 v[9:10], null, s10, v13, 0
	v_mul_lo_u32 v13, s11, v11
	v_mul_lo_u32 v16, s10, v12
	v_mad_u64_u32 v[11:12], null, s10, v11, 0
	v_add_co_u32 v135, vcc_lo, s12, v7
	v_add3_u32 v10, v10, v15, v14
	v_add_co_ci_u32_e64 v136, null, s13, v8, vcc_lo
	v_add_co_u32 v137, vcc_lo, s14, v7
	v_add_co_ci_u32_e64 v138, null, s15, v8, vcc_lo
	v_add3_u32 v12, v12, v16, v13
	v_add_co_u32 v13, vcc_lo, v5, 5
	v_lshlrev_b64 v[7:8], 1, v[9:10]
	v_add_co_ci_u32_e64 v14, null, 0, v6, vcc_lo
	v_lshlrev_b64 v[9:10], 1, v[11:12]
	v_mul_lo_u32 v15, s11, v13
	v_mad_u64_u32 v[11:12], null, s10, v13, 0
	v_add_co_u32 v139, vcc_lo, s12, v7
	v_mul_lo_u32 v14, s10, v14
	v_add_co_ci_u32_e64 v140, null, s13, v8, vcc_lo
	v_add_co_u32 v141, vcc_lo, s14, v7
	v_add_co_ci_u32_e64 v142, null, s15, v8, vcc_lo
	v_add_co_u32 v143, vcc_lo, s12, v9
	;; [unrolled: 2-line block ×3, first 2 shown]
	v_add3_u32 v12, v12, v14, v15
	v_add_co_u32 v145, s2, s14, v9
	v_add_co_ci_u32_e64 v9, null, 0, v6, vcc_lo
	v_add_co_ci_u32_e64 v146, null, s15, v10, s2
	v_lshlrev_b64 v[7:8], 1, v[11:12]
	v_mul_lo_u32 v14, s11, v13
	v_add_co_u32 v11, vcc_lo, v5, 3
	v_mul_lo_u32 v15, s10, v9
	v_mad_u64_u32 v[9:10], null, s10, v13, 0
	v_add_co_ci_u32_e64 v12, null, 0, v6, vcc_lo
	v_mul_lo_u32 v13, s11, v11
	v_add_co_u32 v147, vcc_lo, s12, v7
	v_mul_lo_u32 v16, s10, v12
	v_mad_u64_u32 v[11:12], null, s10, v11, 0
	v_add3_u32 v10, v10, v15, v14
	v_add_co_ci_u32_e64 v148, null, s13, v8, vcc_lo
	v_add_co_u32 v149, vcc_lo, s14, v7
	v_add_co_ci_u32_e64 v150, null, s15, v8, vcc_lo
	v_lshlrev_b64 v[7:8], 1, v[9:10]
	v_add_co_u32 v9, vcc_lo, v5, 2
	v_add3_u32 v12, v12, v16, v13
	v_add_co_ci_u32_e64 v10, null, 0, v6, vcc_lo
	v_add_co_u32 v151, vcc_lo, s12, v7
	v_lshlrev_b64 v[5:6], 1, v[11:12]
	v_mul_lo_u32 v11, s11, v9
	v_mul_lo_u32 v12, s10, v10
	v_mad_u64_u32 v[9:10], null, s10, v9, 0
	v_add_co_ci_u32_e64 v152, null, s13, v8, vcc_lo
	v_add_co_u32 v153, vcc_lo, s14, v7
	v_add_co_ci_u32_e64 v154, null, s15, v8, vcc_lo
	v_add_co_u32 v155, vcc_lo, s12, v5
	v_add_co_ci_u32_e64 v156, null, s13, v6, vcc_lo
	v_add3_u32 v10, v10, v12, v11
	v_add_co_u32 v157, vcc_lo, s14, v5
	v_add_co_ci_u32_e64 v158, null, s15, v6, vcc_lo
	v_add_co_u32 v3, vcc_lo, v3, s10
	v_add_co_ci_u32_e64 v4, null, s11, v4, vcc_lo
	v_lshlrev_b64 v[5:6], 1, v[9:10]
	s_lshl_b64 s[2:3], s[24:25], 1
	s_mov_b64 s[24:25], 31
	v_lshlrev_b64 v[3:4], 1, v[3:4]
	v_add_co_u32 v159, vcc_lo, s12, v5
	v_add_co_ci_u32_e64 v160, null, s13, v6, vcc_lo
	v_add_co_u32 v161, vcc_lo, s14, v5
	v_add_co_ci_u32_e64 v162, null, s15, v6, vcc_lo
	;; [unrolled: 2-line block ×4, first 2 shown]
.LBB107_3:                              ; =>This Inner Loop Header: Depth=1
	s_add_u32 s30, s20, s24
	s_addc_u32 s31, 0, s25
	v_add_co_u32 v37, vcc_lo, s20, v39
	v_cmp_ge_i64_e64 s30, s[30:31], s[8:9]
	v_add_co_ci_u32_e64 v38, null, 0, v40, vcc_lo
                                        ; implicit-def: $vgpr3_vgpr4_vgpr5_vgpr6_vgpr7_vgpr8_vgpr9_vgpr10_vgpr11_vgpr12_vgpr13_vgpr14_vgpr15_vgpr16_vgpr17_vgpr18_vgpr19_vgpr20_vgpr21_vgpr22_vgpr23_vgpr24_vgpr25_vgpr26_vgpr27_vgpr28_vgpr29_vgpr30_vgpr31_vgpr32_vgpr33_vgpr34
                                        ; implicit-def: $vgpr169
                                        ; implicit-def: $vgpr186
                                        ; implicit-def: $vgpr3
                                        ; implicit-def: $vgpr203
                                        ; implicit-def: $vgpr4
	s_and_b32 vcc_lo, exec_lo, s30
	s_mov_b32 s30, -1
	s_cbranch_vccz .LBB107_71
; %bb.4:                                ;   in Loop: Header=BB107_3 Depth=1
	s_load_dword s30, s[22:23], 0xc
	v_mov_b32_e32 v170, 0
	v_mov_b32_e32 v169, 0
	;; [unrolled: 1-line block ×3, first 2 shown]
	s_waitcnt lgkmcnt(0)
	s_and_b32 s30, s30, 0xffff
	v_mad_u32_u24 v3, v1, s30, v227
	s_mov_b32 s30, exec_lo
	v_and_b32_e32 v3, 31, v3
	v_add_co_u32 v3, vcc_lo, v37, v3
	v_add_co_ci_u32_e64 v4, null, 0, v38, vcc_lo
	v_cmpx_gt_i64_e64 s[8:9], v[3:4]
	s_cbranch_execz .LBB107_6
; %bb.5:                                ;   in Loop: Header=BB107_3 Depth=1
	v_lshlrev_b64 v[3:4], 2, v[3:4]
	v_add_co_u32 v5, vcc_lo, s16, v3
	v_add_co_ci_u32_e64 v6, null, s17, v4, vcc_lo
	v_add_co_u32 v3, vcc_lo, s18, v3
	v_add_co_ci_u32_e64 v4, null, s19, v4, vcc_lo
	global_load_dword v168, v[5:6], off
	global_load_dword v169, v[3:4], off
.LBB107_6:                              ;   in Loop: Header=BB107_3 Depth=1
	s_or_b32 exec_lo, exec_lo, s30
	v_mov_b32_e32 v33, v2
	v_cmp_gt_i64_e32 vcc_lo, s[8:9], v[37:38]
	v_mov_b32_e32 v3, v2
	v_mov_b32_e32 v4, v2
	v_mov_b32_e32 v5, v2
	v_mov_b32_e32 v6, v2
	v_mov_b32_e32 v7, v2
	v_mov_b32_e32 v8, v2
	v_mov_b32_e32 v9, v2
	v_mov_b32_e32 v10, v2
	v_mov_b32_e32 v11, v2
	v_mov_b32_e32 v12, v2
	v_mov_b32_e32 v13, v2
	v_mov_b32_e32 v14, v2
	v_mov_b32_e32 v15, v2
	v_mov_b32_e32 v16, v2
	v_mov_b32_e32 v17, v2
	v_mov_b32_e32 v18, v2
	v_mov_b32_e32 v19, v2
	v_mov_b32_e32 v20, v2
	v_mov_b32_e32 v21, v2
	v_mov_b32_e32 v22, v2
	v_mov_b32_e32 v23, v2
	v_mov_b32_e32 v24, v2
	v_mov_b32_e32 v25, v2
	v_mov_b32_e32 v26, v2
	v_mov_b32_e32 v27, v2
	v_mov_b32_e32 v28, v2
	v_mov_b32_e32 v29, v2
	v_mov_b32_e32 v30, v2
	v_mov_b32_e32 v31, v2
	v_mov_b32_e32 v32, v2
	v_mov_b32_e32 v34, v33
	v_mov_b32_e32 v33, v32
	v_mov_b32_e32 v32, v31
	v_mov_b32_e32 v31, v30
	v_mov_b32_e32 v30, v29
	v_mov_b32_e32 v29, v28
	v_mov_b32_e32 v28, v27
	v_mov_b32_e32 v27, v26
	v_mov_b32_e32 v26, v25
	v_mov_b32_e32 v25, v24
	v_mov_b32_e32 v24, v23
	v_mov_b32_e32 v23, v22
	v_mov_b32_e32 v22, v21
	v_mov_b32_e32 v21, v20
	v_mov_b32_e32 v20, v19
	v_mov_b32_e32 v19, v18
	v_mov_b32_e32 v18, v17
	v_mov_b32_e32 v17, v16
	v_mov_b32_e32 v16, v15
	v_mov_b32_e32 v15, v14
	v_mov_b32_e32 v14, v13
	v_mov_b32_e32 v13, v12
	v_mov_b32_e32 v12, v11
	v_mov_b32_e32 v11, v10
	v_mov_b32_e32 v10, v9
	v_mov_b32_e32 v9, v8
	v_mov_b32_e32 v8, v7
	v_mov_b32_e32 v7, v6
	v_mov_b32_e32 v6, v5
	v_mov_b32_e32 v5, v4
	v_mov_b32_e32 v4, v3
	v_mov_b32_e32 v3, v2
	s_and_b32 s31, s1, vcc_lo
	s_and_saveexec_b32 s30, s31
	s_cbranch_execz .LBB107_8
; %bb.7:                                ;   in Loop: Header=BB107_3 Depth=1
	v_add_co_u32 v3, vcc_lo, v41, v35
	v_add_co_ci_u32_e64 v4, null, v42, v36, vcc_lo
	v_add_co_u32 v5, vcc_lo, v43, v35
	v_add_co_ci_u32_e64 v6, null, v44, v36, vcc_lo
	global_load_ushort v3, v[3:4], off
	global_load_ushort v170, v[5:6], off
	v_mov_b32_e32 v4, v2
	v_mov_b32_e32 v5, v2
	;; [unrolled: 1-line block ×31, first 2 shown]
	s_waitcnt vmcnt(1)
	v_lshlrev_b32_e32 v3, 16, v3
	s_waitcnt vmcnt(0)
	v_lshlrev_b32_e32 v170, 16, v170
.LBB107_8:                              ;   in Loop: Header=BB107_3 Depth=1
	s_or_b32 exec_lo, exec_lo, s30
	v_add_co_u32 v171, vcc_lo, v37, 1
	v_add_co_ci_u32_e64 v172, null, 0, v38, vcc_lo
	v_cmp_gt_i64_e32 vcc_lo, s[8:9], v[171:172]
	v_mov_b32_e32 v171, 0
	v_mov_b32_e32 v172, 0
	s_and_b32 s31, s1, vcc_lo
	s_and_saveexec_b32 s30, s31
	s_cbranch_execz .LBB107_10
; %bb.9:                                ;   in Loop: Header=BB107_3 Depth=1
	v_add_co_u32 v172, vcc_lo, v163, v35
	v_add_co_ci_u32_e64 v173, null, v164, v36, vcc_lo
	v_add_co_u32 v174, vcc_lo, v165, v35
	v_add_co_ci_u32_e64 v175, null, v166, v36, vcc_lo
	global_load_ushort v4, v[172:173], off
	global_load_ushort v172, v[174:175], off
	s_waitcnt vmcnt(1)
	v_lshlrev_b32_e32 v4, 16, v4
	s_waitcnt vmcnt(0)
	v_lshlrev_b32_e32 v172, 16, v172
.LBB107_10:                             ;   in Loop: Header=BB107_3 Depth=1
	s_or_b32 exec_lo, exec_lo, s30
	v_add_co_u32 v173, vcc_lo, v37, 2
	v_add_co_ci_u32_e64 v174, null, 0, v38, vcc_lo
	v_cmp_gt_i64_e32 vcc_lo, s[8:9], v[173:174]
	s_and_b32 s31, s1, vcc_lo
	s_and_saveexec_b32 s30, s31
	s_cbranch_execz .LBB107_12
; %bb.11:                               ;   in Loop: Header=BB107_3 Depth=1
	v_add_co_u32 v173, vcc_lo, v159, v35
	v_add_co_ci_u32_e64 v174, null, v160, v36, vcc_lo
	v_add_co_u32 v175, vcc_lo, v161, v35
	v_add_co_ci_u32_e64 v176, null, v162, v36, vcc_lo
	global_load_ushort v5, v[173:174], off
	global_load_ushort v171, v[175:176], off
	s_waitcnt vmcnt(1)
	v_lshlrev_b32_e32 v5, 16, v5
	s_waitcnt vmcnt(0)
	v_lshlrev_b32_e32 v171, 16, v171
.LBB107_12:                             ;   in Loop: Header=BB107_3 Depth=1
	s_or_b32 exec_lo, exec_lo, s30
	v_add_co_u32 v173, vcc_lo, v37, 3
	v_add_co_ci_u32_e64 v174, null, 0, v38, vcc_lo
	v_cmp_gt_i64_e32 vcc_lo, s[8:9], v[173:174]
	v_mov_b32_e32 v173, 0
	v_mov_b32_e32 v174, 0
	s_and_b32 s31, s1, vcc_lo
	s_and_saveexec_b32 s30, s31
	s_cbranch_execz .LBB107_14
; %bb.13:                               ;   in Loop: Header=BB107_3 Depth=1
	v_add_co_u32 v174, vcc_lo, v155, v35
	v_add_co_ci_u32_e64 v175, null, v156, v36, vcc_lo
	v_add_co_u32 v176, vcc_lo, v157, v35
	v_add_co_ci_u32_e64 v177, null, v158, v36, vcc_lo
	global_load_ushort v6, v[174:175], off
	global_load_ushort v174, v[176:177], off
	s_waitcnt vmcnt(1)
	v_lshlrev_b32_e32 v6, 16, v6
	s_waitcnt vmcnt(0)
	v_lshlrev_b32_e32 v174, 16, v174
.LBB107_14:                             ;   in Loop: Header=BB107_3 Depth=1
	s_or_b32 exec_lo, exec_lo, s30
	v_add_co_u32 v175, vcc_lo, v37, 4
	v_add_co_ci_u32_e64 v176, null, 0, v38, vcc_lo
	v_cmp_gt_i64_e32 vcc_lo, s[8:9], v[175:176]
	s_and_b32 s31, s1, vcc_lo
	s_and_saveexec_b32 s30, s31
	s_cbranch_execz .LBB107_16
; %bb.15:                               ;   in Loop: Header=BB107_3 Depth=1
	v_add_co_u32 v175, vcc_lo, v151, v35
	v_add_co_ci_u32_e64 v176, null, v152, v36, vcc_lo
	v_add_co_u32 v177, vcc_lo, v153, v35
	v_add_co_ci_u32_e64 v178, null, v154, v36, vcc_lo
	global_load_ushort v7, v[175:176], off
	global_load_ushort v173, v[177:178], off
	s_waitcnt vmcnt(1)
	v_lshlrev_b32_e32 v7, 16, v7
	s_waitcnt vmcnt(0)
	v_lshlrev_b32_e32 v173, 16, v173
.LBB107_16:                             ;   in Loop: Header=BB107_3 Depth=1
	s_or_b32 exec_lo, exec_lo, s30
	v_add_co_u32 v175, vcc_lo, v37, 5
	v_add_co_ci_u32_e64 v176, null, 0, v38, vcc_lo
	v_cmp_gt_i64_e32 vcc_lo, s[8:9], v[175:176]
	v_mov_b32_e32 v175, 0
	v_mov_b32_e32 v176, 0
	s_and_b32 s31, s1, vcc_lo
	s_and_saveexec_b32 s30, s31
	s_cbranch_execz .LBB107_18
; %bb.17:                               ;   in Loop: Header=BB107_3 Depth=1
	v_add_co_u32 v176, vcc_lo, v147, v35
	v_add_co_ci_u32_e64 v177, null, v148, v36, vcc_lo
	v_add_co_u32 v178, vcc_lo, v149, v35
	v_add_co_ci_u32_e64 v179, null, v150, v36, vcc_lo
	global_load_ushort v8, v[176:177], off
	global_load_ushort v176, v[178:179], off
	s_waitcnt vmcnt(1)
	v_lshlrev_b32_e32 v8, 16, v8
	s_waitcnt vmcnt(0)
	v_lshlrev_b32_e32 v176, 16, v176
.LBB107_18:                             ;   in Loop: Header=BB107_3 Depth=1
	s_or_b32 exec_lo, exec_lo, s30
	v_add_co_u32 v177, vcc_lo, v37, 6
	v_add_co_ci_u32_e64 v178, null, 0, v38, vcc_lo
	v_cmp_gt_i64_e32 vcc_lo, s[8:9], v[177:178]
	s_and_b32 s31, s1, vcc_lo
	s_and_saveexec_b32 s30, s31
	s_cbranch_execz .LBB107_20
; %bb.19:                               ;   in Loop: Header=BB107_3 Depth=1
	v_add_co_u32 v177, vcc_lo, v143, v35
	v_add_co_ci_u32_e64 v178, null, v144, v36, vcc_lo
	v_add_co_u32 v179, vcc_lo, v145, v35
	v_add_co_ci_u32_e64 v180, null, v146, v36, vcc_lo
	global_load_ushort v9, v[177:178], off
	global_load_ushort v175, v[179:180], off
	s_waitcnt vmcnt(1)
	v_lshlrev_b32_e32 v9, 16, v9
	s_waitcnt vmcnt(0)
	v_lshlrev_b32_e32 v175, 16, v175
.LBB107_20:                             ;   in Loop: Header=BB107_3 Depth=1
	s_or_b32 exec_lo, exec_lo, s30
	v_add_co_u32 v177, vcc_lo, v37, 7
	v_add_co_ci_u32_e64 v178, null, 0, v38, vcc_lo
	v_cmp_gt_i64_e32 vcc_lo, s[8:9], v[177:178]
	v_mov_b32_e32 v177, 0
	v_mov_b32_e32 v178, 0
	s_and_b32 s31, s1, vcc_lo
	s_and_saveexec_b32 s30, s31
	s_cbranch_execz .LBB107_22
; %bb.21:                               ;   in Loop: Header=BB107_3 Depth=1
	v_add_co_u32 v178, vcc_lo, v139, v35
	v_add_co_ci_u32_e64 v179, null, v140, v36, vcc_lo
	v_add_co_u32 v180, vcc_lo, v141, v35
	v_add_co_ci_u32_e64 v181, null, v142, v36, vcc_lo
	global_load_ushort v10, v[178:179], off
	global_load_ushort v178, v[180:181], off
	s_waitcnt vmcnt(1)
	v_lshlrev_b32_e32 v10, 16, v10
	s_waitcnt vmcnt(0)
	v_lshlrev_b32_e32 v178, 16, v178
.LBB107_22:                             ;   in Loop: Header=BB107_3 Depth=1
	s_or_b32 exec_lo, exec_lo, s30
	v_add_co_u32 v179, vcc_lo, v37, 8
	v_add_co_ci_u32_e64 v180, null, 0, v38, vcc_lo
	v_cmp_gt_i64_e32 vcc_lo, s[8:9], v[179:180]
	s_and_b32 s31, s1, vcc_lo
	s_and_saveexec_b32 s30, s31
	s_cbranch_execz .LBB107_24
; %bb.23:                               ;   in Loop: Header=BB107_3 Depth=1
	v_add_co_u32 v179, vcc_lo, v135, v35
	v_add_co_ci_u32_e64 v180, null, v136, v36, vcc_lo
	v_add_co_u32 v181, vcc_lo, v137, v35
	v_add_co_ci_u32_e64 v182, null, v138, v36, vcc_lo
	global_load_ushort v11, v[179:180], off
	global_load_ushort v177, v[181:182], off
	s_waitcnt vmcnt(1)
	v_lshlrev_b32_e32 v11, 16, v11
	s_waitcnt vmcnt(0)
	v_lshlrev_b32_e32 v177, 16, v177
.LBB107_24:                             ;   in Loop: Header=BB107_3 Depth=1
	s_or_b32 exec_lo, exec_lo, s30
	v_add_co_u32 v179, vcc_lo, v37, 9
	v_add_co_ci_u32_e64 v180, null, 0, v38, vcc_lo
	v_cmp_gt_i64_e32 vcc_lo, s[8:9], v[179:180]
	v_mov_b32_e32 v179, 0
	v_mov_b32_e32 v180, 0
	s_and_b32 s31, s1, vcc_lo
	s_and_saveexec_b32 s30, s31
	s_cbranch_execz .LBB107_26
; %bb.25:                               ;   in Loop: Header=BB107_3 Depth=1
	v_add_co_u32 v180, vcc_lo, v131, v35
	v_add_co_ci_u32_e64 v181, null, v132, v36, vcc_lo
	v_add_co_u32 v182, vcc_lo, v133, v35
	v_add_co_ci_u32_e64 v183, null, v134, v36, vcc_lo
	global_load_ushort v12, v[180:181], off
	global_load_ushort v180, v[182:183], off
	s_waitcnt vmcnt(1)
	v_lshlrev_b32_e32 v12, 16, v12
	s_waitcnt vmcnt(0)
	v_lshlrev_b32_e32 v180, 16, v180
.LBB107_26:                             ;   in Loop: Header=BB107_3 Depth=1
	s_or_b32 exec_lo, exec_lo, s30
	v_add_co_u32 v181, vcc_lo, v37, 10
	v_add_co_ci_u32_e64 v182, null, 0, v38, vcc_lo
	v_cmp_gt_i64_e32 vcc_lo, s[8:9], v[181:182]
	s_and_b32 s31, s1, vcc_lo
	s_and_saveexec_b32 s30, s31
	s_cbranch_execz .LBB107_28
; %bb.27:                               ;   in Loop: Header=BB107_3 Depth=1
	v_add_co_u32 v181, vcc_lo, v127, v35
	v_add_co_ci_u32_e64 v182, null, v128, v36, vcc_lo
	v_add_co_u32 v183, vcc_lo, v129, v35
	v_add_co_ci_u32_e64 v184, null, v130, v36, vcc_lo
	global_load_ushort v13, v[181:182], off
	global_load_ushort v179, v[183:184], off
	s_waitcnt vmcnt(1)
	v_lshlrev_b32_e32 v13, 16, v13
	s_waitcnt vmcnt(0)
	v_lshlrev_b32_e32 v179, 16, v179
.LBB107_28:                             ;   in Loop: Header=BB107_3 Depth=1
	s_or_b32 exec_lo, exec_lo, s30
	v_add_co_u32 v181, vcc_lo, v37, 11
	v_add_co_ci_u32_e64 v182, null, 0, v38, vcc_lo
	v_cmp_gt_i64_e32 vcc_lo, s[8:9], v[181:182]
	v_mov_b32_e32 v181, 0
	v_mov_b32_e32 v182, 0
	s_and_b32 s31, s1, vcc_lo
	s_and_saveexec_b32 s30, s31
	s_cbranch_execz .LBB107_30
; %bb.29:                               ;   in Loop: Header=BB107_3 Depth=1
	v_add_co_u32 v182, vcc_lo, v123, v35
	v_add_co_ci_u32_e64 v183, null, v124, v36, vcc_lo
	v_add_co_u32 v184, vcc_lo, v125, v35
	v_add_co_ci_u32_e64 v185, null, v126, v36, vcc_lo
	global_load_ushort v14, v[182:183], off
	global_load_ushort v182, v[184:185], off
	s_waitcnt vmcnt(1)
	v_lshlrev_b32_e32 v14, 16, v14
	s_waitcnt vmcnt(0)
	v_lshlrev_b32_e32 v182, 16, v182
.LBB107_30:                             ;   in Loop: Header=BB107_3 Depth=1
	s_or_b32 exec_lo, exec_lo, s30
	v_add_co_u32 v183, vcc_lo, v37, 12
	v_add_co_ci_u32_e64 v184, null, 0, v38, vcc_lo
	v_cmp_gt_i64_e32 vcc_lo, s[8:9], v[183:184]
	s_and_b32 s31, s1, vcc_lo
	s_and_saveexec_b32 s30, s31
	s_cbranch_execz .LBB107_32
; %bb.31:                               ;   in Loop: Header=BB107_3 Depth=1
	v_add_co_u32 v183, vcc_lo, v119, v35
	v_add_co_ci_u32_e64 v184, null, v120, v36, vcc_lo
	v_add_co_u32 v185, vcc_lo, v121, v35
	v_add_co_ci_u32_e64 v186, null, v122, v36, vcc_lo
	global_load_ushort v15, v[183:184], off
	global_load_ushort v181, v[185:186], off
	s_waitcnt vmcnt(1)
	v_lshlrev_b32_e32 v15, 16, v15
	s_waitcnt vmcnt(0)
	v_lshlrev_b32_e32 v181, 16, v181
.LBB107_32:                             ;   in Loop: Header=BB107_3 Depth=1
	s_or_b32 exec_lo, exec_lo, s30
	v_add_co_u32 v183, vcc_lo, v37, 13
	v_add_co_ci_u32_e64 v184, null, 0, v38, vcc_lo
	v_cmp_gt_i64_e32 vcc_lo, s[8:9], v[183:184]
	v_mov_b32_e32 v183, 0
	v_mov_b32_e32 v184, 0
	s_and_b32 s31, s1, vcc_lo
	s_and_saveexec_b32 s30, s31
	s_cbranch_execz .LBB107_34
; %bb.33:                               ;   in Loop: Header=BB107_3 Depth=1
	v_add_co_u32 v184, vcc_lo, v115, v35
	v_add_co_ci_u32_e64 v185, null, v116, v36, vcc_lo
	v_add_co_u32 v186, vcc_lo, v117, v35
	v_add_co_ci_u32_e64 v187, null, v118, v36, vcc_lo
	global_load_ushort v16, v[184:185], off
	global_load_ushort v184, v[186:187], off
	s_waitcnt vmcnt(1)
	v_lshlrev_b32_e32 v16, 16, v16
	s_waitcnt vmcnt(0)
	v_lshlrev_b32_e32 v184, 16, v184
.LBB107_34:                             ;   in Loop: Header=BB107_3 Depth=1
	s_or_b32 exec_lo, exec_lo, s30
	v_add_co_u32 v185, vcc_lo, v37, 14
	v_add_co_ci_u32_e64 v186, null, 0, v38, vcc_lo
	v_cmp_gt_i64_e32 vcc_lo, s[8:9], v[185:186]
	s_and_b32 s31, s1, vcc_lo
	s_and_saveexec_b32 s30, s31
	s_cbranch_execz .LBB107_36
; %bb.35:                               ;   in Loop: Header=BB107_3 Depth=1
	v_add_co_u32 v185, vcc_lo, v111, v35
	v_add_co_ci_u32_e64 v186, null, v112, v36, vcc_lo
	v_add_co_u32 v187, vcc_lo, v113, v35
	v_add_co_ci_u32_e64 v188, null, v114, v36, vcc_lo
	global_load_ushort v17, v[185:186], off
	global_load_ushort v183, v[187:188], off
	s_waitcnt vmcnt(1)
	v_lshlrev_b32_e32 v17, 16, v17
	s_waitcnt vmcnt(0)
	v_lshlrev_b32_e32 v183, 16, v183
.LBB107_36:                             ;   in Loop: Header=BB107_3 Depth=1
	s_or_b32 exec_lo, exec_lo, s30
	v_add_co_u32 v185, vcc_lo, v37, 15
	v_add_co_ci_u32_e64 v186, null, 0, v38, vcc_lo
	v_mov_b32_e32 v187, 0
	v_cmp_gt_i64_e32 vcc_lo, s[8:9], v[185:186]
	v_mov_b32_e32 v185, 0
	s_and_b32 s31, s1, vcc_lo
	s_and_saveexec_b32 s30, s31
	s_cbranch_execz .LBB107_38
; %bb.37:                               ;   in Loop: Header=BB107_3 Depth=1
	v_add_co_u32 v186, vcc_lo, v107, v35
	v_add_co_ci_u32_e64 v187, null, v108, v36, vcc_lo
	v_add_co_u32 v188, vcc_lo, v109, v35
	v_add_co_ci_u32_e64 v189, null, v110, v36, vcc_lo
	global_load_ushort v18, v[186:187], off
	global_load_ushort v186, v[188:189], off
	s_waitcnt vmcnt(1)
	v_lshlrev_b32_e32 v18, 16, v18
	s_waitcnt vmcnt(0)
	v_lshlrev_b32_e32 v187, 16, v186
.LBB107_38:                             ;   in Loop: Header=BB107_3 Depth=1
	s_or_b32 exec_lo, exec_lo, s30
	v_add_co_u32 v188, vcc_lo, v37, 16
	v_add_co_ci_u32_e64 v189, null, 0, v38, vcc_lo
	v_cmp_gt_i64_e32 vcc_lo, s[8:9], v[188:189]
	s_and_b32 s31, s1, vcc_lo
	s_and_saveexec_b32 s30, s31
	s_cbranch_execz .LBB107_40
; %bb.39:                               ;   in Loop: Header=BB107_3 Depth=1
	v_add_co_u32 v185, vcc_lo, v103, v35
	v_add_co_ci_u32_e64 v186, null, v104, v36, vcc_lo
	v_add_co_u32 v188, vcc_lo, v105, v35
	v_add_co_ci_u32_e64 v189, null, v106, v36, vcc_lo
	global_load_ushort v19, v[185:186], off
	global_load_ushort v185, v[188:189], off
	s_waitcnt vmcnt(1)
	v_lshlrev_b32_e32 v19, 16, v19
	s_waitcnt vmcnt(0)
	v_lshlrev_b32_e32 v185, 16, v185
.LBB107_40:                             ;   in Loop: Header=BB107_3 Depth=1
	s_or_b32 exec_lo, exec_lo, s30
	v_add_co_u32 v188, vcc_lo, v37, 17
	v_add_co_ci_u32_e64 v189, null, 0, v38, vcc_lo
	v_cmp_gt_i64_e32 vcc_lo, s[8:9], v[188:189]
	v_mov_b32_e32 v188, 0
	v_mov_b32_e32 v189, 0
	s_and_b32 s31, s1, vcc_lo
	s_and_saveexec_b32 s30, s31
	s_cbranch_execz .LBB107_42
; %bb.41:                               ;   in Loop: Header=BB107_3 Depth=1
	v_add_co_u32 v189, vcc_lo, v99, v35
	v_add_co_ci_u32_e64 v190, null, v100, v36, vcc_lo
	v_add_co_u32 v191, vcc_lo, v101, v35
	v_add_co_ci_u32_e64 v192, null, v102, v36, vcc_lo
	global_load_ushort v20, v[189:190], off
	global_load_ushort v186, v[191:192], off
	s_waitcnt vmcnt(1)
	v_lshlrev_b32_e32 v20, 16, v20
	s_waitcnt vmcnt(0)
	v_lshlrev_b32_e32 v189, 16, v186
.LBB107_42:                             ;   in Loop: Header=BB107_3 Depth=1
	s_or_b32 exec_lo, exec_lo, s30
	v_add_co_u32 v190, vcc_lo, v37, 18
	v_add_co_ci_u32_e64 v191, null, 0, v38, vcc_lo
	v_cmp_gt_i64_e32 vcc_lo, s[8:9], v[190:191]
	s_and_b32 s31, s1, vcc_lo
	s_and_saveexec_b32 s30, s31
	s_cbranch_execz .LBB107_44
; %bb.43:                               ;   in Loop: Header=BB107_3 Depth=1
	v_add_co_u32 v190, vcc_lo, v95, v35
	v_add_co_ci_u32_e64 v191, null, v96, v36, vcc_lo
	v_add_co_u32 v192, vcc_lo, v97, v35
	v_add_co_ci_u32_e64 v193, null, v98, v36, vcc_lo
	global_load_ushort v21, v[190:191], off
	global_load_ushort v186, v[192:193], off
	s_waitcnt vmcnt(1)
	v_lshlrev_b32_e32 v21, 16, v21
	s_waitcnt vmcnt(0)
	v_lshlrev_b32_e32 v188, 16, v186
.LBB107_44:                             ;   in Loop: Header=BB107_3 Depth=1
	s_or_b32 exec_lo, exec_lo, s30
	v_add_co_u32 v190, vcc_lo, v37, 19
	v_add_co_ci_u32_e64 v191, null, 0, v38, vcc_lo
	v_cmp_gt_i64_e32 vcc_lo, s[8:9], v[190:191]
	v_mov_b32_e32 v190, 0
	;; [unrolled: 40-line block ×6, first 2 shown]
	v_mov_b32_e32 v199, 0
	s_and_b32 s31, s1, vcc_lo
	s_and_saveexec_b32 s30, s31
	s_cbranch_execz .LBB107_62
; %bb.61:                               ;   in Loop: Header=BB107_3 Depth=1
	v_add_co_u32 v199, vcc_lo, v61, v35
	v_add_co_ci_u32_e64 v200, null, v62, v36, vcc_lo
	v_add_co_u32 v202, vcc_lo, v63, v35
	v_add_co_ci_u32_e64 v203, null, v64, v36, vcc_lo
	global_load_ushort v30, v[199:200], off
	global_load_ushort v186, v[202:203], off
	s_waitcnt vmcnt(1)
	v_lshlrev_b32_e32 v30, 16, v30
	s_waitcnt vmcnt(0)
	v_lshlrev_b32_e32 v199, 16, v186
.LBB107_62:                             ;   in Loop: Header=BB107_3 Depth=1
	s_or_b32 exec_lo, exec_lo, s30
	v_add_co_u32 v202, vcc_lo, v37, 28
	v_add_co_ci_u32_e64 v203, null, 0, v38, vcc_lo
	v_cmp_gt_i64_e32 vcc_lo, s[8:9], v[202:203]
	s_and_b32 s31, s1, vcc_lo
	s_and_saveexec_b32 s30, s31
	s_cbranch_execz .LBB107_64
; %bb.63:                               ;   in Loop: Header=BB107_3 Depth=1
	v_add_co_u32 v202, vcc_lo, v57, v35
	v_add_co_ci_u32_e64 v203, null, v58, v36, vcc_lo
	v_add_co_u32 v204, vcc_lo, v59, v35
	v_add_co_ci_u32_e64 v205, null, v60, v36, vcc_lo
	global_load_ushort v31, v[202:203], off
	global_load_ushort v186, v[204:205], off
	s_waitcnt vmcnt(1)
	v_lshlrev_b32_e32 v31, 16, v31
	s_waitcnt vmcnt(0)
	v_lshlrev_b32_e32 v198, 16, v186
.LBB107_64:                             ;   in Loop: Header=BB107_3 Depth=1
	s_or_b32 exec_lo, exec_lo, s30
	v_add_co_u32 v202, vcc_lo, v37, 29
	v_add_co_ci_u32_e64 v203, null, 0, v38, vcc_lo
	v_mov_b32_e32 v200, 0
	v_cmp_gt_i64_e32 vcc_lo, s[8:9], v[202:203]
	v_mov_b32_e32 v202, 0
	s_and_b32 s31, s1, vcc_lo
	s_and_saveexec_b32 s30, s31
	s_cbranch_execz .LBB107_66
; %bb.65:                               ;   in Loop: Header=BB107_3 Depth=1
	v_add_co_u32 v202, vcc_lo, v53, v35
	v_add_co_ci_u32_e64 v203, null, v54, v36, vcc_lo
	v_add_co_u32 v204, vcc_lo, v55, v35
	v_add_co_ci_u32_e64 v205, null, v56, v36, vcc_lo
	global_load_ushort v32, v[202:203], off
	global_load_ushort v186, v[204:205], off
	s_waitcnt vmcnt(1)
	v_lshlrev_b32_e32 v32, 16, v32
	s_waitcnt vmcnt(0)
	v_lshlrev_b32_e32 v202, 16, v186
.LBB107_66:                             ;   in Loop: Header=BB107_3 Depth=1
	s_or_b32 exec_lo, exec_lo, s30
	v_add_co_u32 v203, vcc_lo, v37, 30
	v_add_co_ci_u32_e64 v204, null, 0, v38, vcc_lo
	v_cmp_gt_i64_e32 vcc_lo, s[8:9], v[203:204]
	s_and_b32 s31, s1, vcc_lo
	s_and_saveexec_b32 s30, s31
	s_cbranch_execz .LBB107_68
; %bb.67:                               ;   in Loop: Header=BB107_3 Depth=1
	v_add_co_u32 v203, vcc_lo, v49, v35
	v_add_co_ci_u32_e64 v204, null, v50, v36, vcc_lo
	v_add_co_u32 v205, vcc_lo, v51, v35
	v_add_co_ci_u32_e64 v206, null, v52, v36, vcc_lo
	global_load_ushort v33, v[203:204], off
	global_load_ushort v186, v[205:206], off
	s_waitcnt vmcnt(1)
	v_lshlrev_b32_e32 v33, 16, v33
	s_waitcnt vmcnt(0)
	v_lshlrev_b32_e32 v200, 16, v186
.LBB107_68:                             ;   in Loop: Header=BB107_3 Depth=1
	s_or_b32 exec_lo, exec_lo, s30
	v_add_co_u32 v203, vcc_lo, v37, 31
	v_add_co_ci_u32_e64 v204, null, 0, v38, vcc_lo
	v_mov_b32_e32 v186, 0
	v_cmp_gt_i64_e32 vcc_lo, s[8:9], v[203:204]
	s_and_b32 s31, s1, vcc_lo
	s_and_saveexec_b32 s30, s31
	s_cbranch_execz .LBB107_70
; %bb.69:                               ;   in Loop: Header=BB107_3 Depth=1
	v_add_co_u32 v203, vcc_lo, v45, v35
	v_add_co_ci_u32_e64 v204, null, v46, v36, vcc_lo
	v_add_co_u32 v205, vcc_lo, v47, v35
	v_add_co_ci_u32_e64 v206, null, v48, v36, vcc_lo
	global_load_ushort v34, v[203:204], off
	global_load_ushort v186, v[205:206], off
	s_waitcnt vmcnt(1)
	v_lshlrev_b32_e32 v34, 16, v34
	s_waitcnt vmcnt(0)
	v_lshlrev_b32_e32 v186, 16, v186
.LBB107_70:                             ;   in Loop: Header=BB107_3 Depth=1
	s_or_b32 exec_lo, exec_lo, s30
	s_waitcnt vmcnt(1)
	ds_bpermute_b32 v203, v2, v168
	ds_bpermute_b32 v207, v2, v168 offset:4
	s_waitcnt vmcnt(0)
	ds_bpermute_b32 v204, v2, v169
	ds_bpermute_b32 v209, v2, v168 offset:8
	ds_bpermute_b32 v206, v2, v169 offset:4
	;; [unrolled: 1-line block ×5, first 2 shown]
	v_add_f32_e32 v205, v201, v3
	ds_bpermute_b32 v210, v2, v169 offset:12
	ds_bpermute_b32 v215, v2, v168 offset:20
	;; [unrolled: 1-line block ×11, first 2 shown]
	s_waitcnt lgkmcnt(18)
	v_sub_f32_e32 v170, v170, v203
	s_waitcnt lgkmcnt(17)
	v_sub_f32_e32 v172, v172, v207
	ds_bpermute_b32 v225, v2, v168 offset:40
	s_waitcnt lgkmcnt(16)
	v_sub_f32_e32 v171, v171, v209
	ds_bpermute_b32 v222, v2, v169 offset:36
	v_mul_f32_e32 v3, v3, v170
	v_mul_f32_e32 v172, v4, v172
	v_add_f32_e32 v4, v4, v205
	s_waitcnt lgkmcnt(15)
	v_sub_f32_e32 v174, v174, v211
	v_mul_f32_e32 v171, v5, v171
	v_fma_f32 v203, v3, v204, v167
	ds_bpermute_b32 v207, v2, v168 offset:44
	v_add_f32_e32 v4, v5, v4
	s_waitcnt lgkmcnt(14)
	v_sub_f32_e32 v5, v173, v213
	v_mul_f32_e32 v173, v6, v174
	v_fmac_f32_e32 v203, v172, v206
	s_waitcnt lgkmcnt(8)
	v_sub_f32_e32 v174, v178, v219
	v_add_f32_e32 v4, v6, v4
	v_sub_f32_e32 v6, v176, v215
	v_mul_f32_e32 v5, v7, v5
	v_fmac_f32_e32 v203, v171, v208
	ds_bpermute_b32 v224, v2, v169 offset:40
	v_add_f32_e32 v4, v7, v4
	v_sub_f32_e32 v7, v175, v217
	v_mul_f32_e32 v6, v8, v6
	v_fmac_f32_e32 v203, v173, v210
	ds_bpermute_b32 v172, v2, v168 offset:48
	v_add_f32_e32 v4, v8, v4
	v_mul_f32_e32 v7, v9, v7
	s_waitcnt lgkmcnt(8)
	v_sub_f32_e32 v8, v177, v221
	v_fmac_f32_e32 v203, v5, v212
	v_mul_f32_e32 v174, v10, v174
	ds_bpermute_b32 v170, v2, v169 offset:44
	ds_bpermute_b32 v173, v2, v168 offset:52
	v_add_f32_e32 v4, v9, v4
	v_fmac_f32_e32 v203, v6, v214
	s_waitcnt lgkmcnt(8)
	v_sub_f32_e32 v9, v180, v223
	v_mul_f32_e32 v8, v11, v8
	ds_bpermute_b32 v3, v2, v169 offset:48
	ds_bpermute_b32 v6, v2, v168 offset:56
	v_fmac_f32_e32 v203, v7, v216
	v_add_f32_e32 v4, v10, v4
	v_mul_f32_e32 v9, v12, v9
	ds_bpermute_b32 v171, v2, v169 offset:52
	ds_bpermute_b32 v10, v2, v168 offset:60
	v_fmac_f32_e32 v203, v174, v218
	s_waitcnt lgkmcnt(10)
	v_sub_f32_e32 v174, v179, v225
	v_add_f32_e32 v4, v11, v4
	s_waitcnt lgkmcnt(8)
	v_sub_f32_e32 v11, v182, v207
	ds_bpermute_b32 v5, v2, v169 offset:56
	v_fmac_f32_e32 v203, v8, v220
	v_mul_f32_e32 v174, v13, v174
	v_add_f32_e32 v4, v12, v4
	s_waitcnt lgkmcnt(7)
	v_sub_f32_e32 v12, v181, v172
	v_mul_f32_e32 v11, v14, v11
	v_fmac_f32_e32 v203, v9, v222
	ds_bpermute_b32 v9, v2, v168 offset:64
	ds_bpermute_b32 v7, v2, v169 offset:60
	v_add_f32_e32 v4, v13, v4
	ds_bpermute_b32 v13, v2, v168 offset:68
	v_fmac_f32_e32 v203, v174, v224
	s_waitcnt lgkmcnt(8)
	v_sub_f32_e32 v172, v184, v173
	v_mul_f32_e32 v12, v15, v12
	ds_bpermute_b32 v8, v2, v169 offset:64
	v_add_f32_e32 v4, v14, v4
	v_fmac_f32_e32 v203, v11, v170
	ds_bpermute_b32 v11, v2, v168 offset:72
	s_waitcnt lgkmcnt(8)
	v_sub_f32_e32 v6, v183, v6
	v_mul_f32_e32 v14, v16, v172
	s_waitcnt lgkmcnt(6)
	v_sub_f32_e32 v10, v187, v10
	v_fmac_f32_e32 v203, v12, v3
	ds_bpermute_b32 v3, v2, v169 offset:68
	v_mul_f32_e32 v6, v17, v6
	ds_bpermute_b32 v12, v2, v169 offset:72
	v_mul_f32_e32 v10, v18, v10
	v_fmac_f32_e32 v203, v14, v171
	ds_bpermute_b32 v14, v2, v168 offset:76
	v_add_f32_e32 v4, v15, v4
	s_mov_b32 s30, 0
	s_waitcnt lgkmcnt(8)
	v_fmac_f32_e32 v203, v6, v5
	s_waitcnt lgkmcnt(7)
	v_sub_f32_e32 v5, v185, v9
	ds_bpermute_b32 v6, v2, v168 offset:80
	s_waitcnt lgkmcnt(6)
	v_sub_f32_e32 v9, v189, v13
	v_add_f32_e32 v4, v16, v4
	v_fmac_f32_e32 v203, v10, v7
	v_mul_f32_e32 v5, v19, v5
	ds_bpermute_b32 v7, v2, v169 offset:76
	v_mul_f32_e32 v9, v20, v9
	s_waitcnt lgkmcnt(5)
	v_sub_f32_e32 v10, v188, v11
	ds_bpermute_b32 v11, v2, v168 offset:84
	v_fmac_f32_e32 v203, v5, v8
	v_add_f32_e32 v4, v17, v4
	ds_bpermute_b32 v5, v2, v169 offset:80
	v_mul_f32_e32 v8, v21, v10
	ds_bpermute_b32 v10, v2, v169 offset:84
	s_waitcnt lgkmcnt(7)
	v_fmac_f32_e32 v203, v9, v3
	s_waitcnt lgkmcnt(5)
	v_sub_f32_e32 v3, v191, v14
	ds_bpermute_b32 v9, v2, v168 offset:88
	v_add_f32_e32 v4, v18, v4
	v_fmac_f32_e32 v203, v8, v12
	v_mul_f32_e32 v3, v22, v3
	ds_bpermute_b32 v8, v2, v168 offset:92
	v_add_f32_e32 v4, v19, v4
	s_waitcnt lgkmcnt(6)
	v_sub_f32_e32 v6, v190, v6
	ds_bpermute_b32 v12, v2, v169 offset:116
	s_waitcnt lgkmcnt(6)
	v_fmac_f32_e32 v203, v3, v7
	ds_bpermute_b32 v3, v2, v169 offset:88
	v_add_f32_e32 v4, v20, v4
	v_mul_f32_e32 v6, v23, v6
	s_waitcnt lgkmcnt(6)
	v_sub_f32_e32 v7, v193, v11
	ds_bpermute_b32 v11, v2, v168 offset:96
	v_add_f32_e32 v4, v21, v4
	s_waitcnt lgkmcnt(6)
	v_fmac_f32_e32 v203, v6, v5
	ds_bpermute_b32 v5, v2, v169 offset:92
	v_mul_f32_e32 v6, v24, v7
	s_waitcnt lgkmcnt(5)
	v_sub_f32_e32 v7, v192, v9
	ds_bpermute_b32 v9, v2, v168 offset:100
	v_add_f32_e32 v4, v22, v4
	v_fmac_f32_e32 v203, v6, v10
	ds_bpermute_b32 v6, v2, v169 offset:96
	v_mul_f32_e32 v7, v25, v7
	ds_bpermute_b32 v10, v2, v168 offset:104
	v_add_f32_e32 v4, v23, v4
	s_waitcnt lgkmcnt(7)
	v_sub_f32_e32 v8, v195, v8
	s_waitcnt lgkmcnt(5)
	v_fmac_f32_e32 v203, v7, v3
	ds_bpermute_b32 v3, v2, v169 offset:100
	v_add_f32_e32 v4, v24, v4
	v_mul_f32_e32 v7, v26, v8
	s_waitcnt lgkmcnt(5)
	v_sub_f32_e32 v8, v194, v11
	ds_bpermute_b32 v11, v2, v168 offset:108
	v_add_f32_e32 v4, v25, v4
	s_waitcnt lgkmcnt(5)
	v_fmac_f32_e32 v203, v7, v5
	v_mul_f32_e32 v5, v27, v8
	ds_bpermute_b32 v7, v2, v169 offset:104
	s_waitcnt lgkmcnt(5)
	v_sub_f32_e32 v8, v197, v9
	ds_bpermute_b32 v9, v2, v168 offset:112
	v_add_f32_e32 v4, v26, v4
	s_waitcnt lgkmcnt(5)
	v_fmac_f32_e32 v203, v5, v6
	ds_bpermute_b32 v5, v2, v169 offset:108
	v_mul_f32_e32 v6, v28, v8
	s_waitcnt lgkmcnt(5)
	v_sub_f32_e32 v8, v196, v10
	ds_bpermute_b32 v10, v2, v168 offset:116
	v_add_f32_e32 v4, v27, v4
	s_waitcnt lgkmcnt(5)
	v_fmac_f32_e32 v203, v6, v3
	ds_bpermute_b32 v6, v2, v169 offset:112
	v_mul_f32_e32 v3, v29, v8
	ds_bpermute_b32 v8, v2, v168 offset:120
	s_waitcnt lgkmcnt(6)
	v_sub_f32_e32 v11, v199, v11
	v_add_f32_e32 v4, v28, v4
	s_waitcnt lgkmcnt(5)
	v_fmac_f32_e32 v203, v3, v7
	v_mul_f32_e32 v3, v30, v11
	v_add_f32_e32 v4, v29, v4
	s_waitcnt lgkmcnt(4)
	v_sub_f32_e32 v7, v198, v9
	ds_bpermute_b32 v9, v2, v169 offset:120
	ds_bpermute_b32 v169, v2, v169 offset:124
	s_waitcnt lgkmcnt(5)
	v_fmac_f32_e32 v203, v3, v5
	v_add_f32_e32 v4, v30, v4
	v_mul_f32_e32 v5, v31, v7
	s_waitcnt lgkmcnt(4)
	v_sub_f32_e32 v7, v202, v10
	ds_bpermute_b32 v3, v2, v168 offset:124
	v_add_f32_e32 v4, v31, v4
	s_waitcnt lgkmcnt(4)
	v_fmac_f32_e32 v203, v5, v6
	v_mul_f32_e32 v5, v32, v7
	s_waitcnt lgkmcnt(3)
	v_sub_f32_e32 v6, v200, v8
	v_add_f32_e32 v4, v32, v4
	v_fmac_f32_e32 v203, v5, v12
	v_mul_f32_e32 v5, v33, v6
	v_add_f32_e32 v4, v33, v4
	s_waitcnt lgkmcnt(2)
	v_fmac_f32_e32 v203, v5, v9
.LBB107_71:                             ;   in Loop: Header=BB107_3 Depth=1
	s_and_b32 vcc_lo, exec_lo, s30
	s_cbranch_vccz .LBB107_137
; %bb.72:                               ;   in Loop: Header=BB107_3 Depth=1
	s_load_dword s30, s[22:23], 0x0
	v_mov_b32_e32 v168, 0
	s_waitcnt lgkmcnt(0)
	s_cmp_lt_u32 s6, s30
	s_cselect_b32 s30, 12, 18
	s_add_u32 s30, s22, s30
	s_addc_u32 s31, s23, 0
	global_load_ushort v3, v2, s[30:31]
	s_mov_b32 s30, exec_lo
	s_waitcnt vmcnt(0)
	v_mad_u32_u24 v3, v1, v3, v227
	v_and_b32_e32 v3, 31, v3
	v_add_co_u32 v3, vcc_lo, v37, v3
	v_add_co_ci_u32_e64 v4, null, 0, v38, vcc_lo
	v_mov_b32_e32 v38, 0
	v_mov_b32_e32 v37, 0
	v_cmpx_gt_i64_e64 s[8:9], v[3:4]
	s_cbranch_execz .LBB107_74
; %bb.73:                               ;   in Loop: Header=BB107_3 Depth=1
	v_lshlrev_b64 v[3:4], 2, v[3:4]
	v_add_co_u32 v5, vcc_lo, s16, v3
	v_add_co_ci_u32_e64 v6, null, s17, v4, vcc_lo
	v_add_co_u32 v3, vcc_lo, s18, v3
	v_add_co_ci_u32_e64 v4, null, s19, v4, vcc_lo
	global_load_dword v37, v[5:6], off
	global_load_dword v38, v[3:4], off
.LBB107_74:                             ;   in Loop: Header=BB107_3 Depth=1
	s_or_b32 exec_lo, exec_lo, s30
	v_mov_b32_e32 v33, v2
	v_mov_b32_e32 v3, v2
	;; [unrolled: 1-line block ×63, first 2 shown]
	s_and_saveexec_b32 s30, s1
	s_cbranch_execz .LBB107_76
; %bb.75:                               ;   in Loop: Header=BB107_3 Depth=1
	v_add_co_u32 v3, vcc_lo, v41, v35
	v_add_co_ci_u32_e64 v4, null, v42, v36, vcc_lo
	v_add_co_u32 v5, vcc_lo, v43, v35
	v_add_co_ci_u32_e64 v6, null, v44, v36, vcc_lo
	global_load_ushort v3, v[3:4], off
	global_load_ushort v168, v[5:6], off
	v_mov_b32_e32 v4, v2
	v_mov_b32_e32 v5, v2
	;; [unrolled: 1-line block ×31, first 2 shown]
	s_waitcnt vmcnt(1)
	v_lshlrev_b32_e32 v3, 16, v3
	s_waitcnt vmcnt(0)
	v_lshlrev_b32_e32 v168, 16, v168
.LBB107_76:                             ;   in Loop: Header=BB107_3 Depth=1
	s_or_b32 exec_lo, exec_lo, s30
	v_mov_b32_e32 v169, 0
	v_mov_b32_e32 v170, 0
	s_and_saveexec_b32 s30, s1
	s_cbranch_execz .LBB107_78
; %bb.77:                               ;   in Loop: Header=BB107_3 Depth=1
	v_add_co_u32 v170, vcc_lo, v163, v35
	v_add_co_ci_u32_e64 v171, null, v164, v36, vcc_lo
	v_add_co_u32 v172, vcc_lo, v165, v35
	v_add_co_ci_u32_e64 v173, null, v166, v36, vcc_lo
	global_load_ushort v4, v[170:171], off
	global_load_ushort v170, v[172:173], off
	s_waitcnt vmcnt(1)
	v_lshlrev_b32_e32 v4, 16, v4
	s_waitcnt vmcnt(0)
	v_lshlrev_b32_e32 v170, 16, v170
.LBB107_78:                             ;   in Loop: Header=BB107_3 Depth=1
	s_or_b32 exec_lo, exec_lo, s30
	s_and_saveexec_b32 s30, s1
	s_cbranch_execz .LBB107_80
; %bb.79:                               ;   in Loop: Header=BB107_3 Depth=1
	v_add_co_u32 v171, vcc_lo, v159, v35
	v_add_co_ci_u32_e64 v172, null, v160, v36, vcc_lo
	v_add_co_u32 v173, vcc_lo, v161, v35
	v_add_co_ci_u32_e64 v174, null, v162, v36, vcc_lo
	global_load_ushort v5, v[171:172], off
	global_load_ushort v169, v[173:174], off
	s_waitcnt vmcnt(1)
	v_lshlrev_b32_e32 v5, 16, v5
	s_waitcnt vmcnt(0)
	v_lshlrev_b32_e32 v169, 16, v169
.LBB107_80:                             ;   in Loop: Header=BB107_3 Depth=1
	s_or_b32 exec_lo, exec_lo, s30
	v_mov_b32_e32 v171, 0
	v_mov_b32_e32 v172, 0
	s_and_saveexec_b32 s30, s1
	s_cbranch_execz .LBB107_82
; %bb.81:                               ;   in Loop: Header=BB107_3 Depth=1
	v_add_co_u32 v172, vcc_lo, v155, v35
	v_add_co_ci_u32_e64 v173, null, v156, v36, vcc_lo
	v_add_co_u32 v174, vcc_lo, v157, v35
	v_add_co_ci_u32_e64 v175, null, v158, v36, vcc_lo
	global_load_ushort v6, v[172:173], off
	global_load_ushort v172, v[174:175], off
	s_waitcnt vmcnt(1)
	v_lshlrev_b32_e32 v6, 16, v6
	s_waitcnt vmcnt(0)
	v_lshlrev_b32_e32 v172, 16, v172
.LBB107_82:                             ;   in Loop: Header=BB107_3 Depth=1
	s_or_b32 exec_lo, exec_lo, s30
	s_and_saveexec_b32 s30, s1
	s_cbranch_execz .LBB107_84
; %bb.83:                               ;   in Loop: Header=BB107_3 Depth=1
	v_add_co_u32 v173, vcc_lo, v151, v35
	v_add_co_ci_u32_e64 v174, null, v152, v36, vcc_lo
	v_add_co_u32 v175, vcc_lo, v153, v35
	v_add_co_ci_u32_e64 v176, null, v154, v36, vcc_lo
	global_load_ushort v7, v[173:174], off
	global_load_ushort v171, v[175:176], off
	s_waitcnt vmcnt(1)
	v_lshlrev_b32_e32 v7, 16, v7
	s_waitcnt vmcnt(0)
	v_lshlrev_b32_e32 v171, 16, v171
.LBB107_84:                             ;   in Loop: Header=BB107_3 Depth=1
	;; [unrolled: 32-line block ×5, first 2 shown]
	s_or_b32 exec_lo, exec_lo, s30
	v_mov_b32_e32 v179, 0
	v_mov_b32_e32 v180, 0
	s_and_saveexec_b32 s30, s1
	s_cbranch_execz .LBB107_98
; %bb.97:                               ;   in Loop: Header=BB107_3 Depth=1
	v_add_co_u32 v180, vcc_lo, v123, v35
	v_add_co_ci_u32_e64 v181, null, v124, v36, vcc_lo
	v_add_co_u32 v182, vcc_lo, v125, v35
	v_add_co_ci_u32_e64 v183, null, v126, v36, vcc_lo
	global_load_ushort v14, v[180:181], off
	global_load_ushort v180, v[182:183], off
	s_waitcnt vmcnt(1)
	v_lshlrev_b32_e32 v14, 16, v14
	s_waitcnt vmcnt(0)
	v_lshlrev_b32_e32 v180, 16, v180
.LBB107_98:                             ;   in Loop: Header=BB107_3 Depth=1
	s_or_b32 exec_lo, exec_lo, s30
	s_and_saveexec_b32 s30, s1
	s_cbranch_execz .LBB107_100
; %bb.99:                               ;   in Loop: Header=BB107_3 Depth=1
	v_add_co_u32 v181, vcc_lo, v119, v35
	v_add_co_ci_u32_e64 v182, null, v120, v36, vcc_lo
	v_add_co_u32 v183, vcc_lo, v121, v35
	v_add_co_ci_u32_e64 v184, null, v122, v36, vcc_lo
	global_load_ushort v15, v[181:182], off
	global_load_ushort v179, v[183:184], off
	s_waitcnt vmcnt(1)
	v_lshlrev_b32_e32 v15, 16, v15
	s_waitcnt vmcnt(0)
	v_lshlrev_b32_e32 v179, 16, v179
.LBB107_100:                            ;   in Loop: Header=BB107_3 Depth=1
	s_or_b32 exec_lo, exec_lo, s30
	v_mov_b32_e32 v181, 0
	v_mov_b32_e32 v182, 0
	s_and_saveexec_b32 s30, s1
	s_cbranch_execz .LBB107_102
; %bb.101:                              ;   in Loop: Header=BB107_3 Depth=1
	v_add_co_u32 v182, vcc_lo, v115, v35
	v_add_co_ci_u32_e64 v183, null, v116, v36, vcc_lo
	v_add_co_u32 v184, vcc_lo, v117, v35
	v_add_co_ci_u32_e64 v185, null, v118, v36, vcc_lo
	global_load_ushort v16, v[182:183], off
	global_load_ushort v182, v[184:185], off
	s_waitcnt vmcnt(1)
	v_lshlrev_b32_e32 v16, 16, v16
	s_waitcnt vmcnt(0)
	v_lshlrev_b32_e32 v182, 16, v182
.LBB107_102:                            ;   in Loop: Header=BB107_3 Depth=1
	s_or_b32 exec_lo, exec_lo, s30
	s_and_saveexec_b32 s30, s1
	s_cbranch_execz .LBB107_104
; %bb.103:                              ;   in Loop: Header=BB107_3 Depth=1
	v_add_co_u32 v183, vcc_lo, v111, v35
	v_add_co_ci_u32_e64 v184, null, v112, v36, vcc_lo
	v_add_co_u32 v185, vcc_lo, v113, v35
	v_add_co_ci_u32_e64 v186, null, v114, v36, vcc_lo
	global_load_ushort v17, v[183:184], off
	global_load_ushort v181, v[185:186], off
	s_waitcnt vmcnt(1)
	v_lshlrev_b32_e32 v17, 16, v17
	s_waitcnt vmcnt(0)
	v_lshlrev_b32_e32 v181, 16, v181
.LBB107_104:                            ;   in Loop: Header=BB107_3 Depth=1
	s_or_b32 exec_lo, exec_lo, s30
	v_mov_b32_e32 v183, 0
	v_mov_b32_e32 v184, 0
	s_and_saveexec_b32 s30, s1
	s_cbranch_execz .LBB107_106
; %bb.105:                              ;   in Loop: Header=BB107_3 Depth=1
	v_add_co_u32 v184, vcc_lo, v107, v35
	v_add_co_ci_u32_e64 v185, null, v108, v36, vcc_lo
	v_add_co_u32 v186, vcc_lo, v109, v35
	v_add_co_ci_u32_e64 v187, null, v110, v36, vcc_lo
	global_load_ushort v18, v[184:185], off
	global_load_ushort v184, v[186:187], off
	s_waitcnt vmcnt(1)
	v_lshlrev_b32_e32 v18, 16, v18
	s_waitcnt vmcnt(0)
	v_lshlrev_b32_e32 v184, 16, v184
.LBB107_106:                            ;   in Loop: Header=BB107_3 Depth=1
	s_or_b32 exec_lo, exec_lo, s30
	s_and_saveexec_b32 s30, s1
	s_cbranch_execz .LBB107_108
; %bb.107:                              ;   in Loop: Header=BB107_3 Depth=1
	v_add_co_u32 v185, vcc_lo, v103, v35
	v_add_co_ci_u32_e64 v186, null, v104, v36, vcc_lo
	v_add_co_u32 v187, vcc_lo, v105, v35
	v_add_co_ci_u32_e64 v188, null, v106, v36, vcc_lo
	global_load_ushort v19, v[185:186], off
	global_load_ushort v183, v[187:188], off
	s_waitcnt vmcnt(1)
	v_lshlrev_b32_e32 v19, 16, v19
	s_waitcnt vmcnt(0)
	v_lshlrev_b32_e32 v183, 16, v183
.LBB107_108:                            ;   in Loop: Header=BB107_3 Depth=1
	;; [unrolled: 32-line block ×8, first 2 shown]
	s_or_b32 exec_lo, exec_lo, s30
	v_mov_b32_e32 v198, 0
	v_mov_b32_e32 v199, 0
	s_and_saveexec_b32 s30, s1
	s_cbranch_execnz .LBB107_139
; %bb.133:                              ;   in Loop: Header=BB107_3 Depth=1
	s_or_b32 exec_lo, exec_lo, s30
	s_and_saveexec_b32 s30, s1
	s_cbranch_execnz .LBB107_140
.LBB107_134:                            ;   in Loop: Header=BB107_3 Depth=1
	s_or_b32 exec_lo, exec_lo, s30
	v_mov_b32_e32 v186, 0
	s_and_saveexec_b32 s30, s1
	s_cbranch_execz .LBB107_136
.LBB107_135:                            ;   in Loop: Header=BB107_3 Depth=1
	v_add_co_u32 v202, vcc_lo, v45, v35
	v_add_co_ci_u32_e64 v203, null, v46, v36, vcc_lo
	v_add_co_u32 v204, vcc_lo, v47, v35
	v_add_co_ci_u32_e64 v205, null, v48, v36, vcc_lo
	global_load_ushort v34, v[202:203], off
	global_load_ushort v186, v[204:205], off
	s_waitcnt vmcnt(1)
	v_lshlrev_b32_e32 v34, 16, v34
	s_waitcnt vmcnt(0)
	v_lshlrev_b32_e32 v186, 16, v186
.LBB107_136:                            ;   in Loop: Header=BB107_3 Depth=1
	s_or_b32 exec_lo, exec_lo, s30
	s_waitcnt vmcnt(1)
	ds_bpermute_b32 v200, v2, v37
	ds_bpermute_b32 v204, v2, v37 offset:4
	s_waitcnt vmcnt(0)
	ds_bpermute_b32 v202, v2, v38
	ds_bpermute_b32 v206, v2, v37 offset:8
	ds_bpermute_b32 v203, v2, v38 offset:4
	;; [unrolled: 1-line block ×5, first 2 shown]
	v_add_f32_e32 v201, v201, v3
	ds_bpermute_b32 v207, v2, v38 offset:12
	ds_bpermute_b32 v212, v2, v37 offset:20
	;; [unrolled: 1-line block ×11, first 2 shown]
	s_waitcnt lgkmcnt(18)
	v_sub_f32_e32 v168, v168, v200
	s_waitcnt lgkmcnt(17)
	v_sub_f32_e32 v170, v170, v204
	ds_bpermute_b32 v200, v2, v37 offset:36
	s_waitcnt lgkmcnt(16)
	v_sub_f32_e32 v169, v169, v206
	ds_bpermute_b32 v219, v2, v38 offset:36
	v_mul_f32_e32 v3, v3, v168
	v_mul_f32_e32 v170, v4, v170
	v_add_f32_e32 v4, v4, v201
	s_waitcnt lgkmcnt(15)
	v_sub_f32_e32 v172, v172, v208
	v_mul_f32_e32 v169, v5, v169
	v_fmac_f32_e32 v167, v3, v202
	ds_bpermute_b32 v204, v2, v37 offset:44
	v_add_f32_e32 v4, v5, v4
	s_waitcnt lgkmcnt(14)
	v_sub_f32_e32 v5, v171, v210
	v_mul_f32_e32 v171, v6, v172
	v_fmac_f32_e32 v167, v170, v203
	s_waitcnt lgkmcnt(8)
	v_sub_f32_e32 v172, v176, v216
	v_add_f32_e32 v4, v6, v4
	v_sub_f32_e32 v6, v174, v212
	v_mul_f32_e32 v5, v7, v5
	v_fmac_f32_e32 v167, v169, v205
	ds_bpermute_b32 v220, v2, v38 offset:40
	v_add_f32_e32 v4, v7, v4
	v_sub_f32_e32 v7, v173, v214
	v_mul_f32_e32 v6, v8, v6
	v_fmac_f32_e32 v167, v171, v207
	ds_bpermute_b32 v170, v2, v37 offset:48
	v_add_f32_e32 v4, v8, v4
	v_mul_f32_e32 v7, v9, v7
	s_waitcnt lgkmcnt(8)
	v_sub_f32_e32 v8, v175, v218
	v_fmac_f32_e32 v167, v5, v209
	v_mul_f32_e32 v172, v10, v172
	ds_bpermute_b32 v168, v2, v38 offset:44
	ds_bpermute_b32 v171, v2, v37 offset:52
	v_add_f32_e32 v4, v9, v4
	v_fmac_f32_e32 v167, v6, v211
	s_waitcnt lgkmcnt(6)
	v_sub_f32_e32 v9, v178, v200
	v_mul_f32_e32 v8, v11, v8
	ds_bpermute_b32 v3, v2, v38 offset:48
	ds_bpermute_b32 v6, v2, v37 offset:56
	v_fmac_f32_e32 v167, v7, v213
	v_add_f32_e32 v4, v10, v4
	v_mul_f32_e32 v9, v12, v9
	ds_bpermute_b32 v169, v2, v38 offset:52
	ds_bpermute_b32 v10, v2, v37 offset:60
	v_fmac_f32_e32 v167, v172, v215
	v_sub_f32_e32 v172, v177, v221
	v_add_f32_e32 v4, v11, v4
	s_waitcnt lgkmcnt(8)
	v_sub_f32_e32 v11, v180, v204
	ds_bpermute_b32 v5, v2, v38 offset:56
	v_fmac_f32_e32 v167, v8, v217
	v_mul_f32_e32 v172, v13, v172
	v_add_f32_e32 v4, v12, v4
	s_waitcnt lgkmcnt(7)
	v_sub_f32_e32 v12, v179, v170
	v_mul_f32_e32 v11, v14, v11
	v_fmac_f32_e32 v167, v9, v219
	ds_bpermute_b32 v9, v2, v37 offset:64
	ds_bpermute_b32 v7, v2, v38 offset:60
	v_add_f32_e32 v4, v13, v4
	ds_bpermute_b32 v13, v2, v37 offset:68
	v_fmac_f32_e32 v167, v172, v220
	s_waitcnt lgkmcnt(8)
	v_sub_f32_e32 v170, v182, v171
	v_mul_f32_e32 v12, v15, v12
	ds_bpermute_b32 v8, v2, v38 offset:64
	v_add_f32_e32 v4, v14, v4
	v_fmac_f32_e32 v167, v11, v168
	ds_bpermute_b32 v11, v2, v37 offset:72
	s_waitcnt lgkmcnt(8)
	v_sub_f32_e32 v6, v181, v6
	v_mul_f32_e32 v14, v16, v170
	s_waitcnt lgkmcnt(6)
	v_sub_f32_e32 v10, v184, v10
	v_fmac_f32_e32 v167, v12, v3
	ds_bpermute_b32 v3, v2, v38 offset:68
	v_mul_f32_e32 v6, v17, v6
	ds_bpermute_b32 v12, v2, v38 offset:72
	v_mul_f32_e32 v10, v18, v10
	v_fmac_f32_e32 v167, v14, v169
	ds_bpermute_b32 v14, v2, v37 offset:76
	v_add_f32_e32 v4, v15, v4
	ds_bpermute_b32 v169, v2, v38 offset:124
	s_waitcnt lgkmcnt(9)
	v_fmac_f32_e32 v167, v6, v5
	s_waitcnt lgkmcnt(8)
	v_sub_f32_e32 v5, v183, v9
	ds_bpermute_b32 v9, v2, v37 offset:80
	s_waitcnt lgkmcnt(7)
	v_sub_f32_e32 v6, v187, v13
	v_add_f32_e32 v4, v16, v4
	v_fmac_f32_e32 v167, v10, v7
	v_mul_f32_e32 v5, v19, v5
	ds_bpermute_b32 v7, v2, v38 offset:76
	s_waitcnt lgkmcnt(6)
	v_sub_f32_e32 v10, v185, v11
	ds_bpermute_b32 v11, v2, v37 offset:84
	v_mul_f32_e32 v6, v20, v6
	v_fmac_f32_e32 v167, v5, v8
	ds_bpermute_b32 v5, v2, v38 offset:80
	v_mul_f32_e32 v8, v21, v10
	ds_bpermute_b32 v10, v2, v38 offset:84
	v_add_f32_e32 v4, v17, v4
	s_waitcnt lgkmcnt(8)
	v_fmac_f32_e32 v167, v6, v3
	ds_bpermute_b32 v3, v2, v37 offset:88
	s_waitcnt lgkmcnt(7)
	v_sub_f32_e32 v6, v189, v14
	v_add_f32_e32 v4, v18, v4
	v_fmac_f32_e32 v167, v8, v12
	ds_bpermute_b32 v8, v2, v37 offset:92
	v_mul_f32_e32 v6, v22, v6
	s_waitcnt lgkmcnt(6)
	v_sub_f32_e32 v9, v188, v9
	v_add_f32_e32 v4, v19, v4
	s_waitcnt lgkmcnt(5)
	v_fmac_f32_e32 v167, v6, v7
	ds_bpermute_b32 v6, v2, v38 offset:88
	v_mul_f32_e32 v7, v23, v9
	s_waitcnt lgkmcnt(5)
	v_sub_f32_e32 v9, v191, v11
	ds_bpermute_b32 v11, v2, v37 offset:96
	v_add_f32_e32 v4, v20, v4
	s_waitcnt lgkmcnt(5)
	v_fmac_f32_e32 v167, v7, v5
	ds_bpermute_b32 v5, v2, v38 offset:92
	v_mul_f32_e32 v7, v24, v9
	s_waitcnt lgkmcnt(4)
	v_sub_f32_e32 v3, v190, v3
	ds_bpermute_b32 v9, v2, v37 offset:100
	v_add_f32_e32 v4, v21, v4
	v_fmac_f32_e32 v167, v7, v10
	ds_bpermute_b32 v7, v2, v38 offset:96
	v_mul_f32_e32 v3, v25, v3
	s_waitcnt lgkmcnt(5)
	v_sub_f32_e32 v8, v193, v8
	ds_bpermute_b32 v10, v2, v37 offset:104
	v_add_f32_e32 v4, v22, v4
	s_waitcnt lgkmcnt(5)
	v_fmac_f32_e32 v167, v3, v6
	ds_bpermute_b32 v3, v2, v38 offset:100
	v_mul_f32_e32 v6, v26, v8
	s_waitcnt lgkmcnt(5)
	v_sub_f32_e32 v8, v192, v11
	ds_bpermute_b32 v11, v2, v37 offset:108
	v_add_f32_e32 v4, v23, v4
	s_waitcnt lgkmcnt(5)
	v_fmac_f32_e32 v167, v6, v5
	v_mul_f32_e32 v5, v27, v8
	ds_bpermute_b32 v6, v2, v38 offset:104
	v_add_f32_e32 v4, v24, v4
	s_waitcnt lgkmcnt(5)
	v_sub_f32_e32 v8, v195, v9
	ds_bpermute_b32 v9, v2, v37 offset:112
	s_waitcnt lgkmcnt(5)
	v_fmac_f32_e32 v167, v5, v7
	ds_bpermute_b32 v7, v2, v38 offset:108
	v_add_f32_e32 v4, v25, v4
	v_mul_f32_e32 v5, v28, v8
	s_waitcnt lgkmcnt(5)
	v_sub_f32_e32 v8, v194, v10
	ds_bpermute_b32 v10, v2, v37 offset:116
	v_add_f32_e32 v4, v26, v4
	s_waitcnt lgkmcnt(5)
	v_fmac_f32_e32 v167, v5, v3
	v_mul_f32_e32 v3, v29, v8
	ds_bpermute_b32 v5, v2, v38 offset:112
	s_waitcnt lgkmcnt(5)
	v_sub_f32_e32 v8, v197, v11
	ds_bpermute_b32 v11, v2, v37 offset:120
	v_add_f32_e32 v4, v27, v4
	s_waitcnt lgkmcnt(5)
	v_fmac_f32_e32 v167, v3, v6
	v_mul_f32_e32 v3, v30, v8
	ds_bpermute_b32 v6, v2, v38 offset:116
	v_add_f32_e32 v4, v28, v4
	s_waitcnt lgkmcnt(5)
	v_sub_f32_e32 v8, v196, v9
	s_waitcnt lgkmcnt(4)
	v_fmac_f32_e32 v167, v3, v7
	ds_bpermute_b32 v7, v2, v38 offset:120
	v_add_f32_e32 v4, v29, v4
	v_mul_f32_e32 v3, v31, v8
	s_waitcnt lgkmcnt(4)
	v_sub_f32_e32 v8, v199, v10
	v_add_f32_e32 v4, v30, v4
	s_waitcnt lgkmcnt(3)
	v_fmac_f32_e32 v167, v3, v5
	v_mul_f32_e32 v5, v32, v8
	s_waitcnt lgkmcnt(2)
	v_sub_f32_e32 v8, v198, v11
	ds_bpermute_b32 v3, v2, v37 offset:124
	v_add_f32_e32 v4, v31, v4
	s_waitcnt lgkmcnt(2)
	v_fmac_f32_e32 v167, v5, v6
	v_mul_f32_e32 v5, v33, v8
	v_add_f32_e32 v4, v32, v4
	s_waitcnt lgkmcnt(1)
	v_fmac_f32_e32 v167, v5, v7
	v_add_f32_e32 v4, v33, v4
	v_mov_b32_e32 v203, v167
.LBB107_137:                            ;   in Loop: Header=BB107_3 Depth=1
	v_add_co_u32 v41, vcc_lo, v41, s2
	v_add_co_ci_u32_e64 v42, null, s3, v42, vcc_lo
	v_add_co_u32 v43, vcc_lo, v43, s2
	v_add_co_ci_u32_e64 v44, null, s3, v44, vcc_lo
	;; [unrolled: 2-line block ×59, first 2 shown]
	v_add_co_u32 v157, vcc_lo, v157, s2
	s_waitcnt lgkmcnt(0)
	v_sub_f32_e32 v3, v186, v3
	v_add_co_ci_u32_e64 v158, null, s3, v158, vcc_lo
	v_add_co_u32 v159, vcc_lo, v159, s2
	v_add_co_ci_u32_e64 v160, null, s3, v160, vcc_lo
	v_add_co_u32 v161, vcc_lo, v161, s2
	s_add_u32 s26, s26, s29
	v_add_co_ci_u32_e64 v162, null, s3, v162, vcc_lo
	v_add_co_u32 v163, vcc_lo, v163, s2
	v_mul_f32_e32 v3, v34, v3
	s_addc_u32 s27, s27, 0
	v_add_co_ci_u32_e64 v164, null, s3, v164, vcc_lo
	v_add_co_u32 v165, vcc_lo, v165, s2
	v_cmp_lt_i64_e64 s30, s[26:27], s[8:9]
	v_add_co_ci_u32_e64 v166, null, s3, v166, vcc_lo
	v_add_co_u32 v39, vcc_lo, v39, s29
	v_add_f32_e32 v201, v4, v34
	v_fmac_f32_e32 v203, v3, v169
	v_add_co_ci_u32_e64 v40, null, 0, v40, vcc_lo
	s_add_u32 s24, s24, s29
	s_addc_u32 s25, 0, s25
	s_and_b32 vcc_lo, exec_lo, s30
	s_cbranch_vccz .LBB107_142
; %bb.138:                              ;   in Loop: Header=BB107_3 Depth=1
	v_mov_b32_e32 v167, v203
	s_branch .LBB107_3
.LBB107_139:                            ;   in Loop: Header=BB107_3 Depth=1
	v_add_co_u32 v199, vcc_lo, v53, v35
	v_add_co_ci_u32_e64 v200, null, v54, v36, vcc_lo
	v_add_co_u32 v202, vcc_lo, v55, v35
	v_add_co_ci_u32_e64 v203, null, v56, v36, vcc_lo
	global_load_ushort v32, v[199:200], off
	global_load_ushort v186, v[202:203], off
	s_waitcnt vmcnt(1)
	v_lshlrev_b32_e32 v32, 16, v32
	s_waitcnt vmcnt(0)
	v_lshlrev_b32_e32 v199, 16, v186
	s_or_b32 exec_lo, exec_lo, s30
	s_and_saveexec_b32 s30, s1
	s_cbranch_execz .LBB107_134
.LBB107_140:                            ;   in Loop: Header=BB107_3 Depth=1
	v_add_co_u32 v202, vcc_lo, v49, v35
	v_add_co_ci_u32_e64 v203, null, v50, v36, vcc_lo
	v_add_co_u32 v204, vcc_lo, v51, v35
	v_add_co_ci_u32_e64 v205, null, v52, v36, vcc_lo
	global_load_ushort v33, v[202:203], off
	global_load_ushort v186, v[204:205], off
	s_waitcnt vmcnt(1)
	v_lshlrev_b32_e32 v33, 16, v33
	s_waitcnt vmcnt(0)
	v_lshlrev_b32_e32 v198, 16, v186
	s_or_b32 exec_lo, exec_lo, s30
	v_mov_b32_e32 v186, 0
	s_and_saveexec_b32 s30, s1
	s_cbranch_execnz .LBB107_135
	s_branch .LBB107_136
.LBB107_141:
                                        ; implicit-def: $vgpr203
                                        ; implicit-def: $vgpr201
	s_branch .LBB107_143
.LBB107_142:
	s_cbranch_execnz .LBB107_220
.LBB107_143:
	v_mov_b32_e32 v203, 0
	v_mov_b32_e32 v201, 0
	s_andn2_b32 vcc_lo, exec_lo, s28
	s_cbranch_vccnz .LBB107_220
; %bb.144:
	v_mov_b32_e32 v0, v1
	v_lshlrev_b32_e32 v225, 5, v1
	s_add_u32 s2, s4, 64
	s_addc_u32 s3, s5, 0
	s_lshl_b64 s[22:23], s[20:21], 1
	buffer_store_dword v0, off, s[36:39], 0 offset:292 ; 4-byte Folded Spill
	buffer_store_dword v1, off, s[36:39], 0 offset:296 ; 4-byte Folded Spill
	v_add_co_u32 v0, s1, v225, s20
	v_mov_b32_e32 v223, 0
	v_mov_b32_e32 v204, 0
	v_mul_lo_u32 v6, s11, v0
	v_lshlrev_b32_e32 v2, 6, v1
	v_add_co_ci_u32_e64 v1, null, 0, 0, s1
	v_add_co_u32 v4, s1, v2, s22
	v_add_co_ci_u32_e64 v5, null, 0, s23, s1
	v_mul_lo_u32 v7, s10, v1
	v_add_co_u32 v8, vcc_lo, v4, 2
	v_add_co_ci_u32_e64 v9, null, 0, v5, vcc_lo
	v_mad_u64_u32 v[2:3], null, s10, v0, 0
	v_add_co_u32 v10, vcc_lo, v4, 4
	v_add_co_ci_u32_e64 v12, null, 0, v5, vcc_lo
	v_add_co_u32 v13, vcc_lo, v4, 6
	v_add_co_ci_u32_e64 v14, null, 0, v5, vcc_lo
	;; [unrolled: 2-line block ×4, first 2 shown]
	v_add3_u32 v3, v3, v7, v6
	v_add_co_u32 v6, vcc_lo, v4, 12
	v_mad_u64_u32 v[35:36], null, s10, v8, s[12:13]
	v_mul_lo_u32 v9, s10, v9
	v_mul_lo_u32 v11, s11, v8
	v_mad_u64_u32 v[49:50], null, s10, v8, s[14:15]
	v_add_co_ci_u32_e64 v7, null, 0, v5, vcc_lo
	v_add_co_u32 v23, vcc_lo, v4, 14
	v_mad_u64_u32 v[37:38], null, s10, v10, s[12:13]
	v_mul_lo_u32 v12, s10, v12
	v_mul_lo_u32 v15, s11, v10
	v_mad_u64_u32 v[53:54], null, s10, v10, s[14:15]
	v_add_co_ci_u32_e64 v24, null, 0, v5, vcc_lo
	v_add_co_u32 v26, vcc_lo, v4, 16
	v_add_co_ci_u32_e64 v27, null, 0, v5, vcc_lo
	v_mad_u64_u32 v[45:46], null, s10, v6, s[12:13]
	v_mul_lo_u32 v7, s10, v7
	v_mul_lo_u32 v25, s11, v6
	v_mad_u64_u32 v[63:64], null, s10, v6, s[14:15]
	v_add3_u32 v36, v11, v36, v9
	v_mad_u64_u32 v[47:48], null, s10, v23, s[12:13]
	v_mul_lo_u32 v24, s10, v24
	v_mul_lo_u32 v8, s11, v23
	v_add3_u32 v50, v11, v50, v9
	v_add_co_u32 v9, vcc_lo, v4, 18
	v_mad_u64_u32 v[65:66], null, s10, v23, s[14:15]
	v_add3_u32 v38, v15, v38, v12
	v_mad_u64_u32 v[51:52], null, s10, v26, s[12:13]
	v_add_co_ci_u32_e64 v10, null, 0, v5, vcc_lo
	v_mul_lo_u32 v11, s10, v27
	v_add3_u32 v54, v15, v54, v12
	v_mul_lo_u32 v12, s11, v26
	v_mad_u64_u32 v[67:68], null, s10, v26, s[14:15]
	v_add3_u32 v46, v25, v46, v7
	v_add3_u32 v64, v25, v64, v7
	v_add_co_u32 v7, vcc_lo, v4, 20
	v_mad_u64_u32 v[59:60], null, s10, v9, s[12:13]
	v_mul_lo_u32 v10, s10, v10
	v_mul_lo_u32 v6, s11, v9
	v_mad_u64_u32 v[69:70], null, s10, v9, s[14:15]
	v_add3_u32 v48, v8, v48, v24
	v_add3_u32 v66, v8, v66, v24
	v_add_co_ci_u32_e64 v8, null, 0, v5, vcc_lo
	v_add_co_u32 v9, vcc_lo, v4, 22
	v_add3_u32 v52, v12, v52, v11
	v_add3_u32 v68, v12, v68, v11
	v_add_co_ci_u32_e64 v11, null, 0, v5, vcc_lo
	v_mad_u64_u32 v[71:72], null, s10, v7, s[12:13]
	v_mul_lo_u32 v8, s10, v8
	v_mul_lo_u32 v12, s11, v7
	v_mad_u64_u32 v[73:74], null, s10, v7, s[14:15]
	v_add3_u32 v60, v6, v60, v10
	v_add3_u32 v70, v6, v70, v10
	v_mul_lo_u32 v6, s10, v11
	v_mul_lo_u32 v7, s11, v9
	v_mad_u64_u32 v[75:76], null, s10, v9, s[12:13]
	v_mad_u64_u32 v[77:78], null, s10, v9, s[14:15]
	v_add_co_u32 v9, vcc_lo, v4, 24
	v_add_co_ci_u32_e64 v10, null, 0, v5, vcc_lo
	v_add3_u32 v72, v12, v72, v8
	v_add3_u32 v74, v12, v74, v8
	v_add_co_u32 v8, vcc_lo, v4, 26
	v_add3_u32 v76, v7, v76, v6
	v_add3_u32 v78, v7, v78, v6
	v_mul_lo_u32 v6, s10, v10
	v_add_co_ci_u32_e64 v10, null, 0, v5, vcc_lo
	v_mul_lo_u32 v7, s11, v9
	v_mad_u64_u32 v[79:80], null, s10, v9, s[12:13]
	v_mad_u64_u32 v[81:82], null, s10, v9, s[14:15]
	v_mul_lo_u32 v9, s10, v10
	v_mul_lo_u32 v10, s11, v8
	v_mad_u64_u32 v[83:84], null, s10, v8, s[12:13]
	v_mad_u64_u32 v[85:86], null, s10, v8, s[14:15]
	v_add_co_u32 v8, vcc_lo, v4, 28
	v_add_co_ci_u32_e64 v11, null, 0, v5, vcc_lo
	v_add3_u32 v84, v10, v84, v9
	v_add3_u32 v80, v7, v80, v6
	;; [unrolled: 1-line block ×3, first 2 shown]
	v_add_co_u32 v9, vcc_lo, v4, 30
	v_add_co_ci_u32_e64 v10, null, 0, v5, vcc_lo
	v_add3_u32 v82, v7, v82, v6
	v_mul_lo_u32 v6, s10, v11
	v_mul_lo_u32 v7, s11, v8
	v_mad_u64_u32 v[87:88], null, s10, v8, s[12:13]
	v_mad_u64_u32 v[89:90], null, s10, v8, s[14:15]
	v_mul_lo_u32 v8, s10, v10
	v_mul_lo_u32 v10, s11, v9
	v_mad_u64_u32 v[91:92], null, s10, v9, s[12:13]
	v_mad_u64_u32 v[93:94], null, s10, v9, s[14:15]
	v_add_co_u32 v9, vcc_lo, v4, 32
	v_add_co_ci_u32_e64 v11, null, 0, v5, vcc_lo
	v_add3_u32 v88, v7, v88, v6
	v_add3_u32 v90, v7, v90, v6
	v_mul_lo_u32 v7, s11, v9
	v_mul_lo_u32 v6, s10, v11
	v_mad_u64_u32 v[95:96], null, s10, v9, s[12:13]
	v_mad_u64_u32 v[97:98], null, s10, v9, s[14:15]
	v_add3_u32 v92, v10, v92, v8
	v_add3_u32 v94, v10, v94, v8
	v_mad_u64_u32 v[39:40], null, s10, v13, s[12:13]
	v_add3_u32 v96, v7, v96, v6
	v_mul_lo_u32 v17, s11, v13
	v_add3_u32 v98, v7, v98, v6
	v_add_co_u32 v6, vcc_lo, v4, 34
	v_add_co_ci_u32_e64 v7, null, 0, v5, vcc_lo
	v_mad_u64_u32 v[55:56], null, s10, v13, s[14:15]
	v_mul_lo_u32 v8, s11, v6
	v_mul_lo_u32 v7, s10, v7
	v_mad_u64_u32 v[99:100], null, s10, v6, s[12:13]
	v_mad_u64_u32 v[101:102], null, s10, v6, s[14:15]
	v_add_co_u32 v6, vcc_lo, v4, 36
	v_mul_lo_u32 v14, s10, v14
	v_mad_u64_u32 v[41:42], null, s10, v16, s[12:13]
	v_add3_u32 v100, v8, v100, v7
	v_add3_u32 v102, v8, v102, v7
	v_add_co_ci_u32_e64 v7, null, 0, v5, vcc_lo
	v_mul_lo_u32 v8, s11, v6
	v_mad_u64_u32 v[103:104], null, s10, v6, s[12:13]
	v_mul_lo_u32 v7, s10, v7
	v_mad_u64_u32 v[105:106], null, s10, v6, s[14:15]
	v_add_co_u32 v6, vcc_lo, v4, 38
	v_add3_u32 v40, v17, v40, v14
	v_add3_u32 v56, v17, v56, v14
	v_mul_lo_u32 v21, s11, v16
	v_add3_u32 v104, v8, v104, v7
	v_add3_u32 v106, v8, v106, v7
	v_add_co_ci_u32_e64 v7, null, 0, v5, vcc_lo
	v_mul_lo_u32 v8, s11, v6
	v_mad_u64_u32 v[107:108], null, s10, v6, s[12:13]
	v_mul_lo_u32 v7, s10, v7
	v_mad_u64_u32 v[109:110], null, s10, v6, s[14:15]
	v_add_co_u32 v6, vcc_lo, v4, 40
	v_mad_u64_u32 v[57:58], null, s10, v16, s[14:15]
	v_mul_lo_u32 v18, s10, v18
	v_add3_u32 v108, v8, v108, v7
	v_add3_u32 v110, v8, v110, v7
	v_add_co_ci_u32_e64 v7, null, 0, v5, vcc_lo
	v_mul_lo_u32 v8, s11, v6
	v_mad_u64_u32 v[111:112], null, s10, v6, s[12:13]
	v_mul_lo_u32 v7, s10, v7
	v_mad_u64_u32 v[113:114], null, s10, v6, s[14:15]
	v_add_co_u32 v6, vcc_lo, v4, 42
	v_mad_u64_u32 v[43:44], null, s10, v19, s[12:13]
	v_mul_lo_u32 v22, s11, v19
	v_add3_u32 v112, v8, v112, v7
	v_add3_u32 v114, v8, v114, v7
	v_add_co_ci_u32_e64 v7, null, 0, v5, vcc_lo
	v_mul_lo_u32 v8, s11, v6
	v_mad_u64_u32 v[115:116], null, s10, v6, s[12:13]
	v_mul_lo_u32 v7, s10, v7
	v_mad_u64_u32 v[117:118], null, s10, v6, s[14:15]
	v_add_co_u32 v6, vcc_lo, v4, 44
	v_add3_u32 v42, v21, v42, v18
	v_mad_u64_u32 v[61:62], null, s10, v19, s[14:15]
	v_add3_u32 v116, v8, v116, v7
	v_add3_u32 v118, v8, v118, v7
	v_add_co_ci_u32_e64 v7, null, 0, v5, vcc_lo
	v_mul_lo_u32 v8, s11, v6
	v_mad_u64_u32 v[119:120], null, s10, v6, s[12:13]
	v_mul_lo_u32 v7, s10, v7
	v_mad_u64_u32 v[121:122], null, s10, v6, s[14:15]
	v_add_co_u32 v6, vcc_lo, v4, 46
	v_add3_u32 v58, v21, v58, v18
	v_mul_lo_u32 v20, s10, v20
	s_load_dword s1, s[4:5], 0x44
	v_add3_u32 v120, v8, v120, v7
	v_add3_u32 v122, v8, v122, v7
	v_add_co_ci_u32_e64 v7, null, 0, v5, vcc_lo
	v_mul_lo_u32 v8, s11, v6
	v_mad_u64_u32 v[123:124], null, s10, v6, s[12:13]
	v_mul_lo_u32 v7, s10, v7
	v_mad_u64_u32 v[125:126], null, s10, v6, s[14:15]
	v_add_co_u32 v6, vcc_lo, v4, 48
	v_add3_u32 v44, v22, v44, v20
	v_add3_u32 v62, v22, v62, v20
	s_mov_b64 s[22:23], s[20:21]
	v_add3_u32 v124, v8, v124, v7
	v_add3_u32 v126, v8, v126, v7
	v_add_co_ci_u32_e64 v7, null, 0, v5, vcc_lo
	v_mul_lo_u32 v8, s11, v6
	v_mad_u64_u32 v[127:128], null, s10, v6, s[12:13]
	v_mul_lo_u32 v7, s10, v7
	v_mad_u64_u32 v[129:130], null, s10, v6, s[14:15]
	v_add_co_u32 v6, vcc_lo, v4, 50
	s_waitcnt lgkmcnt(0)
	s_lshl_b32 s1, s1, 5
	v_add3_u32 v128, v8, v128, v7
	v_add3_u32 v130, v8, v130, v7
	v_add_co_ci_u32_e64 v7, null, 0, v5, vcc_lo
	v_mul_lo_u32 v8, s11, v6
	v_mad_u64_u32 v[131:132], null, s10, v6, s[12:13]
	v_mul_lo_u32 v7, s10, v7
	v_mad_u64_u32 v[133:134], null, s10, v6, s[14:15]
	v_add_co_u32 v6, vcc_lo, v4, 52
	v_add3_u32 v132, v8, v132, v7
	v_add3_u32 v134, v8, v134, v7
	v_add_co_ci_u32_e64 v7, null, 0, v5, vcc_lo
	v_mul_lo_u32 v8, s11, v6
	v_mad_u64_u32 v[135:136], null, s10, v6, s[12:13]
	v_mul_lo_u32 v7, s10, v7
	v_mad_u64_u32 v[137:138], null, s10, v6, s[14:15]
	v_add_co_u32 v6, vcc_lo, v4, 54
	;; [unrolled: 8-line block ×5, first 2 shown]
	v_add3_u32 v148, v8, v148, v7
	v_add3_u32 v150, v8, v150, v7
	v_add_co_ci_u32_e64 v7, null, 0, v5, vcc_lo
	v_add_co_u32 v4, vcc_lo, v4, 62
	v_add_co_ci_u32_e64 v5, null, 0, v5, vcc_lo
	v_mul_lo_u32 v8, s11, v6
	v_mad_u64_u32 v[151:152], null, s10, v6, s[12:13]
	v_mad_u64_u32 v[153:154], null, s10, v6, s[14:15]
	v_mul_lo_u32 v5, s10, v5
	v_mul_lo_u32 v6, s11, v4
	v_mad_u64_u32 v[155:156], null, s10, v4, s[12:13]
	v_mad_u64_u32 v[157:158], null, s10, v4, s[14:15]
	v_mul_lo_u32 v7, s10, v7
	v_add_co_u32 v4, vcc_lo, v0, 31
	v_add3_u32 v156, v6, v156, v5
	v_add3_u32 v158, v6, v158, v5
	v_add_co_ci_u32_e64 v5, null, 0, v1, vcc_lo
	v_add3_u32 v152, v8, v152, v7
	v_add3_u32 v154, v8, v154, v7
	v_mul_lo_u32 v7, s11, v4
	v_mul_lo_u32 v6, s10, v5
	v_mad_u64_u32 v[4:5], null, s10, v4, 0
	v_add3_u32 v5, v5, v6, v7
	v_add_co_u32 v6, vcc_lo, v0, 30
	v_add_co_ci_u32_e64 v7, null, 0, v1, vcc_lo
	v_mul_lo_u32 v9, s11, v6
	v_mul_lo_u32 v8, s10, v7
	v_mad_u64_u32 v[6:7], null, s10, v6, 0
	v_add3_u32 v7, v7, v8, v9
	v_add_co_u32 v8, vcc_lo, v0, 29
	v_add_co_ci_u32_e64 v9, null, 0, v1, vcc_lo
	;; [unrolled: 6-line block ×15, first 2 shown]
	v_mul_lo_u32 v162, s11, v34
	v_mul_lo_u32 v161, s10, v159
	v_mad_u64_u32 v[159:160], null, s10, v34, 0
	v_add_co_u32 v34, vcc_lo, v0, 15
	v_mul_lo_u32 v164, s11, v34
	v_add3_u32 v160, v160, v161, v162
	v_add_co_ci_u32_e64 v161, null, 0, v1, vcc_lo
	v_mul_lo_u32 v163, s10, v161
	v_mad_u64_u32 v[161:162], null, s10, v34, 0
	v_add_co_u32 v34, vcc_lo, v0, 14
	v_mad_u64_u32 v[168:169], null, s10, v34, 0
	v_add3_u32 v162, v162, v163, v164
	v_add_co_ci_u32_e64 v163, null, 0, v1, vcc_lo
	v_mul_lo_u32 v164, s11, v34
	v_add_co_u32 v34, vcc_lo, v0, 13
	v_mul_lo_u32 v163, s10, v163
	v_mad_u64_u32 v[170:171], null, s10, v34, 0
	v_add3_u32 v169, v169, v163, v164
	v_add_co_ci_u32_e64 v163, null, 0, v1, vcc_lo
	v_mul_lo_u32 v164, s11, v34
	v_add_co_u32 v34, vcc_lo, v0, 12
	v_mul_lo_u32 v163, s10, v163
	;; [unrolled: 6-line block ×11, first 2 shown]
	v_mad_u64_u32 v[190:191], null, s10, v34, 0
	v_add3_u32 v189, v189, v163, v164
	v_add_co_ci_u32_e64 v163, null, 0, v1, vcc_lo
	v_add_co_u32 v0, vcc_lo, v0, 2
	v_add_co_ci_u32_e64 v1, null, 0, v1, vcc_lo
	v_mul_lo_u32 v164, s11, v34
	v_mul_lo_u32 v34, s11, v0
	v_mad_u64_u32 v[193:194], null, s10, v0, 0
	v_mul_lo_u32 v1, s10, v1
	v_mul_lo_u32 v163, s10, v163
	v_add_co_u32 v197, vcc_lo, v2, s10
	v_add_co_ci_u32_e64 v198, null, s11, v3, vcc_lo
	v_add3_u32 v194, v194, v1, v34
	v_lshlrev_b64 v[0:1], 1, v[2:3]
	v_add3_u32 v191, v191, v163, v164
	v_add_co_u32 v164, vcc_lo, s12, v0
	v_add_co_ci_u32_e64 v165, null, s13, v1, vcc_lo
	v_add_co_u32 v166, vcc_lo, s14, v0
	v_add_co_ci_u32_e64 v167, null, s15, v1, vcc_lo
	v_lshlrev_b64 v[0:1], 1, v[4:5]
	v_mov_b32_e32 v4, v227
	v_add_co_u32 v2, vcc_lo, s12, v0
	buffer_store_dword v4, off, s[36:39], 0 offset:300 ; 4-byte Folded Spill
	buffer_store_dword v2, off, s[36:39], 0 ; 4-byte Folded Spill
	v_add_co_ci_u32_e64 v2, null, s13, v1, vcc_lo
	v_add_co_u32 v0, vcc_lo, s14, v0
	buffer_store_dword v2, off, s[36:39], 0 offset:4 ; 4-byte Folded Spill
	buffer_store_dword v0, off, s[36:39], 0 offset:8 ; 4-byte Folded Spill
	v_add_co_ci_u32_e64 v0, null, s15, v1, vcc_lo
	buffer_store_dword v0, off, s[36:39], 0 offset:12 ; 4-byte Folded Spill
	v_lshlrev_b64 v[0:1], 1, v[6:7]
	v_add_co_u32 v2, vcc_lo, s12, v0
	buffer_store_dword v2, off, s[36:39], 0 offset:16 ; 4-byte Folded Spill
	v_add_co_ci_u32_e64 v2, null, s13, v1, vcc_lo
	v_add_co_u32 v0, vcc_lo, s14, v0
	buffer_store_dword v2, off, s[36:39], 0 offset:20 ; 4-byte Folded Spill
	buffer_store_dword v0, off, s[36:39], 0 offset:24 ; 4-byte Folded Spill
	v_add_co_ci_u32_e64 v0, null, s15, v1, vcc_lo
	buffer_store_dword v0, off, s[36:39], 0 offset:28 ; 4-byte Folded Spill
	v_lshlrev_b64 v[0:1], 1, v[8:9]
	v_add_co_u32 v2, vcc_lo, s12, v0
	buffer_store_dword v2, off, s[36:39], 0 offset:32 ; 4-byte Folded Spill
	;; [unrolled: 9-line block ×14, first 2 shown]
	v_add_co_ci_u32_e64 v2, null, s13, v1, vcc_lo
	v_add_co_u32 v226, vcc_lo, s14, v0
	v_add_co_ci_u32_e64 v227, null, s15, v1, vcc_lo
	v_lshlrev_b64 v[0:1], 1, v[159:160]
	buffer_store_dword v2, off, s[36:39], 0 offset:228 ; 4-byte Folded Spill
	v_add_co_u32 v228, vcc_lo, s12, v0
	v_add_co_ci_u32_e64 v229, null, s13, v1, vcc_lo
	v_add_co_u32 v230, vcc_lo, s14, v0
	v_add_co_ci_u32_e64 v231, null, s15, v1, vcc_lo
	v_lshlrev_b64 v[0:1], 1, v[161:162]
	v_add_co_u32 v232, vcc_lo, s12, v0
	v_add_co_ci_u32_e64 v233, null, s13, v1, vcc_lo
	v_add_co_u32 v234, vcc_lo, s14, v0
	v_add_co_ci_u32_e64 v235, null, s15, v1, vcc_lo
	v_lshlrev_b64 v[0:1], 1, v[168:169]
	;; [unrolled: 5-line block ×15, first 2 shown]
	v_add_co_u32 v197, vcc_lo, s12, v2
	v_add_co_ci_u32_e64 v198, null, s13, v3, vcc_lo
	v_add_co_u32 v199, vcc_lo, s14, v2
	v_mov_b32_e32 v2, 0
	v_add_co_ci_u32_e64 v200, null, s15, v3, vcc_lo
	v_add_nc_u32_e32 v3, s7, v4
	s_mul_i32 s7, s11, s1
	v_mov_b32_e32 v4, v2
	s_mul_hi_u32 s12, s10, s1
	v_mov_b32_e32 v202, v2
	s_add_i32 s13, s12, s7
	s_mul_i32 s12, s10, s1
	v_lshlrev_b64 v[159:160], 1, v[3:4]
	s_lshl_b64 s[12:13], s[12:13], 1
	s_mov_b64 s[14:15], 31
.LBB107_145:                            ; =>This Inner Loop Header: Depth=1
	s_add_u32 s24, s20, s14
	s_addc_u32 s25, 0, s15
	v_add_co_u32 v161, vcc_lo, s20, v225
	v_cmp_ge_i64_e64 s7, s[24:25], s[8:9]
	v_add_co_ci_u32_e64 v162, null, 0, v202, vcc_lo
                                        ; implicit-def: $vgpr201
                                        ; implicit-def: $vgpr203
	s_and_b32 vcc_lo, exec_lo, s7
	s_mov_b32 s7, -1
	s_cbranch_vccz .LBB107_213
; %bb.146:                              ;   in Loop: Header=BB107_145 Depth=1
	s_load_dword s7, s[2:3], 0xc
	s_clause 0x2
	buffer_load_dword v3, off, s[36:39], 0 offset:292
	buffer_load_dword v4, off, s[36:39], 0 offset:296
	;; [unrolled: 1-line block ×3, first 2 shown]
	v_mov_b32_e32 v5, 0
	v_mov_b32_e32 v201, 0
	;; [unrolled: 1-line block ×3, first 2 shown]
	buffer_store_dword v5, off, s[36:39], 0 offset:232 ; 4-byte Folded Spill
	s_waitcnt lgkmcnt(0)
	s_and_b32 s7, s7, 0xffff
	s_waitcnt vmcnt(0)
	v_mad_u32_u24 v3, v3, s7, v4
	s_mov_b32 s7, exec_lo
	v_and_b32_e32 v3, 31, v3
	v_add_co_u32 v3, vcc_lo, v161, v3
	v_add_co_ci_u32_e64 v4, null, 0, v162, vcc_lo
	v_cmpx_gt_i64_e64 s[8:9], v[3:4]
	s_cbranch_execz .LBB107_148
; %bb.147:                              ;   in Loop: Header=BB107_145 Depth=1
	v_lshlrev_b64 v[3:4], 2, v[3:4]
	v_add_co_u32 v5, vcc_lo, s16, v3
	v_add_co_ci_u32_e64 v6, null, s17, v4, vcc_lo
	v_add_co_u32 v3, vcc_lo, s18, v3
	v_add_co_ci_u32_e64 v4, null, s19, v4, vcc_lo
	global_load_dword v205, v[5:6], off
	global_load_dword v201, v[3:4], off
.LBB107_148:                            ;   in Loop: Header=BB107_145 Depth=1
	s_or_b32 exec_lo, exec_lo, s7
	v_mov_b32_e32 v33, v2
	v_mov_b32_e32 v3, v2
	;; [unrolled: 1-line block ×63, first 2 shown]
	s_mov_b32 s7, exec_lo
	v_cmpx_gt_i64_e64 s[8:9], v[161:162]
	s_cbranch_execz .LBB107_150
; %bb.149:                              ;   in Loop: Header=BB107_145 Depth=1
	v_add_co_u32 v3, vcc_lo, v164, v159
	v_add_co_ci_u32_e64 v4, null, v165, v160, vcc_lo
	v_add_co_u32 v5, vcc_lo, v166, v159
	v_add_co_ci_u32_e64 v6, null, v167, v160, vcc_lo
	global_load_ushort v3, v[3:4], off
	global_load_ushort v203, v[5:6], off
	v_mov_b32_e32 v4, v2
	v_mov_b32_e32 v5, v2
	;; [unrolled: 1-line block ×31, first 2 shown]
	s_waitcnt vmcnt(1)
	v_lshlrev_b32_e32 v3, 16, v3
	s_waitcnt vmcnt(0)
	v_lshlrev_b32_e32 v203, 16, v203
	buffer_store_dword v203, off, s[36:39], 0 offset:232 ; 4-byte Folded Spill
.LBB107_150:                            ;   in Loop: Header=BB107_145 Depth=1
	s_or_b32 exec_lo, exec_lo, s7
	v_mov_b32_e32 v203, 0
	v_add_co_u32 v206, vcc_lo, v161, 1
	v_add_co_ci_u32_e64 v207, null, 0, v162, vcc_lo
	buffer_store_dword v203, off, s[36:39], 0 offset:236 ; 4-byte Folded Spill
	v_mov_b32_e32 v203, 0
	s_mov_b32 s7, exec_lo
	buffer_store_dword v203, off, s[36:39], 0 offset:240 ; 4-byte Folded Spill
	v_cmpx_gt_i64_e64 s[8:9], v[206:207]
	s_cbranch_execz .LBB107_152
; %bb.151:                              ;   in Loop: Header=BB107_145 Depth=1
	v_add_co_u32 v206, vcc_lo, v197, v159
	v_add_co_ci_u32_e64 v207, null, v198, v160, vcc_lo
	v_add_co_u32 v208, vcc_lo, v199, v159
	v_add_co_ci_u32_e64 v209, null, v200, v160, vcc_lo
	global_load_ushort v4, v[206:207], off
	global_load_ushort v203, v[208:209], off
	s_waitcnt vmcnt(1)
	v_lshlrev_b32_e32 v4, 16, v4
	s_waitcnt vmcnt(0)
	v_lshlrev_b32_e32 v203, 16, v203
	buffer_store_dword v203, off, s[36:39], 0 offset:240 ; 4-byte Folded Spill
.LBB107_152:                            ;   in Loop: Header=BB107_145 Depth=1
	s_or_b32 exec_lo, exec_lo, s7
	v_add_co_u32 v206, vcc_lo, v161, 2
	v_add_co_ci_u32_e64 v207, null, 0, v162, vcc_lo
	s_mov_b32 s7, exec_lo
	v_cmpx_gt_i64_e64 s[8:9], v[206:207]
	s_cbranch_execz .LBB107_154
; %bb.153:                              ;   in Loop: Header=BB107_145 Depth=1
	v_add_co_u32 v206, vcc_lo, v193, v159
	v_add_co_ci_u32_e64 v207, null, v194, v160, vcc_lo
	v_add_co_u32 v208, vcc_lo, v195, v159
	v_add_co_ci_u32_e64 v209, null, v196, v160, vcc_lo
	global_load_ushort v5, v[206:207], off
	global_load_ushort v206, v[208:209], off
	s_waitcnt vmcnt(1)
	v_lshlrev_b32_e32 v5, 16, v5
	s_waitcnt vmcnt(0)
	v_lshlrev_b32_e32 v203, 16, v206
	buffer_store_dword v203, off, s[36:39], 0 offset:236 ; 4-byte Folded Spill
.LBB107_154:                            ;   in Loop: Header=BB107_145 Depth=1
	s_or_b32 exec_lo, exec_lo, s7
	v_mov_b32_e32 v203, 0
	v_add_co_u32 v206, vcc_lo, v161, 3
	v_add_co_ci_u32_e64 v207, null, 0, v162, vcc_lo
	buffer_store_dword v203, off, s[36:39], 0 offset:244 ; 4-byte Folded Spill
	v_mov_b32_e32 v203, 0
	s_mov_b32 s7, exec_lo
	buffer_store_dword v203, off, s[36:39], 0 offset:248 ; 4-byte Folded Spill
	v_cmpx_gt_i64_e64 s[8:9], v[206:207]
	s_cbranch_execz .LBB107_156
; %bb.155:                              ;   in Loop: Header=BB107_145 Depth=1
	v_add_co_u32 v206, vcc_lo, v189, v159
	v_add_co_ci_u32_e64 v207, null, v190, v160, vcc_lo
	v_add_co_u32 v208, vcc_lo, v191, v159
	v_add_co_ci_u32_e64 v209, null, v192, v160, vcc_lo
	global_load_ushort v6, v[206:207], off
	global_load_ushort v206, v[208:209], off
	s_waitcnt vmcnt(1)
	v_lshlrev_b32_e32 v6, 16, v6
	s_waitcnt vmcnt(0)
	v_lshlrev_b32_e32 v203, 16, v206
	buffer_store_dword v203, off, s[36:39], 0 offset:248 ; 4-byte Folded Spill
.LBB107_156:                            ;   in Loop: Header=BB107_145 Depth=1
	s_or_b32 exec_lo, exec_lo, s7
	v_add_co_u32 v206, vcc_lo, v161, 4
	v_add_co_ci_u32_e64 v207, null, 0, v162, vcc_lo
	s_mov_b32 s7, exec_lo
	v_cmpx_gt_i64_e64 s[8:9], v[206:207]
	s_cbranch_execz .LBB107_158
; %bb.157:                              ;   in Loop: Header=BB107_145 Depth=1
	v_add_co_u32 v206, vcc_lo, v185, v159
	v_add_co_ci_u32_e64 v207, null, v186, v160, vcc_lo
	v_add_co_u32 v208, vcc_lo, v187, v159
	v_add_co_ci_u32_e64 v209, null, v188, v160, vcc_lo
	global_load_ushort v7, v[206:207], off
	global_load_ushort v206, v[208:209], off
	s_waitcnt vmcnt(1)
	v_lshlrev_b32_e32 v7, 16, v7
	s_waitcnt vmcnt(0)
	v_lshlrev_b32_e32 v203, 16, v206
	buffer_store_dword v203, off, s[36:39], 0 offset:244 ; 4-byte Folded Spill
.LBB107_158:                            ;   in Loop: Header=BB107_145 Depth=1
	;; [unrolled: 42-line block ×7, first 2 shown]
	s_or_b32 exec_lo, exec_lo, s7
	v_add_co_u32 v206, vcc_lo, v161, 15
	v_add_co_ci_u32_e64 v207, null, 0, v162, vcc_lo
	v_mov_b32_e32 v208, 0
	v_cmp_gt_i64_e32 vcc_lo, s[8:9], v[206:207]
	v_mov_b32_e32 v207, 0
	s_and_saveexec_b32 s7, vcc_lo
	s_cbranch_execz .LBB107_180
; %bb.179:                              ;   in Loop: Header=BB107_145 Depth=1
	v_add_co_u32 v208, vcc_lo, v232, v159
	v_add_co_ci_u32_e64 v209, null, v233, v160, vcc_lo
	v_add_co_u32 v210, vcc_lo, v234, v159
	v_add_co_ci_u32_e64 v211, null, v235, v160, vcc_lo
	global_load_ushort v18, v[208:209], off
	global_load_ushort v206, v[210:211], off
	s_waitcnt vmcnt(1)
	v_lshlrev_b32_e32 v18, 16, v18
	s_waitcnt vmcnt(0)
	v_lshlrev_b32_e32 v208, 16, v206
.LBB107_180:                            ;   in Loop: Header=BB107_145 Depth=1
	s_or_b32 exec_lo, exec_lo, s7
	v_add_co_u32 v209, vcc_lo, v161, 16
	v_add_co_ci_u32_e64 v210, null, 0, v162, vcc_lo
	s_mov_b32 s7, exec_lo
	v_cmpx_gt_i64_e64 s[8:9], v[209:210]
	s_cbranch_execz .LBB107_182
; %bb.181:                              ;   in Loop: Header=BB107_145 Depth=1
	v_add_co_u32 v206, vcc_lo, v228, v159
	v_add_co_ci_u32_e64 v207, null, v229, v160, vcc_lo
	v_add_co_u32 v209, vcc_lo, v230, v159
	v_add_co_ci_u32_e64 v210, null, v231, v160, vcc_lo
	global_load_ushort v19, v[206:207], off
	global_load_ushort v206, v[209:210], off
	s_waitcnt vmcnt(1)
	v_lshlrev_b32_e32 v19, 16, v19
	s_waitcnt vmcnt(0)
	v_lshlrev_b32_e32 v207, 16, v206
.LBB107_182:                            ;   in Loop: Header=BB107_145 Depth=1
	s_or_b32 exec_lo, exec_lo, s7
	v_add_co_u32 v209, vcc_lo, v161, 17
	v_add_co_ci_u32_e64 v210, null, 0, v162, vcc_lo
	v_cmp_gt_i64_e32 vcc_lo, s[8:9], v[209:210]
	v_mov_b32_e32 v209, 0
	v_mov_b32_e32 v210, 0
	s_and_saveexec_b32 s7, vcc_lo
	s_cbranch_execz .LBB107_184
; %bb.183:                              ;   in Loop: Header=BB107_145 Depth=1
	buffer_load_dword v20, off, s[36:39], 0 offset:224 ; 4-byte Folded Reload
	s_waitcnt vmcnt(0)
	v_add_co_u32 v210, vcc_lo, v20, v159
	buffer_load_dword v20, off, s[36:39], 0 offset:228 ; 4-byte Folded Reload
	s_waitcnt vmcnt(0)
	v_add_co_ci_u32_e64 v211, null, v20, v160, vcc_lo
	v_add_co_u32 v212, vcc_lo, v226, v159
	v_add_co_ci_u32_e64 v213, null, v227, v160, vcc_lo
	global_load_ushort v20, v[210:211], off
	global_load_ushort v206, v[212:213], off
	s_waitcnt vmcnt(1)
	v_lshlrev_b32_e32 v20, 16, v20
	s_waitcnt vmcnt(0)
	v_lshlrev_b32_e32 v210, 16, v206
.LBB107_184:                            ;   in Loop: Header=BB107_145 Depth=1
	s_or_b32 exec_lo, exec_lo, s7
	v_add_co_u32 v211, vcc_lo, v161, 18
	v_add_co_ci_u32_e64 v212, null, 0, v162, vcc_lo
	s_mov_b32 s7, exec_lo
	v_cmpx_gt_i64_e64 s[8:9], v[211:212]
	s_cbranch_execz .LBB107_186
; %bb.185:                              ;   in Loop: Header=BB107_145 Depth=1
	buffer_load_dword v21, off, s[36:39], 0 offset:208 ; 4-byte Folded Reload
	s_waitcnt vmcnt(0)
	v_add_co_u32 v211, vcc_lo, v21, v159
	buffer_load_dword v21, off, s[36:39], 0 offset:212 ; 4-byte Folded Reload
	s_waitcnt vmcnt(0)
	v_add_co_ci_u32_e64 v212, null, v21, v160, vcc_lo
	buffer_load_dword v21, off, s[36:39], 0 offset:216 ; 4-byte Folded Reload
	s_waitcnt vmcnt(0)
	v_add_co_u32 v213, vcc_lo, v21, v159
	buffer_load_dword v21, off, s[36:39], 0 offset:220 ; 4-byte Folded Reload
	s_waitcnt vmcnt(0)
	v_add_co_ci_u32_e64 v214, null, v21, v160, vcc_lo
	global_load_ushort v21, v[211:212], off
	global_load_ushort v206, v[213:214], off
	s_waitcnt vmcnt(1)
	v_lshlrev_b32_e32 v21, 16, v21
	s_waitcnt vmcnt(0)
	v_lshlrev_b32_e32 v209, 16, v206
.LBB107_186:                            ;   in Loop: Header=BB107_145 Depth=1
	s_or_b32 exec_lo, exec_lo, s7
	v_add_co_u32 v211, vcc_lo, v161, 19
	v_add_co_ci_u32_e64 v212, null, 0, v162, vcc_lo
	v_mov_b32_e32 v206, 0
	v_cmp_gt_i64_e32 vcc_lo, s[8:9], v[211:212]
	v_mov_b32_e32 v211, 0
	s_and_saveexec_b32 s7, vcc_lo
	s_cbranch_execz .LBB107_188
; %bb.187:                              ;   in Loop: Header=BB107_145 Depth=1
	buffer_load_dword v22, off, s[36:39], 0 offset:192 ; 4-byte Folded Reload
	s_waitcnt vmcnt(0)
	v_add_co_u32 v211, vcc_lo, v22, v159
	buffer_load_dword v22, off, s[36:39], 0 offset:196 ; 4-byte Folded Reload
	s_waitcnt vmcnt(0)
	v_add_co_ci_u32_e64 v212, null, v22, v160, vcc_lo
	buffer_load_dword v22, off, s[36:39], 0 offset:200 ; 4-byte Folded Reload
	s_waitcnt vmcnt(0)
	v_add_co_u32 v213, vcc_lo, v22, v159
	buffer_load_dword v22, off, s[36:39], 0 offset:204 ; 4-byte Folded Reload
	s_waitcnt vmcnt(0)
	v_add_co_ci_u32_e64 v214, null, v22, v160, vcc_lo
	global_load_ushort v22, v[211:212], off
	global_load_ushort v211, v[213:214], off
	s_waitcnt vmcnt(1)
	v_lshlrev_b32_e32 v22, 16, v22
	s_waitcnt vmcnt(0)
	v_lshlrev_b32_e32 v211, 16, v211
.LBB107_188:                            ;   in Loop: Header=BB107_145 Depth=1
	s_or_b32 exec_lo, exec_lo, s7
	v_add_co_u32 v212, vcc_lo, v161, 20
	v_add_co_ci_u32_e64 v213, null, 0, v162, vcc_lo
	s_mov_b32 s7, exec_lo
	v_cmpx_gt_i64_e64 s[8:9], v[212:213]
	s_cbranch_execz .LBB107_190
; %bb.189:                              ;   in Loop: Header=BB107_145 Depth=1
	buffer_load_dword v23, off, s[36:39], 0 offset:176 ; 4-byte Folded Reload
	s_waitcnt vmcnt(0)
	v_add_co_u32 v212, vcc_lo, v23, v159
	buffer_load_dword v23, off, s[36:39], 0 offset:180 ; 4-byte Folded Reload
	s_waitcnt vmcnt(0)
	v_add_co_ci_u32_e64 v213, null, v23, v160, vcc_lo
	buffer_load_dword v23, off, s[36:39], 0 offset:184 ; 4-byte Folded Reload
	s_waitcnt vmcnt(0)
	v_add_co_u32 v214, vcc_lo, v23, v159
	buffer_load_dword v23, off, s[36:39], 0 offset:188 ; 4-byte Folded Reload
	s_waitcnt vmcnt(0)
	v_add_co_ci_u32_e64 v215, null, v23, v160, vcc_lo
	global_load_ushort v23, v[212:213], off
	global_load_ushort v206, v[214:215], off
	s_waitcnt vmcnt(1)
	v_lshlrev_b32_e32 v23, 16, v23
	s_waitcnt vmcnt(0)
	v_lshlrev_b32_e32 v206, 16, v206
.LBB107_190:                            ;   in Loop: Header=BB107_145 Depth=1
	s_or_b32 exec_lo, exec_lo, s7
	v_add_co_u32 v212, vcc_lo, v161, 21
	v_add_co_ci_u32_e64 v213, null, 0, v162, vcc_lo
	v_mov_b32_e32 v215, 0
	v_cmp_gt_i64_e32 vcc_lo, s[8:9], v[212:213]
	v_mov_b32_e32 v213, 0
	s_and_saveexec_b32 s7, vcc_lo
	s_cbranch_execz .LBB107_192
; %bb.191:                              ;   in Loop: Header=BB107_145 Depth=1
	buffer_load_dword v24, off, s[36:39], 0 offset:160 ; 4-byte Folded Reload
	s_waitcnt vmcnt(0)
	v_add_co_u32 v214, vcc_lo, v24, v159
	buffer_load_dword v24, off, s[36:39], 0 offset:164 ; 4-byte Folded Reload
	s_waitcnt vmcnt(0)
	v_add_co_ci_u32_e64 v215, null, v24, v160, vcc_lo
	buffer_load_dword v24, off, s[36:39], 0 offset:168 ; 4-byte Folded Reload
	s_waitcnt vmcnt(0)
	v_add_co_u32 v216, vcc_lo, v24, v159
	buffer_load_dword v24, off, s[36:39], 0 offset:172 ; 4-byte Folded Reload
	s_waitcnt vmcnt(0)
	v_add_co_ci_u32_e64 v217, null, v24, v160, vcc_lo
	global_load_ushort v24, v[214:215], off
	global_load_ushort v212, v[216:217], off
	s_waitcnt vmcnt(1)
	v_lshlrev_b32_e32 v24, 16, v24
	s_waitcnt vmcnt(0)
	v_lshlrev_b32_e32 v215, 16, v212
.LBB107_192:                            ;   in Loop: Header=BB107_145 Depth=1
	;; [unrolled: 54-line block ×3, first 2 shown]
	s_or_b32 exec_lo, exec_lo, s7
	v_add_co_u32 v219, vcc_lo, v161, 24
	v_add_co_ci_u32_e64 v220, null, 0, v162, vcc_lo
	s_mov_b32 s7, exec_lo
	v_cmpx_gt_i64_e64 s[8:9], v[219:220]
	s_cbranch_execz .LBB107_198
; %bb.197:                              ;   in Loop: Header=BB107_145 Depth=1
	buffer_load_dword v27, off, s[36:39], 0 offset:112 ; 4-byte Folded Reload
	s_waitcnt vmcnt(0)
	v_add_co_u32 v216, vcc_lo, v27, v159
	buffer_load_dword v27, off, s[36:39], 0 offset:116 ; 4-byte Folded Reload
	s_waitcnt vmcnt(0)
	v_add_co_ci_u32_e64 v217, null, v27, v160, vcc_lo
	buffer_load_dword v27, off, s[36:39], 0 offset:120 ; 4-byte Folded Reload
	s_waitcnt vmcnt(0)
	v_add_co_u32 v219, vcc_lo, v27, v159
	buffer_load_dword v27, off, s[36:39], 0 offset:124 ; 4-byte Folded Reload
	s_waitcnt vmcnt(0)
	v_add_co_ci_u32_e64 v220, null, v27, v160, vcc_lo
	global_load_ushort v27, v[216:217], off
	global_load_ushort v212, v[219:220], off
	s_waitcnt vmcnt(1)
	v_lshlrev_b32_e32 v27, 16, v27
	s_waitcnt vmcnt(0)
	v_lshlrev_b32_e32 v216, 16, v212
.LBB107_198:                            ;   in Loop: Header=BB107_145 Depth=1
	s_or_b32 exec_lo, exec_lo, s7
	v_add_co_u32 v219, vcc_lo, v161, 25
	v_add_co_ci_u32_e64 v220, null, 0, v162, vcc_lo
	v_mov_b32_e32 v221, 0
	v_cmp_gt_i64_e32 vcc_lo, s[8:9], v[219:220]
	v_mov_b32_e32 v220, 0
	s_mov_b32 s7, exec_lo
	s_and_b32 s21, s7, vcc_lo
	buffer_store_dword v223, off, s[36:39], 0 offset:304 ; 4-byte Folded Spill
	s_mov_b32 exec_lo, s21
	s_cbranch_execz .LBB107_200
; %bb.199:                              ;   in Loop: Header=BB107_145 Depth=1
	buffer_load_dword v28, off, s[36:39], 0 offset:96 ; 4-byte Folded Reload
	s_waitcnt vmcnt(0)
	v_add_co_u32 v221, vcc_lo, v28, v159
	buffer_load_dword v28, off, s[36:39], 0 offset:100 ; 4-byte Folded Reload
	s_waitcnt vmcnt(0)
	v_add_co_ci_u32_e64 v222, null, v28, v160, vcc_lo
	buffer_load_dword v28, off, s[36:39], 0 offset:104 ; 4-byte Folded Reload
	s_waitcnt vmcnt(0)
	v_add_co_u32 v223, vcc_lo, v28, v159
	buffer_load_dword v28, off, s[36:39], 0 offset:108 ; 4-byte Folded Reload
	s_waitcnt vmcnt(0)
	v_add_co_ci_u32_e64 v224, null, v28, v160, vcc_lo
	global_load_ushort v28, v[221:222], off
	global_load_ushort v212, v[223:224], off
	s_waitcnt vmcnt(1)
	v_lshlrev_b32_e32 v28, 16, v28
	s_waitcnt vmcnt(0)
	v_lshlrev_b32_e32 v221, 16, v212
.LBB107_200:                            ;   in Loop: Header=BB107_145 Depth=1
	s_or_b32 exec_lo, exec_lo, s7
	v_add_co_u32 v222, vcc_lo, v161, 26
	v_add_co_ci_u32_e64 v223, null, 0, v162, vcc_lo
	s_mov_b32 s7, exec_lo
	v_cmpx_gt_i64_e64 s[8:9], v[222:223]
	s_cbranch_execz .LBB107_202
; %bb.201:                              ;   in Loop: Header=BB107_145 Depth=1
	buffer_load_dword v29, off, s[36:39], 0 offset:80 ; 4-byte Folded Reload
	s_waitcnt vmcnt(0)
	v_add_co_u32 v219, vcc_lo, v29, v159
	buffer_load_dword v29, off, s[36:39], 0 offset:84 ; 4-byte Folded Reload
	s_waitcnt vmcnt(0)
	v_add_co_ci_u32_e64 v220, null, v29, v160, vcc_lo
	buffer_load_dword v29, off, s[36:39], 0 offset:88 ; 4-byte Folded Reload
	s_waitcnt vmcnt(0)
	v_add_co_u32 v222, vcc_lo, v29, v159
	buffer_load_dword v29, off, s[36:39], 0 offset:92 ; 4-byte Folded Reload
	s_waitcnt vmcnt(0)
	v_add_co_ci_u32_e64 v223, null, v29, v160, vcc_lo
	global_load_ushort v29, v[219:220], off
	global_load_ushort v212, v[222:223], off
	s_waitcnt vmcnt(1)
	v_lshlrev_b32_e32 v29, 16, v29
	s_waitcnt vmcnt(0)
	v_lshlrev_b32_e32 v220, 16, v212
.LBB107_202:                            ;   in Loop: Header=BB107_145 Depth=1
	s_or_b32 exec_lo, exec_lo, s7
	v_add_co_u32 v222, vcc_lo, v161, 27
	v_add_co_ci_u32_e64 v223, null, 0, v162, vcc_lo
	v_mov_b32_e32 v212, 0
	v_mov_b32_e32 v214, 0
	v_cmp_gt_i64_e32 vcc_lo, s[8:9], v[222:223]
	s_mov_b32 s7, exec_lo
	v_mov_b32_e32 v203, v225
	s_and_b32 s21, s7, vcc_lo
	s_mov_b32 exec_lo, s21
	s_cbranch_execz .LBB107_204
; %bb.203:                              ;   in Loop: Header=BB107_145 Depth=1
	buffer_load_dword v30, off, s[36:39], 0 offset:64 ; 4-byte Folded Reload
	s_waitcnt vmcnt(0)
	v_add_co_u32 v222, vcc_lo, v30, v159
	buffer_load_dword v30, off, s[36:39], 0 offset:68 ; 4-byte Folded Reload
	s_waitcnt vmcnt(0)
	v_add_co_ci_u32_e64 v223, null, v30, v160, vcc_lo
	buffer_load_dword v30, off, s[36:39], 0 offset:72 ; 4-byte Folded Reload
	s_waitcnt vmcnt(0)
	v_add_co_u32 v224, vcc_lo, v30, v159
	buffer_load_dword v30, off, s[36:39], 0 offset:76 ; 4-byte Folded Reload
	s_waitcnt vmcnt(0)
	v_add_co_ci_u32_e64 v225, null, v30, v160, vcc_lo
	global_load_ushort v30, v[222:223], off
	global_load_ushort v214, v[224:225], off
	v_mov_b32_e32 v225, v203
	s_waitcnt vmcnt(1)
	v_lshlrev_b32_e32 v30, 16, v30
	s_waitcnt vmcnt(0)
	v_lshlrev_b32_e32 v214, 16, v214
.LBB107_204:                            ;   in Loop: Header=BB107_145 Depth=1
	s_or_b32 exec_lo, exec_lo, s7
	v_add_co_u32 v222, vcc_lo, v161, 28
	v_add_co_ci_u32_e64 v223, null, 0, v162, vcc_lo
	s_mov_b32 s7, exec_lo
	v_cmpx_gt_i64_e64 s[8:9], v[222:223]
	s_cbranch_execz .LBB107_206
; %bb.205:                              ;   in Loop: Header=BB107_145 Depth=1
	buffer_load_dword v31, off, s[36:39], 0 offset:48 ; 4-byte Folded Reload
	s_waitcnt vmcnt(0)
	v_add_co_u32 v222, vcc_lo, v31, v159
	buffer_load_dword v31, off, s[36:39], 0 offset:52 ; 4-byte Folded Reload
	s_waitcnt vmcnt(0)
	v_add_co_ci_u32_e64 v223, null, v31, v160, vcc_lo
	buffer_load_dword v31, off, s[36:39], 0 offset:56 ; 4-byte Folded Reload
	s_waitcnt vmcnt(0)
	v_add_co_u32 v224, vcc_lo, v31, v159
	buffer_load_dword v31, off, s[36:39], 0 offset:60 ; 4-byte Folded Reload
	s_waitcnt vmcnt(0)
	v_add_co_ci_u32_e64 v225, null, v31, v160, vcc_lo
	global_load_ushort v31, v[222:223], off
	global_load_ushort v212, v[224:225], off
	v_mov_b32_e32 v225, v203
	s_waitcnt vmcnt(1)
	v_lshlrev_b32_e32 v31, 16, v31
	s_waitcnt vmcnt(0)
	v_lshlrev_b32_e32 v212, 16, v212
.LBB107_206:                            ;   in Loop: Header=BB107_145 Depth=1
	s_or_b32 exec_lo, exec_lo, s7
	v_add_co_u32 v222, vcc_lo, v161, 29
	v_add_co_ci_u32_e64 v223, null, 0, v162, vcc_lo
	v_mov_b32_e32 v217, 0
	v_mov_b32_e32 v219, 0
	s_mov_b32 s7, exec_lo
	v_cmpx_gt_i64_e64 s[8:9], v[222:223]
	s_cbranch_execz .LBB107_208
; %bb.207:                              ;   in Loop: Header=BB107_145 Depth=1
	buffer_load_dword v32, off, s[36:39], 0 offset:32 ; 4-byte Folded Reload
	s_waitcnt vmcnt(0)
	v_add_co_u32 v222, vcc_lo, v32, v159
	buffer_load_dword v32, off, s[36:39], 0 offset:36 ; 4-byte Folded Reload
	s_waitcnt vmcnt(0)
	v_add_co_ci_u32_e64 v223, null, v32, v160, vcc_lo
	buffer_load_dword v32, off, s[36:39], 0 offset:40 ; 4-byte Folded Reload
	s_waitcnt vmcnt(0)
	v_add_co_u32 v224, vcc_lo, v32, v159
	buffer_load_dword v32, off, s[36:39], 0 offset:44 ; 4-byte Folded Reload
	s_waitcnt vmcnt(0)
	v_add_co_ci_u32_e64 v225, null, v32, v160, vcc_lo
	global_load_ushort v32, v[222:223], off
	global_load_ushort v219, v[224:225], off
	v_mov_b32_e32 v225, v203
	s_waitcnt vmcnt(1)
	v_lshlrev_b32_e32 v32, 16, v32
	s_waitcnt vmcnt(0)
	v_lshlrev_b32_e32 v219, 16, v219
.LBB107_208:                            ;   in Loop: Header=BB107_145 Depth=1
	s_or_b32 exec_lo, exec_lo, s7
	v_add_co_u32 v222, vcc_lo, v161, 30
	v_add_co_ci_u32_e64 v223, null, 0, v162, vcc_lo
	s_mov_b32 s7, exec_lo
	v_cmpx_gt_i64_e64 s[8:9], v[222:223]
	s_cbranch_execz .LBB107_210
; %bb.209:                              ;   in Loop: Header=BB107_145 Depth=1
	buffer_load_dword v33, off, s[36:39], 0 offset:16 ; 4-byte Folded Reload
	s_waitcnt vmcnt(0)
	v_add_co_u32 v222, vcc_lo, v33, v159
	buffer_load_dword v33, off, s[36:39], 0 offset:20 ; 4-byte Folded Reload
	s_waitcnt vmcnt(0)
	v_add_co_ci_u32_e64 v223, null, v33, v160, vcc_lo
	buffer_load_dword v33, off, s[36:39], 0 offset:24 ; 4-byte Folded Reload
	s_waitcnt vmcnt(0)
	v_add_co_u32 v224, vcc_lo, v33, v159
	buffer_load_dword v33, off, s[36:39], 0 offset:28 ; 4-byte Folded Reload
	s_waitcnt vmcnt(0)
	v_add_co_ci_u32_e64 v225, null, v33, v160, vcc_lo
	global_load_ushort v33, v[222:223], off
	global_load_ushort v217, v[224:225], off
	v_mov_b32_e32 v225, v203
	s_waitcnt vmcnt(1)
	v_lshlrev_b32_e32 v33, 16, v33
	s_waitcnt vmcnt(0)
	v_lshlrev_b32_e32 v217, 16, v217
.LBB107_210:                            ;   in Loop: Header=BB107_145 Depth=1
	s_or_b32 exec_lo, exec_lo, s7
	v_add_co_u32 v222, vcc_lo, v161, 31
	v_add_co_ci_u32_e64 v223, null, 0, v162, vcc_lo
	v_cmp_gt_i64_e32 vcc_lo, s[8:9], v[222:223]
	v_mov_b32_e32 v222, 0
	s_and_saveexec_b32 s7, vcc_lo
	s_cbranch_execz .LBB107_212
; %bb.211:                              ;   in Loop: Header=BB107_145 Depth=1
	buffer_load_dword v34, off, s[36:39], 0 ; 4-byte Folded Reload
	s_waitcnt vmcnt(0)
	v_add_co_u32 v222, vcc_lo, v34, v159
	buffer_load_dword v34, off, s[36:39], 0 offset:4 ; 4-byte Folded Reload
	s_waitcnt vmcnt(0)
	v_add_co_ci_u32_e64 v223, null, v34, v160, vcc_lo
	buffer_load_dword v34, off, s[36:39], 0 offset:8 ; 4-byte Folded Reload
	s_waitcnt vmcnt(0)
	v_add_co_u32 v224, vcc_lo, v34, v159
	buffer_load_dword v34, off, s[36:39], 0 offset:12 ; 4-byte Folded Reload
	s_waitcnt vmcnt(0)
	v_add_co_ci_u32_e64 v225, null, v34, v160, vcc_lo
	global_load_ushort v34, v[222:223], off
	global_load_ushort v222, v[224:225], off
	v_mov_b32_e32 v225, v203
	s_waitcnt vmcnt(1)
	v_lshlrev_b32_e32 v34, 16, v34
	s_waitcnt vmcnt(0)
	v_lshlrev_b32_e32 v222, 16, v222
.LBB107_212:                            ;   in Loop: Header=BB107_145 Depth=1
	s_or_b32 exec_lo, exec_lo, s7
	buffer_load_dword v203, off, s[36:39], 0 offset:232 ; 4-byte Folded Reload
	s_waitcnt vmcnt(2)
	ds_bpermute_b32 v223, v2, v205
	ds_bpermute_b32 v224, v2, v205 offset:4
	s_mov_b32 s7, 0
	s_waitcnt vmcnt(0) lgkmcnt(1)
	v_sub_f32_e32 v223, v203, v223
	buffer_load_dword v203, off, s[36:39], 0 offset:240 ; 4-byte Folded Reload
	s_waitcnt vmcnt(0) lgkmcnt(0)
	v_sub_f32_e32 v224, v203, v224
	v_mul_f32_e32 v203, v3, v223
	ds_bpermute_b32 v223, v2, v201
	s_waitcnt lgkmcnt(0)
	v_fma_f32 v203, v203, v223, v204
	v_mul_f32_e32 v223, v4, v224
	ds_bpermute_b32 v224, v2, v201 offset:4
	s_waitcnt lgkmcnt(0)
	v_fmac_f32_e32 v203, v223, v224
	buffer_load_dword v224, off, s[36:39], 0 offset:236 ; 4-byte Folded Reload
	ds_bpermute_b32 v223, v2, v205 offset:8
	s_waitcnt vmcnt(0) lgkmcnt(0)
	v_sub_f32_e32 v223, v224, v223
	ds_bpermute_b32 v224, v2, v201 offset:8
	v_mul_f32_e32 v223, v5, v223
	s_waitcnt lgkmcnt(0)
	v_fmac_f32_e32 v203, v223, v224
	buffer_load_dword v224, off, s[36:39], 0 offset:248 ; 4-byte Folded Reload
	ds_bpermute_b32 v223, v2, v205 offset:12
	s_waitcnt vmcnt(0) lgkmcnt(0)
	v_sub_f32_e32 v223, v224, v223
	ds_bpermute_b32 v224, v2, v201 offset:12
	v_mul_f32_e32 v223, v6, v223
	;; [unrolled: 8-line block ×13, first 2 shown]
	s_waitcnt lgkmcnt(0)
	v_fmac_f32_e32 v203, v223, v224
	ds_bpermute_b32 v223, v2, v205 offset:60
	s_waitcnt lgkmcnt(0)
	v_sub_f32_e32 v208, v208, v223
	ds_bpermute_b32 v223, v2, v201 offset:60
	v_mul_f32_e32 v208, v18, v208
	s_waitcnt lgkmcnt(0)
	v_fmac_f32_e32 v203, v208, v223
	buffer_load_dword v223, off, s[36:39], 0 offset:304 ; 4-byte Folded Reload
	ds_bpermute_b32 v208, v2, v205 offset:64
	s_waitcnt lgkmcnt(0)
	v_sub_f32_e32 v207, v207, v208
	ds_bpermute_b32 v208, v2, v201 offset:64
	v_mul_f32_e32 v207, v19, v207
	s_waitcnt lgkmcnt(0)
	v_fmac_f32_e32 v203, v207, v208
	ds_bpermute_b32 v207, v2, v205 offset:68
	ds_bpermute_b32 v208, v2, v201 offset:68
	s_waitcnt lgkmcnt(1)
	v_sub_f32_e32 v207, v210, v207
	v_mul_f32_e32 v207, v20, v207
	s_waitcnt lgkmcnt(0)
	v_fmac_f32_e32 v203, v207, v208
	ds_bpermute_b32 v207, v2, v205 offset:72
	ds_bpermute_b32 v208, v2, v201 offset:72
	s_waitcnt lgkmcnt(1)
	v_sub_f32_e32 v207, v209, v207
	;; [unrolled: 7-line block ×3, first 2 shown]
	v_mul_f32_e32 v207, v22, v207
	s_waitcnt lgkmcnt(0)
	v_fmac_f32_e32 v203, v207, v208
	ds_bpermute_b32 v207, v2, v205 offset:80
	s_waitcnt lgkmcnt(0)
	v_sub_f32_e32 v206, v206, v207
	ds_bpermute_b32 v207, v2, v201 offset:80
	v_mul_f32_e32 v206, v23, v206
	s_waitcnt lgkmcnt(0)
	v_fmac_f32_e32 v203, v206, v207
	ds_bpermute_b32 v206, v2, v205 offset:84
	ds_bpermute_b32 v207, v2, v201 offset:84
	s_waitcnt lgkmcnt(1)
	v_sub_f32_e32 v206, v215, v206
	v_mul_f32_e32 v206, v24, v206
	s_waitcnt lgkmcnt(0)
	v_fmac_f32_e32 v203, v206, v207
	ds_bpermute_b32 v206, v2, v205 offset:88
	ds_bpermute_b32 v207, v2, v201 offset:88
	s_waitcnt lgkmcnt(1)
	v_sub_f32_e32 v206, v213, v206
	v_mul_f32_e32 v206, v25, v206
	s_waitcnt lgkmcnt(0)
	v_fmac_f32_e32 v203, v206, v207
	ds_bpermute_b32 v206, v2, v205 offset:92
	ds_bpermute_b32 v207, v2, v201 offset:92
	s_waitcnt lgkmcnt(1)
	v_sub_f32_e32 v206, v218, v206
	v_mul_f32_e32 v206, v26, v206
	s_waitcnt lgkmcnt(0)
	v_fmac_f32_e32 v203, v206, v207
	ds_bpermute_b32 v206, v2, v205 offset:96
	ds_bpermute_b32 v207, v2, v201 offset:96
	s_waitcnt lgkmcnt(1)
	v_sub_f32_e32 v206, v216, v206
	v_mul_f32_e32 v206, v27, v206
	s_waitcnt lgkmcnt(0)
	v_fmac_f32_e32 v203, v206, v207
	ds_bpermute_b32 v206, v2, v205 offset:100
	ds_bpermute_b32 v207, v2, v201 offset:100
	s_waitcnt vmcnt(0)
	v_add_f32_e32 v3, v223, v3
	s_waitcnt lgkmcnt(1)
	v_sub_f32_e32 v206, v221, v206
	v_add_f32_e32 v3, v4, v3
	ds_bpermute_b32 v4, v2, v205 offset:108
	v_mul_f32_e32 v206, v28, v206
	v_add_f32_e32 v3, v5, v3
	ds_bpermute_b32 v5, v2, v201 offset:108
	s_waitcnt lgkmcnt(2)
	v_fmac_f32_e32 v203, v206, v207
	ds_bpermute_b32 v206, v2, v205 offset:104
	ds_bpermute_b32 v207, v2, v201 offset:104
	v_add_f32_e32 v3, v6, v3
	ds_bpermute_b32 v6, v2, v205 offset:116
	v_add_f32_e32 v3, v7, v3
	;; [unrolled: 2-line block ×3, first 2 shown]
	s_waitcnt lgkmcnt(5)
	v_sub_f32_e32 v4, v214, v4
	ds_bpermute_b32 v8, v2, v201 offset:120
	v_add_f32_e32 v3, v9, v3
	v_mul_f32_e32 v4, v30, v4
	ds_bpermute_b32 v9, v2, v201 offset:124
	s_waitcnt lgkmcnt(5)
	v_sub_f32_e32 v206, v220, v206
	v_add_f32_e32 v3, v10, v3
	s_waitcnt lgkmcnt(3)
	v_sub_f32_e32 v6, v219, v6
	v_mul_f32_e32 v206, v29, v206
	v_add_f32_e32 v3, v11, v3
	v_mul_f32_e32 v6, v32, v6
	v_fmac_f32_e32 v203, v206, v207
	v_add_f32_e32 v3, v12, v3
	v_fmac_f32_e32 v203, v4, v5
	ds_bpermute_b32 v4, v2, v205 offset:112
	v_add_f32_e32 v3, v13, v3
	ds_bpermute_b32 v5, v2, v201 offset:112
	v_add_f32_e32 v3, v14, v3
	v_add_f32_e32 v3, v15, v3
	;; [unrolled: 1-line block ×3, first 2 shown]
	s_waitcnt lgkmcnt(1)
	v_sub_f32_e32 v4, v212, v4
	v_add_f32_e32 v3, v17, v3
	v_mul_f32_e32 v4, v31, v4
	v_add_f32_e32 v3, v18, v3
	s_waitcnt lgkmcnt(0)
	v_fmac_f32_e32 v203, v4, v5
	v_add_f32_e32 v3, v19, v3
	ds_bpermute_b32 v4, v2, v205 offset:120
	ds_bpermute_b32 v5, v2, v201 offset:116
	v_add_f32_e32 v3, v20, v3
	v_add_f32_e32 v3, v21, v3
	;; [unrolled: 1-line block ×4, first 2 shown]
	s_waitcnt lgkmcnt(1)
	v_sub_f32_e32 v4, v217, v4
	s_waitcnt lgkmcnt(0)
	v_fmac_f32_e32 v203, v6, v5
	v_sub_f32_e32 v5, v222, v7
	v_add_f32_e32 v3, v24, v3
	v_mul_f32_e32 v4, v33, v4
	v_add_f32_e32 v3, v25, v3
	v_fmac_f32_e32 v203, v4, v8
	v_mul_f32_e32 v4, v34, v5
	v_add_f32_e32 v3, v26, v3
	v_fmac_f32_e32 v203, v4, v9
	v_add_f32_e32 v3, v27, v3
	v_add_f32_e32 v3, v28, v3
	;; [unrolled: 1-line block ×8, first 2 shown]
.LBB107_213:                            ;   in Loop: Header=BB107_145 Depth=1
	s_and_b32 vcc_lo, exec_lo, s7
	s_cbranch_vccz .LBB107_217
; %bb.214:                              ;   in Loop: Header=BB107_145 Depth=1
	s_load_dword s7, s[2:3], 0x0
	v_mov_b32_e32 v6, 0
	s_waitcnt lgkmcnt(0)
	s_cmp_lt_u32 s6, s7
	s_cselect_b32 s7, 12, 18
	s_add_u32 s24, s2, s7
	s_addc_u32 s25, s3, 0
	s_mov_b32 s7, exec_lo
	global_load_ushort v3, v2, s[24:25]
	s_clause 0x2
	buffer_load_dword v4, off, s[36:39], 0 offset:292
	buffer_load_dword v5, off, s[36:39], 0 offset:296
	;; [unrolled: 1-line block ×3, first 2 shown]
	s_waitcnt vmcnt(0)
	v_mad_u32_u24 v3, v4, v3, v5
	v_mov_b32_e32 v5, 0
	v_and_b32_e32 v3, 31, v3
	v_add_co_u32 v3, vcc_lo, v161, v3
	v_add_co_ci_u32_e64 v4, null, 0, v162, vcc_lo
	v_cmpx_gt_i64_e64 s[8:9], v[3:4]
	s_cbranch_execz .LBB107_216
; %bb.215:                              ;   in Loop: Header=BB107_145 Depth=1
	v_lshlrev_b64 v[3:4], 2, v[3:4]
	v_add_co_u32 v5, vcc_lo, s16, v3
	v_add_co_ci_u32_e64 v6, null, s17, v4, vcc_lo
	v_add_co_u32 v3, vcc_lo, s18, v3
	v_add_co_ci_u32_e64 v4, null, s19, v4, vcc_lo
	global_load_dword v6, v[5:6], off
	global_load_dword v5, v[3:4], off
.LBB107_216:                            ;   in Loop: Header=BB107_145 Depth=1
	s_or_b32 exec_lo, exec_lo, s7
	v_add_co_u32 v3, vcc_lo, v166, v159
	v_add_co_ci_u32_e64 v4, null, v167, v160, vcc_lo
	global_load_ushort v7, v[3:4], off
	v_add_co_u32 v3, vcc_lo, v164, v159
	v_add_co_ci_u32_e64 v4, null, v165, v160, vcc_lo
	global_load_ushort v3, v[3:4], off
	s_waitcnt vmcnt(1)
	v_lshlrev_b32_e32 v4, 16, v7
	ds_bpermute_b32 v7, v2, v6
	s_waitcnt vmcnt(0)
	v_lshlrev_b32_e32 v3, 16, v3
	s_waitcnt lgkmcnt(0)
	v_sub_f32_e32 v4, v4, v7
	ds_bpermute_b32 v7, v2, v5
	v_mul_f32_e32 v4, v4, v3
	v_add_f32_e32 v3, v223, v3
	s_waitcnt lgkmcnt(0)
	v_fmac_f32_e32 v204, v4, v7
	v_add_co_u32 v7, vcc_lo, v49, v159
	v_add_co_ci_u32_e64 v8, null, v50, v160, vcc_lo
	global_load_ushort v4, v[7:8], off
	v_add_co_u32 v7, vcc_lo, v35, v159
	v_add_co_ci_u32_e64 v8, null, v36, v160, vcc_lo
	global_load_ushort v7, v[7:8], off
	ds_bpermute_b32 v8, v2, v6 offset:4
	s_waitcnt vmcnt(1)
	v_lshlrev_b32_e32 v4, 16, v4
	s_waitcnt lgkmcnt(0)
	v_sub_f32_e32 v8, v4, v8
	s_waitcnt vmcnt(0)
	v_lshlrev_b32_e32 v4, 16, v7
	v_mul_f32_e32 v7, v8, v4
	ds_bpermute_b32 v8, v2, v5 offset:4
	v_add_f32_e32 v3, v3, v4
	s_waitcnt lgkmcnt(0)
	v_fmac_f32_e32 v204, v7, v8
	v_add_co_u32 v7, vcc_lo, v53, v159
	v_add_co_ci_u32_e64 v8, null, v54, v160, vcc_lo
	global_load_ushort v9, v[7:8], off
	v_add_co_u32 v7, vcc_lo, v37, v159
	v_add_co_ci_u32_e64 v8, null, v38, v160, vcc_lo
	global_load_ushort v7, v[7:8], off
	s_waitcnt vmcnt(1)
	v_lshlrev_b32_e32 v8, 16, v9
	ds_bpermute_b32 v9, v2, v6 offset:8
	s_waitcnt vmcnt(0)
	v_lshlrev_b32_e32 v7, 16, v7
	v_add_f32_e32 v3, v3, v7
	s_waitcnt lgkmcnt(0)
	v_sub_f32_e32 v8, v8, v9
	ds_bpermute_b32 v9, v2, v5 offset:8
	v_mul_f32_e32 v8, v8, v7
	s_waitcnt lgkmcnt(0)
	v_fmac_f32_e32 v204, v8, v9
	v_add_co_u32 v8, vcc_lo, v55, v159
	v_add_co_ci_u32_e64 v9, null, v56, v160, vcc_lo
	global_load_ushort v10, v[8:9], off
	v_add_co_u32 v8, vcc_lo, v39, v159
	v_add_co_ci_u32_e64 v9, null, v40, v160, vcc_lo
	global_load_ushort v8, v[8:9], off
	s_waitcnt vmcnt(1)
	v_lshlrev_b32_e32 v9, 16, v10
	ds_bpermute_b32 v10, v2, v6 offset:12
	s_waitcnt vmcnt(0)
	v_lshlrev_b32_e32 v8, 16, v8
	v_add_f32_e32 v3, v3, v8
	s_waitcnt lgkmcnt(0)
	v_sub_f32_e32 v9, v9, v10
	ds_bpermute_b32 v10, v2, v5 offset:12
	v_mul_f32_e32 v9, v9, v8
	;; [unrolled: 18-line block ×8, first 2 shown]
	s_waitcnt lgkmcnt(0)
	v_fmac_f32_e32 v204, v15, v16
	v_add_co_u32 v15, vcc_lo, v73, v159
	v_add_co_ci_u32_e64 v16, null, v74, v160, vcc_lo
	global_load_ushort v17, v[15:16], off
	v_add_co_u32 v15, vcc_lo, v71, v159
	v_add_co_ci_u32_e64 v16, null, v72, v160, vcc_lo
	global_load_ushort v15, v[15:16], off
	s_waitcnt vmcnt(1)
	v_lshlrev_b32_e32 v16, 16, v17
	ds_bpermute_b32 v17, v2, v6 offset:40
	s_waitcnt lgkmcnt(0)
	v_sub_f32_e32 v16, v16, v17
	s_waitcnt vmcnt(0)
	v_lshlrev_b32_e32 v17, 16, v15
	v_mul_f32_e32 v15, v16, v17
	ds_bpermute_b32 v16, v2, v5 offset:40
	v_add_f32_e32 v3, v3, v17
	s_waitcnt lgkmcnt(0)
	v_fmac_f32_e32 v204, v15, v16
	v_add_co_u32 v15, vcc_lo, v77, v159
	v_add_co_ci_u32_e64 v16, null, v78, v160, vcc_lo
	global_load_ushort v18, v[15:16], off
	v_add_co_u32 v15, vcc_lo, v75, v159
	v_add_co_ci_u32_e64 v16, null, v76, v160, vcc_lo
	global_load_ushort v15, v[15:16], off
	s_waitcnt vmcnt(1)
	v_lshlrev_b32_e32 v16, 16, v18
	ds_bpermute_b32 v18, v2, v6 offset:44
	s_waitcnt lgkmcnt(0)
	v_sub_f32_e32 v16, v16, v18
	s_waitcnt vmcnt(0)
	v_lshlrev_b32_e32 v18, 16, v15
	v_mul_f32_e32 v15, v16, v18
	ds_bpermute_b32 v16, v2, v5 offset:44
	v_add_f32_e32 v3, v3, v18
	;; [unrolled: 18-line block ×20, first 2 shown]
	s_waitcnt lgkmcnt(0)
	v_fmac_f32_e32 v204, v15, v16
	v_add_co_u32 v15, vcc_lo, v153, v159
	v_add_co_ci_u32_e64 v16, null, v154, v160, vcc_lo
	global_load_ushort v201, v[15:16], off
	v_add_co_u32 v15, vcc_lo, v151, v159
	v_add_co_ci_u32_e64 v16, null, v152, v160, vcc_lo
	global_load_ushort v15, v[15:16], off
	s_waitcnt vmcnt(1)
	v_lshlrev_b32_e32 v16, 16, v201
	ds_bpermute_b32 v201, v2, v6 offset:120
	ds_bpermute_b32 v6, v2, v6 offset:124
	s_waitcnt lgkmcnt(1)
	v_sub_f32_e32 v16, v16, v201
	s_waitcnt vmcnt(0)
	v_lshlrev_b32_e32 v201, 16, v15
	v_mul_f32_e32 v15, v16, v201
	ds_bpermute_b32 v16, v2, v5 offset:120
	ds_bpermute_b32 v5, v2, v5 offset:124
	v_add_f32_e32 v3, v3, v201
	s_waitcnt lgkmcnt(1)
	v_fmac_f32_e32 v204, v15, v16
	v_add_co_u32 v15, vcc_lo, v157, v159
	v_add_co_ci_u32_e64 v16, null, v158, v160, vcc_lo
	global_load_ushort v203, v[15:16], off
	v_add_co_u32 v15, vcc_lo, v155, v159
	v_add_co_ci_u32_e64 v16, null, v156, v160, vcc_lo
	global_load_ushort v15, v[15:16], off
	s_waitcnt vmcnt(1)
	v_lshlrev_b32_e32 v16, 16, v203
	v_sub_f32_e32 v6, v16, v6
	s_waitcnt vmcnt(0)
	v_lshlrev_b32_e32 v15, 16, v15
	v_mul_f32_e32 v6, v6, v15
	v_add_f32_e32 v201, v3, v15
	s_waitcnt lgkmcnt(0)
	v_fmac_f32_e32 v204, v6, v5
	v_mov_b32_e32 v203, v204
.LBB107_217:                            ;   in Loop: Header=BB107_145 Depth=1
	buffer_load_dword v3, off, s[36:39], 0  ; 4-byte Folded Reload
	v_add_co_u32 v164, vcc_lo, v164, s12
	v_add_co_ci_u32_e64 v165, null, s13, v165, vcc_lo
	v_add_co_u32 v166, vcc_lo, v166, s12
	v_add_co_ci_u32_e64 v167, null, s13, v167, vcc_lo
	;; [unrolled: 2-line block ×65, first 2 shown]
	s_add_u32 s22, s22, s1
	s_addc_u32 s23, s23, 0
	s_add_u32 s14, s14, s1
	v_cmp_ge_i64_e64 s7, s[22:23], s[8:9]
	s_addc_u32 s15, 0, s15
	s_waitcnt vmcnt(0)
	v_add_co_u32 v3, vcc_lo, v3, s12
	buffer_store_dword v3, off, s[36:39], 0 ; 4-byte Folded Spill
	buffer_load_dword v3, off, s[36:39], 0 offset:4 ; 4-byte Folded Reload
	s_waitcnt vmcnt(0)
	v_add_co_ci_u32_e64 v3, null, s13, v3, vcc_lo
	buffer_store_dword v3, off, s[36:39], 0 offset:4 ; 4-byte Folded Spill
	buffer_load_dword v3, off, s[36:39], 0 offset:8 ; 4-byte Folded Reload
	s_waitcnt vmcnt(0)
	v_add_co_u32 v3, vcc_lo, v3, s12
	buffer_store_dword v3, off, s[36:39], 0 offset:8 ; 4-byte Folded Spill
	buffer_load_dword v3, off, s[36:39], 0 offset:12 ; 4-byte Folded Reload
	s_waitcnt vmcnt(0)
	v_add_co_ci_u32_e64 v3, null, s13, v3, vcc_lo
	buffer_store_dword v3, off, s[36:39], 0 offset:12 ; 4-byte Folded Spill
	buffer_load_dword v3, off, s[36:39], 0 offset:16 ; 4-byte Folded Reload
	s_waitcnt vmcnt(0)
	v_add_co_u32 v3, vcc_lo, v3, s12
	buffer_store_dword v3, off, s[36:39], 0 offset:16 ; 4-byte Folded Spill
	;; [unrolled: 8-line block ×28, first 2 shown]
	buffer_load_dword v3, off, s[36:39], 0 offset:228 ; 4-byte Folded Reload
	s_waitcnt vmcnt(0)
	v_add_co_ci_u32_e64 v3, null, s13, v3, vcc_lo
	v_add_co_u32 v226, vcc_lo, v226, s12
	v_add_co_ci_u32_e64 v227, null, s13, v227, vcc_lo
	v_add_co_u32 v228, vcc_lo, v228, s12
	;; [unrolled: 2-line block ×33, first 2 shown]
	v_add_co_ci_u32_e64 v200, null, s13, v200, vcc_lo
	s_and_b32 vcc_lo, exec_lo, s7
	buffer_store_dword v3, off, s[36:39], 0 offset:228 ; 4-byte Folded Spill
	s_cbranch_vccnz .LBB107_219
; %bb.218:                              ;   in Loop: Header=BB107_145 Depth=1
	v_mov_b32_e32 v223, v201
	v_mov_b32_e32 v204, v203
	s_branch .LBB107_145
.LBB107_219:
	s_clause 0x2
	buffer_load_dword v1, off, s[36:39], 0 offset:292
	buffer_load_dword v2, off, s[36:39], 0 offset:296
	;; [unrolled: 1-line block ×3, first 2 shown]
.LBB107_220:
	s_mov_b32 s7, 0
	s_mov_b32 s1, exec_lo
	s_lshl_b64 s[2:3], s[6:7], 5
	s_waitcnt vmcnt(0)
	v_or_b32_e32 v4, s2, v227
	v_mov_b32_e32 v5, s3
	v_cmpx_gt_i64_e64 s[10:11], v[4:5]
	s_cbranch_execz .LBB107_225
; %bb.221:
	s_clause 0x1
	s_load_dword s1, s[4:5], 0x4c
	s_load_dwordx4 s[4:7], s[4:5], 0x30
	v_mov_b32_e32 v2, 0
	s_waitcnt lgkmcnt(0)
	s_lshr_b32 s1, s1, 16
	s_cmp_eq_u64 s[4:5], 0
	v_mad_u64_u32 v[2:3], null, s1, s0, v[1:2]
	v_lshlrev_b64 v[0:1], 1, v[4:5]
	v_mul_lo_u32 v3, v3, s10
	v_mul_lo_u32 v6, v2, s11
	s_cbranch_scc1 .LBB107_223
; %bb.222:
	v_mad_u64_u32 v[4:5], null, v2, s10, 0
	v_bfe_u32 v7, v203, 16, 1
	v_cmp_o_f32_e32 vcc_lo, v203, v203
	v_mov_b32_e32 v8, 0x7fc0
	v_add3_u32 v7, v203, v7, 0x7fff
	v_add3_u32 v5, v5, v6, v3
	v_cndmask_b32_sdwa v7, v8, v7, vcc_lo dst_sel:DWORD dst_unused:UNUSED_PAD src0_sel:DWORD src1_sel:WORD_1
	v_lshlrev_b64 v[4:5], 1, v[4:5]
	v_add_co_u32 v4, s0, s4, v4
	v_add_co_ci_u32_e64 v5, null, s5, v5, s0
	v_add_co_u32 v4, vcc_lo, v4, v0
	v_add_co_ci_u32_e64 v5, null, v5, v1, vcc_lo
	global_store_short v[4:5], v7, off
.LBB107_223:
	s_cmp_eq_u64 s[6:7], 0
	s_cbranch_scc1 .LBB107_225
; %bb.224:
	v_mad_u64_u32 v[4:5], null, v2, s10, 0
	v_cmp_o_f32_e32 vcc_lo, v201, v201
	v_add3_u32 v5, v5, v6, v3
	v_bfe_u32 v6, v201, 16, 1
	v_lshlrev_b64 v[2:3], 1, v[4:5]
	v_mov_b32_e32 v4, 0x7fc0
	v_add3_u32 v5, v201, v6, 0x7fff
	v_add_co_u32 v2, s0, s6, v2
	v_add_co_ci_u32_e64 v3, null, s7, v3, s0
	v_cndmask_b32_sdwa v4, v4, v5, vcc_lo dst_sel:DWORD dst_unused:UNUSED_PAD src0_sel:DWORD src1_sel:WORD_1
	v_add_co_u32 v0, vcc_lo, v2, v0
	v_add_co_ci_u32_e64 v1, null, v3, v1, vcc_lo
	global_store_short v[0:1], v4, off
.LBB107_225:
	s_endpgm
	.section	.rodata,"a",@progbits
	.p2align	6, 0x0
	.amdhsa_kernel _ZN2at6native12_GLOBAL__N_135GammaBetaBackwardCUDAKernelTemplateIN3c108BFloat16EfLj32ELj1ELj32ELb1ELb0ELb0EEEvllPKT_S7_PKT0_SA_PS5_SB_
		.amdhsa_group_segment_fixed_size 0
		.amdhsa_private_segment_fixed_size 312
		.amdhsa_kernarg_size 320
		.amdhsa_user_sgpr_count 6
		.amdhsa_user_sgpr_private_segment_buffer 1
		.amdhsa_user_sgpr_dispatch_ptr 0
		.amdhsa_user_sgpr_queue_ptr 0
		.amdhsa_user_sgpr_kernarg_segment_ptr 1
		.amdhsa_user_sgpr_dispatch_id 0
		.amdhsa_user_sgpr_flat_scratch_init 0
		.amdhsa_user_sgpr_private_segment_size 0
		.amdhsa_wavefront_size32 1
		.amdhsa_uses_dynamic_stack 0
		.amdhsa_system_sgpr_private_segment_wavefront_offset 1
		.amdhsa_system_sgpr_workgroup_id_x 1
		.amdhsa_system_sgpr_workgroup_id_y 1
		.amdhsa_system_sgpr_workgroup_id_z 0
		.amdhsa_system_sgpr_workgroup_info 0
		.amdhsa_system_vgpr_workitem_id 1
		.amdhsa_next_free_vgpr 256
		.amdhsa_next_free_sgpr 40
		.amdhsa_reserve_vcc 1
		.amdhsa_reserve_flat_scratch 0
		.amdhsa_float_round_mode_32 0
		.amdhsa_float_round_mode_16_64 0
		.amdhsa_float_denorm_mode_32 3
		.amdhsa_float_denorm_mode_16_64 3
		.amdhsa_dx10_clamp 1
		.amdhsa_ieee_mode 1
		.amdhsa_fp16_overflow 0
		.amdhsa_workgroup_processor_mode 1
		.amdhsa_memory_ordered 1
		.amdhsa_forward_progress 1
		.amdhsa_shared_vgpr_count 0
		.amdhsa_exception_fp_ieee_invalid_op 0
		.amdhsa_exception_fp_denorm_src 0
		.amdhsa_exception_fp_ieee_div_zero 0
		.amdhsa_exception_fp_ieee_overflow 0
		.amdhsa_exception_fp_ieee_underflow 0
		.amdhsa_exception_fp_ieee_inexact 0
		.amdhsa_exception_int_div_zero 0
	.end_amdhsa_kernel
	.section	.text._ZN2at6native12_GLOBAL__N_135GammaBetaBackwardCUDAKernelTemplateIN3c108BFloat16EfLj32ELj1ELj32ELb1ELb0ELb0EEEvllPKT_S7_PKT0_SA_PS5_SB_,"axG",@progbits,_ZN2at6native12_GLOBAL__N_135GammaBetaBackwardCUDAKernelTemplateIN3c108BFloat16EfLj32ELj1ELj32ELb1ELb0ELb0EEEvllPKT_S7_PKT0_SA_PS5_SB_,comdat
.Lfunc_end107:
	.size	_ZN2at6native12_GLOBAL__N_135GammaBetaBackwardCUDAKernelTemplateIN3c108BFloat16EfLj32ELj1ELj32ELb1ELb0ELb0EEEvllPKT_S7_PKT0_SA_PS5_SB_, .Lfunc_end107-_ZN2at6native12_GLOBAL__N_135GammaBetaBackwardCUDAKernelTemplateIN3c108BFloat16EfLj32ELj1ELj32ELb1ELb0ELb0EEEvllPKT_S7_PKT0_SA_PS5_SB_
                                        ; -- End function
	.set _ZN2at6native12_GLOBAL__N_135GammaBetaBackwardCUDAKernelTemplateIN3c108BFloat16EfLj32ELj1ELj32ELb1ELb0ELb0EEEvllPKT_S7_PKT0_SA_PS5_SB_.num_vgpr, 256
	.set _ZN2at6native12_GLOBAL__N_135GammaBetaBackwardCUDAKernelTemplateIN3c108BFloat16EfLj32ELj1ELj32ELb1ELb0ELb0EEEvllPKT_S7_PKT0_SA_PS5_SB_.num_agpr, 0
	.set _ZN2at6native12_GLOBAL__N_135GammaBetaBackwardCUDAKernelTemplateIN3c108BFloat16EfLj32ELj1ELj32ELb1ELb0ELb0EEEvllPKT_S7_PKT0_SA_PS5_SB_.numbered_sgpr, 40
	.set _ZN2at6native12_GLOBAL__N_135GammaBetaBackwardCUDAKernelTemplateIN3c108BFloat16EfLj32ELj1ELj32ELb1ELb0ELb0EEEvllPKT_S7_PKT0_SA_PS5_SB_.num_named_barrier, 0
	.set _ZN2at6native12_GLOBAL__N_135GammaBetaBackwardCUDAKernelTemplateIN3c108BFloat16EfLj32ELj1ELj32ELb1ELb0ELb0EEEvllPKT_S7_PKT0_SA_PS5_SB_.private_seg_size, 312
	.set _ZN2at6native12_GLOBAL__N_135GammaBetaBackwardCUDAKernelTemplateIN3c108BFloat16EfLj32ELj1ELj32ELb1ELb0ELb0EEEvllPKT_S7_PKT0_SA_PS5_SB_.uses_vcc, 1
	.set _ZN2at6native12_GLOBAL__N_135GammaBetaBackwardCUDAKernelTemplateIN3c108BFloat16EfLj32ELj1ELj32ELb1ELb0ELb0EEEvllPKT_S7_PKT0_SA_PS5_SB_.uses_flat_scratch, 0
	.set _ZN2at6native12_GLOBAL__N_135GammaBetaBackwardCUDAKernelTemplateIN3c108BFloat16EfLj32ELj1ELj32ELb1ELb0ELb0EEEvllPKT_S7_PKT0_SA_PS5_SB_.has_dyn_sized_stack, 0
	.set _ZN2at6native12_GLOBAL__N_135GammaBetaBackwardCUDAKernelTemplateIN3c108BFloat16EfLj32ELj1ELj32ELb1ELb0ELb0EEEvllPKT_S7_PKT0_SA_PS5_SB_.has_recursion, 0
	.set _ZN2at6native12_GLOBAL__N_135GammaBetaBackwardCUDAKernelTemplateIN3c108BFloat16EfLj32ELj1ELj32ELb1ELb0ELb0EEEvllPKT_S7_PKT0_SA_PS5_SB_.has_indirect_call, 0
	.section	.AMDGPU.csdata,"",@progbits
; Kernel info:
; codeLenInByte = 32224
; TotalNumSgprs: 42
; NumVgprs: 256
; ScratchSize: 312
; MemoryBound: 0
; FloatMode: 240
; IeeeMode: 1
; LDSByteSize: 0 bytes/workgroup (compile time only)
; SGPRBlocks: 0
; VGPRBlocks: 31
; NumSGPRsForWavesPerEU: 42
; NumVGPRsForWavesPerEU: 256
; Occupancy: 4
; WaveLimiterHint : 0
; COMPUTE_PGM_RSRC2:SCRATCH_EN: 1
; COMPUTE_PGM_RSRC2:USER_SGPR: 6
; COMPUTE_PGM_RSRC2:TRAP_HANDLER: 0
; COMPUTE_PGM_RSRC2:TGID_X_EN: 1
; COMPUTE_PGM_RSRC2:TGID_Y_EN: 1
; COMPUTE_PGM_RSRC2:TGID_Z_EN: 0
; COMPUTE_PGM_RSRC2:TIDIG_COMP_CNT: 1
	.section	.text._ZN2at6native12_GLOBAL__N_135GammaBetaBackwardCUDAKernelTemplateIN3c108BFloat16EfLj32ELj1ELj8ELb1ELb1ELb0EEEvllPKT_S7_PKT0_SA_PS5_SB_,"axG",@progbits,_ZN2at6native12_GLOBAL__N_135GammaBetaBackwardCUDAKernelTemplateIN3c108BFloat16EfLj32ELj1ELj8ELb1ELb1ELb0EEEvllPKT_S7_PKT0_SA_PS5_SB_,comdat
	.globl	_ZN2at6native12_GLOBAL__N_135GammaBetaBackwardCUDAKernelTemplateIN3c108BFloat16EfLj32ELj1ELj8ELb1ELb1ELb0EEEvllPKT_S7_PKT0_SA_PS5_SB_ ; -- Begin function _ZN2at6native12_GLOBAL__N_135GammaBetaBackwardCUDAKernelTemplateIN3c108BFloat16EfLj32ELj1ELj8ELb1ELb1ELb0EEEvllPKT_S7_PKT0_SA_PS5_SB_
	.p2align	8
	.type	_ZN2at6native12_GLOBAL__N_135GammaBetaBackwardCUDAKernelTemplateIN3c108BFloat16EfLj32ELj1ELj8ELb1ELb1ELb0EEEvllPKT_S7_PKT0_SA_PS5_SB_,@function
_ZN2at6native12_GLOBAL__N_135GammaBetaBackwardCUDAKernelTemplateIN3c108BFloat16EfLj32ELj1ELj8ELb1ELb1ELb0EEEvllPKT_S7_PKT0_SA_PS5_SB_: ; @_ZN2at6native12_GLOBAL__N_135GammaBetaBackwardCUDAKernelTemplateIN3c108BFloat16EfLj32ELj1ELj8ELb1ELb1ELb0EEEvllPKT_S7_PKT0_SA_PS5_SB_
; %bb.0:
	s_load_dwordx4 s[16:19], s[4:5], 0x0
	s_lshl_b32 s2, s7, 3
	s_mov_b32 s3, 0
	s_waitcnt lgkmcnt(0)
	v_cmp_gt_i64_e64 s0, s[16:17], s[2:3]
	s_and_b32 vcc_lo, exec_lo, s0
	s_cbranch_vccnz .LBB108_2
; %bb.1:
	s_add_u32 s24, s4, 64
	s_addc_u32 s25, s5, 0
	s_mov_b32 s0, s3
	s_branch .LBB108_3
.LBB108_2:
	s_mov_b32 s0, -1
                                        ; implicit-def: $sgpr24_sgpr25
.LBB108_3:
	s_load_dwordx4 s[20:23], s[4:5], 0x30
	v_mov_b32_e32 v9, 0
	v_mov_b32_e32 v11, 0
	s_andn2_b32 vcc_lo, exec_lo, s0
	s_cbranch_vccnz .LBB108_10
; %bb.4:
	s_clause 0x2
	s_load_dword s0, s[4:5], 0x4c
	s_load_dword s1, s[4:5], 0x44
	s_load_dwordx8 s[8:15], s[4:5], 0x10
	v_lshlrev_b32_e32 v2, 3, v1
	s_add_u32 s24, s4, 64
	s_addc_u32 s25, s5, 0
	v_mov_b32_e32 v3, 0
	v_mov_b32_e32 v8, 8
	v_add_co_u32 v4, s4, v2, s2
	v_add_co_ci_u32_e64 v5, null, 0, 0, s4
	v_lshl_or_b32 v2, s6, 5, v0
	v_mul_lo_u32 v9, s19, v4
	v_mad_u64_u32 v[6:7], null, s18, v4, 0
	v_mul_lo_u32 v11, s18, v5
	v_lshlrev_b64 v[17:18], 1, v[2:3]
	v_mov_b32_e32 v10, 4
	v_mov_b32_e32 v12, 12
	s_waitcnt lgkmcnt(0)
	s_and_b32 s0, s0, 0xffff
	s_lshl_b32 s26, s1, 3
	v_mad_u32_u24 v16, v1, s0, v0
	s_mul_i32 s1, s19, s26
	v_add3_u32 v7, v7, v11, v9
	s_mul_hi_u32 s4, s18, s26
	v_mov_b32_e32 v13, 16
	v_and_b32_e32 v21, 31, v16
	v_mov_b32_e32 v14, 20
	v_lshlrev_b64 v[19:20], 1, v[6:7]
	v_mov_b32_e32 v15, 24
	v_mov_b32_e32 v16, 28
	v_add_co_u32 v4, vcc_lo, v4, v21
	v_add_co_ci_u32_e64 v5, null, 0, v5, vcc_lo
	v_add_co_u32 v2, vcc_lo, v19, v17
	v_cmp_gt_u32_e64 s0, 8, v21
	v_lshlrev_b64 v[6:7], 2, v[4:5]
	v_add_co_ci_u32_e64 v17, null, v20, v18, vcc_lo
	v_mov_b32_e32 v11, 0
	v_mov_b32_e32 v9, 0
	s_mov_b32 s27, 0
	s_add_i32 s29, s4, s1
	s_mul_i32 s28, s18, s26
	s_lshl_b64 s[4:5], s[26:27], 2
	s_lshl_b64 s[28:29], s[28:29], 1
	;; [unrolled: 1-line block ×3, first 2 shown]
	s_branch .LBB108_7
.LBB108_5:                              ;   in Loop: Header=BB108_7 Depth=1
	s_or_b32 exec_lo, exec_lo, s27
.LBB108_6:                              ;   in Loop: Header=BB108_7 Depth=1
	s_or_b32 exec_lo, exec_lo, s1
	v_add_co_u32 v20, vcc_lo, s8, v2
	v_add_co_ci_u32_e64 v21, null, s9, v17, vcc_lo
	v_add_co_u32 v22, vcc_lo, s10, v2
	v_add_co_ci_u32_e64 v23, null, s11, v17, vcc_lo
	;; [unrolled: 2-line block ×5, first 2 shown]
	global_load_ushort v30, v[20:21], off
	global_load_ushort v31, v[22:23], off
	;; [unrolled: 1-line block ×5, first 2 shown]
	v_add_co_u32 v20, vcc_lo, v26, s30
	v_add_co_ci_u32_e64 v21, null, s31, v27, vcc_lo
	v_add_co_u32 v22, vcc_lo, v28, s30
	v_add_co_ci_u32_e64 v23, null, s31, v29, vcc_lo
	v_add_co_u32 v24, vcc_lo, v20, s30
	v_add_co_ci_u32_e64 v25, null, s31, v21, vcc_lo
	v_add_co_u32 v26, vcc_lo, v22, s30
	v_add_co_ci_u32_e64 v27, null, s31, v23, vcc_lo
	v_add_co_u32 v28, vcc_lo, v24, s30
	v_add_co_ci_u32_e64 v29, null, s31, v25, vcc_lo
	global_load_ushort v35, v[20:21], off
	global_load_ushort v36, v[22:23], off
	;; [unrolled: 1-line block ×5, first 2 shown]
	v_add_co_u32 v20, vcc_lo, v26, s30
	v_add_co_ci_u32_e64 v21, null, s31, v27, vcc_lo
	v_add_co_u32 v22, vcc_lo, v28, s30
	v_add_co_ci_u32_e64 v23, null, s31, v29, vcc_lo
	;; [unrolled: 2-line block ×4, first 2 shown]
	global_load_ushort v28, v[20:21], off
	global_load_ushort v29, v[22:23], off
	;; [unrolled: 1-line block ×4, first 2 shown]
	v_add_co_u32 v20, vcc_lo, v26, s30
	v_add_co_ci_u32_e64 v21, null, s31, v27, vcc_lo
	v_add_co_u32 v22, vcc_lo, v24, s30
	v_add_co_ci_u32_e64 v23, null, s31, v25, vcc_lo
	global_load_ushort v20, v[20:21], off
	global_load_ushort v21, v[22:23], off
	s_waitcnt vmcnt(17)
	ds_bpermute_b32 v22, v3, v18
	ds_bpermute_b32 v25, v10, v18
	s_waitcnt vmcnt(16)
	ds_bpermute_b32 v23, v3, v19
	ds_bpermute_b32 v27, v8, v18
	ds_bpermute_b32 v24, v10, v19
	ds_bpermute_b32 v43, v12, v18
	ds_bpermute_b32 v26, v8, v19
	ds_bpermute_b32 v45, v13, v18
	ds_bpermute_b32 v42, v12, v19
	ds_bpermute_b32 v47, v14, v18
	ds_bpermute_b32 v44, v13, v19
	ds_bpermute_b32 v49, v15, v18
	ds_bpermute_b32 v46, v14, v19
	ds_bpermute_b32 v18, v16, v18
	ds_bpermute_b32 v48, v15, v19
	ds_bpermute_b32 v19, v16, v19
	s_add_u32 s2, s2, s26
	v_add_co_u32 v6, vcc_lo, v6, s4
	s_addc_u32 s3, s3, 0
	v_add_co_ci_u32_e64 v7, null, s5, v7, vcc_lo
	v_add_co_u32 v4, vcc_lo, v4, s26
	v_cmp_lt_i64_e64 s1, s[2:3], s[16:17]
	v_add_co_ci_u32_e64 v5, null, 0, v5, vcc_lo
	v_add_co_u32 v2, vcc_lo, v2, s28
	v_add_co_ci_u32_e64 v17, null, s29, v17, vcc_lo
	s_and_b32 vcc_lo, exec_lo, s1
	s_waitcnt vmcnt(15)
	v_lshlrev_b32_e32 v30, 16, v30
	s_waitcnt vmcnt(14)
	v_lshlrev_b32_e32 v31, 16, v31
	s_waitcnt vmcnt(12)
	v_lshlrev_b32_e32 v33, 16, v33
	v_add_f32_e32 v11, v11, v30
	s_waitcnt lgkmcnt(15)
	v_sub_f32_e32 v22, v31, v22
	v_lshlrev_b32_e32 v31, 16, v32
	s_waitcnt lgkmcnt(14)
	v_sub_f32_e32 v25, v33, v25
	v_mul_f32_e32 v22, v22, v30
	s_waitcnt vmcnt(11)
	v_lshlrev_b32_e32 v30, 16, v34
	v_add_f32_e32 v11, v11, v31
	s_waitcnt lgkmcnt(13)
	v_fmac_f32_e32 v9, v22, v23
	v_mul_f32_e32 v22, v25, v31
	v_add_f32_e32 v11, v11, v30
	s_waitcnt vmcnt(10)
	v_lshlrev_b32_e32 v32, 16, v35
	s_waitcnt lgkmcnt(11)
	v_fmac_f32_e32 v9, v22, v24
	s_waitcnt vmcnt(8)
	v_lshlrev_b32_e32 v25, 16, v37
	s_waitcnt vmcnt(6)
	v_lshlrev_b32_e32 v24, 16, v39
	v_sub_f32_e32 v23, v32, v27
	v_lshlrev_b32_e32 v27, 16, v36
	v_mul_f32_e32 v22, v23, v30
	s_waitcnt lgkmcnt(10)
	v_sub_f32_e32 v23, v25, v43
	v_lshlrev_b32_e32 v25, 16, v38
	v_add_f32_e32 v11, v11, v27
	s_waitcnt lgkmcnt(9)
	v_fmac_f32_e32 v9, v22, v26
	v_mul_f32_e32 v22, v23, v27
	s_waitcnt lgkmcnt(8)
	v_sub_f32_e32 v23, v24, v45
	s_waitcnt vmcnt(5)
	v_lshlrev_b32_e32 v26, 16, v28
	s_waitcnt vmcnt(4)
	v_lshlrev_b32_e32 v24, 16, v29
	v_add_f32_e32 v11, v11, v25
	s_waitcnt lgkmcnt(7)
	v_fmac_f32_e32 v9, v22, v42
	v_mul_f32_e32 v22, v23, v25
	s_waitcnt vmcnt(3)
	v_lshlrev_b32_e32 v25, 16, v40
	s_waitcnt lgkmcnt(6)
	v_sub_f32_e32 v23, v24, v47
	s_waitcnt vmcnt(2)
	v_lshlrev_b32_e32 v24, 16, v41
	v_add_f32_e32 v11, v11, v26
	s_waitcnt lgkmcnt(5)
	v_fmac_f32_e32 v9, v22, v44
	v_mul_f32_e32 v22, v23, v26
	s_waitcnt lgkmcnt(4)
	v_sub_f32_e32 v23, v24, v49
	s_waitcnt vmcnt(1)
	v_lshlrev_b32_e32 v20, 16, v20
	s_waitcnt vmcnt(0)
	v_lshlrev_b32_e32 v21, 16, v21
	v_add_f32_e32 v11, v11, v25
	s_waitcnt lgkmcnt(3)
	v_fmac_f32_e32 v9, v22, v46
	v_mul_f32_e32 v22, v23, v25
	s_waitcnt lgkmcnt(2)
	v_sub_f32_e32 v18, v20, v18
	v_add_f32_e32 v11, v11, v21
	s_waitcnt lgkmcnt(1)
	v_fmac_f32_e32 v9, v22, v48
	v_mul_f32_e32 v18, v18, v21
	s_waitcnt lgkmcnt(0)
	v_fmac_f32_e32 v9, v18, v19
	s_cbranch_vccz .LBB108_10
.LBB108_7:                              ; =>This Inner Loop Header: Depth=1
	v_mov_b32_e32 v19, 0
	v_mov_b32_e32 v18, 0
	s_and_saveexec_b32 s1, s0
	s_cbranch_execz .LBB108_6
; %bb.8:                                ;   in Loop: Header=BB108_7 Depth=1
	v_mov_b32_e32 v18, 0
	v_mov_b32_e32 v19, 0
	s_mov_b32 s27, exec_lo
	v_cmpx_gt_i64_e64 s[16:17], v[4:5]
	s_cbranch_execz .LBB108_5
; %bb.9:                                ;   in Loop: Header=BB108_7 Depth=1
	v_add_co_u32 v18, vcc_lo, s12, v6
	v_add_co_ci_u32_e64 v19, null, s13, v7, vcc_lo
	v_add_co_u32 v20, vcc_lo, s14, v6
	v_add_co_ci_u32_e64 v21, null, s15, v7, vcc_lo
	global_load_dword v18, v[18:19], off
	global_load_dword v19, v[20:21], off
	s_branch .LBB108_5
.LBB108_10:
	s_load_dword s0, s[24:25], 0xc
	v_mov_b32_e32 v2, 0
	s_waitcnt lgkmcnt(0)
	s_lshr_b32 s0, s0, 16
	v_mad_u64_u32 v[2:3], null, s0, s7, v[1:2]
	s_mov_b32 s7, 0
	s_lshl_b64 s[0:1], s[6:7], 5
	s_cmp_eq_u64 s[20:21], 0
	v_or_b32_e32 v0, s0, v0
	v_mov_b32_e32 v1, s1
	v_mul_lo_u32 v3, v3, s18
	v_mul_lo_u32 v4, v2, s19
	v_lshlrev_b64 v[0:1], 1, v[0:1]
	s_cbranch_scc1 .LBB108_12
; %bb.11:
	v_mad_u64_u32 v[5:6], null, v2, s18, 0
	v_bfe_u32 v7, v9, 16, 1
	v_cmp_o_f32_e32 vcc_lo, v9, v9
	v_mov_b32_e32 v8, 0x7fc0
	v_add3_u32 v7, v9, v7, 0x7fff
	v_add3_u32 v6, v6, v4, v3
	v_cndmask_b32_sdwa v7, v8, v7, vcc_lo dst_sel:DWORD dst_unused:UNUSED_PAD src0_sel:DWORD src1_sel:WORD_1
	v_lshlrev_b64 v[5:6], 1, v[5:6]
	v_add_co_u32 v5, s0, s20, v5
	v_add_co_ci_u32_e64 v6, null, s21, v6, s0
	v_add_co_u32 v5, vcc_lo, v5, v0
	v_add_co_ci_u32_e64 v6, null, v6, v1, vcc_lo
	global_store_short v[5:6], v7, off
.LBB108_12:
	s_cmp_eq_u64 s[22:23], 0
	s_cbranch_scc1 .LBB108_14
; %bb.13:
	v_mad_u64_u32 v[5:6], null, v2, s18, 0
	v_cmp_o_f32_e32 vcc_lo, v11, v11
	v_add3_u32 v6, v6, v4, v3
	v_bfe_u32 v4, v11, 16, 1
	v_lshlrev_b64 v[2:3], 1, v[5:6]
	v_mov_b32_e32 v5, 0x7fc0
	v_add3_u32 v4, v11, v4, 0x7fff
	v_add_co_u32 v2, s0, s22, v2
	v_add_co_ci_u32_e64 v3, null, s23, v3, s0
	v_cndmask_b32_sdwa v4, v5, v4, vcc_lo dst_sel:DWORD dst_unused:UNUSED_PAD src0_sel:DWORD src1_sel:WORD_1
	v_add_co_u32 v0, vcc_lo, v2, v0
	v_add_co_ci_u32_e64 v1, null, v3, v1, vcc_lo
	global_store_short v[0:1], v4, off
.LBB108_14:
	s_endpgm
	.section	.rodata,"a",@progbits
	.p2align	6, 0x0
	.amdhsa_kernel _ZN2at6native12_GLOBAL__N_135GammaBetaBackwardCUDAKernelTemplateIN3c108BFloat16EfLj32ELj1ELj8ELb1ELb1ELb0EEEvllPKT_S7_PKT0_SA_PS5_SB_
		.amdhsa_group_segment_fixed_size 0
		.amdhsa_private_segment_fixed_size 0
		.amdhsa_kernarg_size 320
		.amdhsa_user_sgpr_count 6
		.amdhsa_user_sgpr_private_segment_buffer 1
		.amdhsa_user_sgpr_dispatch_ptr 0
		.amdhsa_user_sgpr_queue_ptr 0
		.amdhsa_user_sgpr_kernarg_segment_ptr 1
		.amdhsa_user_sgpr_dispatch_id 0
		.amdhsa_user_sgpr_flat_scratch_init 0
		.amdhsa_user_sgpr_private_segment_size 0
		.amdhsa_wavefront_size32 1
		.amdhsa_uses_dynamic_stack 0
		.amdhsa_system_sgpr_private_segment_wavefront_offset 0
		.amdhsa_system_sgpr_workgroup_id_x 1
		.amdhsa_system_sgpr_workgroup_id_y 1
		.amdhsa_system_sgpr_workgroup_id_z 0
		.amdhsa_system_sgpr_workgroup_info 0
		.amdhsa_system_vgpr_workitem_id 1
		.amdhsa_next_free_vgpr 50
		.amdhsa_next_free_sgpr 32
		.amdhsa_reserve_vcc 1
		.amdhsa_reserve_flat_scratch 0
		.amdhsa_float_round_mode_32 0
		.amdhsa_float_round_mode_16_64 0
		.amdhsa_float_denorm_mode_32 3
		.amdhsa_float_denorm_mode_16_64 3
		.amdhsa_dx10_clamp 1
		.amdhsa_ieee_mode 1
		.amdhsa_fp16_overflow 0
		.amdhsa_workgroup_processor_mode 1
		.amdhsa_memory_ordered 1
		.amdhsa_forward_progress 1
		.amdhsa_shared_vgpr_count 0
		.amdhsa_exception_fp_ieee_invalid_op 0
		.amdhsa_exception_fp_denorm_src 0
		.amdhsa_exception_fp_ieee_div_zero 0
		.amdhsa_exception_fp_ieee_overflow 0
		.amdhsa_exception_fp_ieee_underflow 0
		.amdhsa_exception_fp_ieee_inexact 0
		.amdhsa_exception_int_div_zero 0
	.end_amdhsa_kernel
	.section	.text._ZN2at6native12_GLOBAL__N_135GammaBetaBackwardCUDAKernelTemplateIN3c108BFloat16EfLj32ELj1ELj8ELb1ELb1ELb0EEEvllPKT_S7_PKT0_SA_PS5_SB_,"axG",@progbits,_ZN2at6native12_GLOBAL__N_135GammaBetaBackwardCUDAKernelTemplateIN3c108BFloat16EfLj32ELj1ELj8ELb1ELb1ELb0EEEvllPKT_S7_PKT0_SA_PS5_SB_,comdat
.Lfunc_end108:
	.size	_ZN2at6native12_GLOBAL__N_135GammaBetaBackwardCUDAKernelTemplateIN3c108BFloat16EfLj32ELj1ELj8ELb1ELb1ELb0EEEvllPKT_S7_PKT0_SA_PS5_SB_, .Lfunc_end108-_ZN2at6native12_GLOBAL__N_135GammaBetaBackwardCUDAKernelTemplateIN3c108BFloat16EfLj32ELj1ELj8ELb1ELb1ELb0EEEvllPKT_S7_PKT0_SA_PS5_SB_
                                        ; -- End function
	.set _ZN2at6native12_GLOBAL__N_135GammaBetaBackwardCUDAKernelTemplateIN3c108BFloat16EfLj32ELj1ELj8ELb1ELb1ELb0EEEvllPKT_S7_PKT0_SA_PS5_SB_.num_vgpr, 50
	.set _ZN2at6native12_GLOBAL__N_135GammaBetaBackwardCUDAKernelTemplateIN3c108BFloat16EfLj32ELj1ELj8ELb1ELb1ELb0EEEvllPKT_S7_PKT0_SA_PS5_SB_.num_agpr, 0
	.set _ZN2at6native12_GLOBAL__N_135GammaBetaBackwardCUDAKernelTemplateIN3c108BFloat16EfLj32ELj1ELj8ELb1ELb1ELb0EEEvllPKT_S7_PKT0_SA_PS5_SB_.numbered_sgpr, 32
	.set _ZN2at6native12_GLOBAL__N_135GammaBetaBackwardCUDAKernelTemplateIN3c108BFloat16EfLj32ELj1ELj8ELb1ELb1ELb0EEEvllPKT_S7_PKT0_SA_PS5_SB_.num_named_barrier, 0
	.set _ZN2at6native12_GLOBAL__N_135GammaBetaBackwardCUDAKernelTemplateIN3c108BFloat16EfLj32ELj1ELj8ELb1ELb1ELb0EEEvllPKT_S7_PKT0_SA_PS5_SB_.private_seg_size, 0
	.set _ZN2at6native12_GLOBAL__N_135GammaBetaBackwardCUDAKernelTemplateIN3c108BFloat16EfLj32ELj1ELj8ELb1ELb1ELb0EEEvllPKT_S7_PKT0_SA_PS5_SB_.uses_vcc, 1
	.set _ZN2at6native12_GLOBAL__N_135GammaBetaBackwardCUDAKernelTemplateIN3c108BFloat16EfLj32ELj1ELj8ELb1ELb1ELb0EEEvllPKT_S7_PKT0_SA_PS5_SB_.uses_flat_scratch, 0
	.set _ZN2at6native12_GLOBAL__N_135GammaBetaBackwardCUDAKernelTemplateIN3c108BFloat16EfLj32ELj1ELj8ELb1ELb1ELb0EEEvllPKT_S7_PKT0_SA_PS5_SB_.has_dyn_sized_stack, 0
	.set _ZN2at6native12_GLOBAL__N_135GammaBetaBackwardCUDAKernelTemplateIN3c108BFloat16EfLj32ELj1ELj8ELb1ELb1ELb0EEEvllPKT_S7_PKT0_SA_PS5_SB_.has_recursion, 0
	.set _ZN2at6native12_GLOBAL__N_135GammaBetaBackwardCUDAKernelTemplateIN3c108BFloat16EfLj32ELj1ELj8ELb1ELb1ELb0EEEvllPKT_S7_PKT0_SA_PS5_SB_.has_indirect_call, 0
	.section	.AMDGPU.csdata,"",@progbits
; Kernel info:
; codeLenInByte = 1636
; TotalNumSgprs: 34
; NumVgprs: 50
; ScratchSize: 0
; MemoryBound: 0
; FloatMode: 240
; IeeeMode: 1
; LDSByteSize: 0 bytes/workgroup (compile time only)
; SGPRBlocks: 0
; VGPRBlocks: 6
; NumSGPRsForWavesPerEU: 34
; NumVGPRsForWavesPerEU: 50
; Occupancy: 16
; WaveLimiterHint : 0
; COMPUTE_PGM_RSRC2:SCRATCH_EN: 0
; COMPUTE_PGM_RSRC2:USER_SGPR: 6
; COMPUTE_PGM_RSRC2:TRAP_HANDLER: 0
; COMPUTE_PGM_RSRC2:TGID_X_EN: 1
; COMPUTE_PGM_RSRC2:TGID_Y_EN: 1
; COMPUTE_PGM_RSRC2:TGID_Z_EN: 0
; COMPUTE_PGM_RSRC2:TIDIG_COMP_CNT: 1
	.section	.text._ZN2at6native12_GLOBAL__N_135GammaBetaBackwardCUDAKernelTemplateIN3c108BFloat16EfLj32ELj1ELj8ELb1ELb0ELb0EEEvllPKT_S7_PKT0_SA_PS5_SB_,"axG",@progbits,_ZN2at6native12_GLOBAL__N_135GammaBetaBackwardCUDAKernelTemplateIN3c108BFloat16EfLj32ELj1ELj8ELb1ELb0ELb0EEEvllPKT_S7_PKT0_SA_PS5_SB_,comdat
	.globl	_ZN2at6native12_GLOBAL__N_135GammaBetaBackwardCUDAKernelTemplateIN3c108BFloat16EfLj32ELj1ELj8ELb1ELb0ELb0EEEvllPKT_S7_PKT0_SA_PS5_SB_ ; -- Begin function _ZN2at6native12_GLOBAL__N_135GammaBetaBackwardCUDAKernelTemplateIN3c108BFloat16EfLj32ELj1ELj8ELb1ELb0ELb0EEEvllPKT_S7_PKT0_SA_PS5_SB_
	.p2align	8
	.type	_ZN2at6native12_GLOBAL__N_135GammaBetaBackwardCUDAKernelTemplateIN3c108BFloat16EfLj32ELj1ELj8ELb1ELb0ELb0EEEvllPKT_S7_PKT0_SA_PS5_SB_,@function
_ZN2at6native12_GLOBAL__N_135GammaBetaBackwardCUDAKernelTemplateIN3c108BFloat16EfLj32ELj1ELj8ELb1ELb0ELb0EEEvllPKT_S7_PKT0_SA_PS5_SB_: ; @_ZN2at6native12_GLOBAL__N_135GammaBetaBackwardCUDAKernelTemplateIN3c108BFloat16EfLj32ELj1ELj8ELb1ELb0ELb0EEEvllPKT_S7_PKT0_SA_PS5_SB_
; %bb.0:
	s_clause 0x1
	s_load_dwordx8 s[8:15], s[4:5], 0x0
	s_load_dwordx4 s[16:19], s[4:5], 0x20
	s_mov_b32 s0, s7
	s_lshl_b32 s7, s6, 5
	s_mov_b32 s21, 0
	s_or_b32 s20, s7, 31
	s_waitcnt lgkmcnt(0)
	v_cmp_le_i64_e64 s1, s[10:11], s[20:21]
	s_lshl_b32 s20, s0, 3
	v_cmp_gt_i64_e64 s28, s[8:9], s[20:21]
	s_and_b32 vcc_lo, exec_lo, s1
	v_cndmask_b32_e64 v2, 0, 1, s28
	v_cmp_ne_u32_e64 s1, 1, v2
	s_cbranch_vccz .LBB109_49
; %bb.1:
	v_mov_b32_e32 v11, 0
	v_mov_b32_e32 v56, 0
	s_and_b32 vcc_lo, exec_lo, s1
	s_cbranch_vccnz .LBB109_50
; %bb.2:
	v_lshlrev_b32_e32 v23, 3, v1
	v_mov_b32_e32 v2, 0
	v_add_nc_u32_e32 v3, s7, v0
	s_load_dword s2, s[4:5], 0x44
	s_add_u32 s22, s4, 64
	v_add_co_u32 v11, s1, v23, s20
	v_add_co_ci_u32_e64 v12, null, 0, 0, s1
	v_mov_b32_e32 v4, v2
	v_mul_lo_u32 v7, s11, v11
	v_mad_u64_u32 v[5:6], null, s10, v11, 0
	v_mul_lo_u32 v8, s10, v12
	v_cmp_gt_i64_e64 s1, s[10:11], v[3:4]
	v_lshlrev_b64 v[19:20], 1, v[3:4]
	s_addc_u32 s23, s5, 0
	v_mov_b32_e32 v24, v2
	v_mov_b32_e32 v56, 0
	;; [unrolled: 1-line block ×3, first 2 shown]
	s_mov_b64 s[26:27], s[20:21]
	v_add3_u32 v6, v6, v8, v7
	v_add_co_u32 v7, vcc_lo, v11, 7
	v_add_co_ci_u32_e64 v8, null, 0, v12, vcc_lo
	v_add_co_u32 v9, vcc_lo, v11, 6
	v_add_co_ci_u32_e64 v10, null, 0, v12, vcc_lo
	v_lshlrev_b64 v[3:4], 1, v[5:6]
	v_mul_lo_u32 v13, s11, v7
	v_mul_lo_u32 v14, s10, v8
	v_mad_u64_u32 v[7:8], null, s10, v7, 0
	v_mul_lo_u32 v15, s11, v9
	v_mul_lo_u32 v16, s10, v10
	v_mad_u64_u32 v[9:10], null, s10, v9, 0
	v_add_co_u32 v25, vcc_lo, s12, v3
	v_add_co_ci_u32_e64 v26, null, s13, v4, vcc_lo
	v_add_co_u32 v27, vcc_lo, s14, v3
	v_add3_u32 v8, v8, v14, v13
	v_add_co_ci_u32_e64 v28, null, s15, v4, vcc_lo
	v_add_co_u32 v13, vcc_lo, v11, 5
	v_add3_u32 v10, v10, v16, v15
	v_add_co_ci_u32_e64 v14, null, 0, v12, vcc_lo
	v_lshlrev_b64 v[3:4], 1, v[7:8]
	v_mul_lo_u32 v15, s11, v13
	v_lshlrev_b64 v[7:8], 1, v[9:10]
	v_mul_lo_u32 v14, s10, v14
	v_mad_u64_u32 v[9:10], null, s10, v13, 0
	v_add_co_u32 v29, vcc_lo, s12, v3
	v_add_co_ci_u32_e64 v30, null, s13, v4, vcc_lo
	v_add_co_u32 v31, vcc_lo, s14, v3
	s_waitcnt lgkmcnt(0)
	s_lshl_b32 s29, s2, 3
	v_add_co_ci_u32_e64 v32, null, s15, v4, vcc_lo
	v_add_co_u32 v33, vcc_lo, s12, v7
	v_add3_u32 v10, v10, v14, v15
	s_mul_i32 s2, s11, s29
	s_mul_hi_u32 s3, s10, s29
	v_add_co_ci_u32_e64 v34, null, s13, v8, vcc_lo
	v_add_co_u32 v13, vcc_lo, v11, 4
	s_add_i32 s25, s3, s2
	v_add_co_u32 v35, s2, s14, v7
	v_add_co_ci_u32_e64 v7, null, 0, v12, vcc_lo
	v_lshlrev_b64 v[3:4], 1, v[9:10]
	v_add_co_u32 v9, vcc_lo, v11, 3
	v_add_co_ci_u32_e64 v10, null, 0, v12, vcc_lo
	v_add_co_ci_u32_e64 v36, null, s15, v8, s2
	v_mul_lo_u32 v14, s11, v13
	v_mul_lo_u32 v15, s10, v7
	v_mad_u64_u32 v[7:8], null, s10, v13, 0
	v_mul_lo_u32 v13, s11, v9
	v_mul_lo_u32 v16, s10, v10
	v_mad_u64_u32 v[9:10], null, s10, v9, 0
	v_add_co_u32 v37, vcc_lo, s12, v3
	v_add_co_ci_u32_e64 v38, null, s13, v4, vcc_lo
	v_add3_u32 v8, v8, v15, v14
	v_add_co_u32 v39, vcc_lo, s14, v3
	v_add_co_ci_u32_e64 v40, null, s15, v4, vcc_lo
	v_add_co_u32 v11, vcc_lo, v11, 2
	v_add3_u32 v10, v10, v16, v13
	v_add_co_ci_u32_e64 v12, null, 0, v12, vcc_lo
	v_lshlrev_b64 v[3:4], 1, v[7:8]
	v_mul_lo_u32 v13, s11, v11
	v_lshlrev_b64 v[7:8], 1, v[9:10]
	v_mul_lo_u32 v12, s10, v12
	v_mad_u64_u32 v[9:10], null, s10, v11, 0
	v_add_co_u32 v41, vcc_lo, s12, v3
	v_add_co_ci_u32_e64 v42, null, s13, v4, vcc_lo
	v_add_co_u32 v43, vcc_lo, s14, v3
	v_add_co_ci_u32_e64 v44, null, s15, v4, vcc_lo
	v_add_co_u32 v45, vcc_lo, s12, v7
	v_add_co_ci_u32_e64 v46, null, s13, v8, vcc_lo
	v_add3_u32 v10, v10, v12, v13
	v_add_co_u32 v47, vcc_lo, s14, v7
	v_add_co_ci_u32_e64 v48, null, s15, v8, vcc_lo
	v_add_co_u32 v5, vcc_lo, v5, s10
	v_add_co_ci_u32_e64 v6, null, s11, v6, vcc_lo
	v_lshlrev_b64 v[3:4], 1, v[9:10]
	s_mul_i32 s24, s10, s29
	v_lshlrev_b64 v[5:6], 1, v[5:6]
	s_lshl_b64 s[2:3], s[24:25], 1
	s_mov_b64 s[24:25], 7
	v_add_co_u32 v49, vcc_lo, s12, v3
	v_add_co_ci_u32_e64 v50, null, s13, v4, vcc_lo
	v_add_co_u32 v51, vcc_lo, s14, v3
	v_add_co_ci_u32_e64 v52, null, s15, v4, vcc_lo
	;; [unrolled: 2-line block ×4, first 2 shown]
.LBB109_3:                              ; =>This Inner Loop Header: Depth=1
	s_add_u32 s30, s20, s24
	s_addc_u32 s31, 0, s25
	v_add_co_u32 v21, vcc_lo, s20, v23
	v_cmp_ge_i64_e64 s30, s[30:31], s[8:9]
	v_add_co_ci_u32_e64 v22, null, 0, v24, vcc_lo
                                        ; implicit-def: $vgpr11_vgpr12_vgpr13_vgpr14_vgpr15_vgpr16_vgpr17_vgpr18
                                        ; implicit-def: $vgpr3_vgpr4_vgpr5_vgpr6_vgpr7_vgpr8_vgpr9_vgpr10
                                        ; implicit-def: $vgpr60
                                        ; implicit-def: $vgpr3
                                        ; implicit-def: $vgpr11
                                        ; implicit-def: $vgpr4
	s_and_b32 vcc_lo, exec_lo, s30
	s_mov_b32 s30, -1
	s_cbranch_vccz .LBB109_25
; %bb.4:                                ;   in Loop: Header=BB109_3 Depth=1
	s_load_dword s30, s[22:23], 0xc
	v_mov_b32_e32 v60, 0
	v_mov_b32_e32 v59, 0
	s_waitcnt lgkmcnt(0)
	s_and_b32 s30, s30, 0xffff
	v_mad_u32_u24 v3, v1, s30, v0
	s_mov_b32 s30, exec_lo
	v_and_b32_e32 v3, 31, v3
	v_cmpx_gt_u32_e32 8, v3
	s_cbranch_execz .LBB109_8
; %bb.5:                                ;   in Loop: Header=BB109_3 Depth=1
	v_add_co_u32 v3, vcc_lo, v21, v3
	v_add_co_ci_u32_e64 v4, null, 0, v22, vcc_lo
	v_mov_b32_e32 v59, 0
	v_mov_b32_e32 v60, 0
	s_mov_b32 s31, exec_lo
	v_cmpx_gt_i64_e64 s[8:9], v[3:4]
	s_cbranch_execz .LBB109_7
; %bb.6:                                ;   in Loop: Header=BB109_3 Depth=1
	v_lshlrev_b64 v[3:4], 2, v[3:4]
	v_add_co_u32 v5, vcc_lo, s16, v3
	v_add_co_ci_u32_e64 v6, null, s17, v4, vcc_lo
	v_add_co_u32 v3, vcc_lo, s18, v3
	v_add_co_ci_u32_e64 v4, null, s19, v4, vcc_lo
	global_load_dword v59, v[5:6], off
	global_load_dword v60, v[3:4], off
.LBB109_7:                              ;   in Loop: Header=BB109_3 Depth=1
	s_or_b32 exec_lo, exec_lo, s31
.LBB109_8:                              ;   in Loop: Header=BB109_3 Depth=1
	s_or_b32 exec_lo, exec_lo, s30
	v_mov_b32_e32 v9, v2
	v_mov_b32_e32 v3, v2
	v_mov_b32_e32 v4, v2
	v_mov_b32_e32 v5, v2
	v_mov_b32_e32 v6, v2
	v_mov_b32_e32 v7, v2
	v_mov_b32_e32 v8, v2
	v_cmp_gt_i64_e32 vcc_lo, s[8:9], v[21:22]
	v_mov_b32_e32 v18, v9
	v_mov_b32_e32 v15, v6
	;; [unrolled: 1-line block ×16, first 2 shown]
	s_and_b32 s31, s1, vcc_lo
	s_and_saveexec_b32 s30, s31
	s_cbranch_execz .LBB109_10
; %bb.9:                                ;   in Loop: Header=BB109_3 Depth=1
	v_add_co_u32 v3, vcc_lo, v25, v19
	v_add_co_ci_u32_e64 v4, null, v26, v20, vcc_lo
	v_add_co_u32 v5, vcc_lo, v27, v19
	v_add_co_ci_u32_e64 v6, null, v28, v20, vcc_lo
	global_load_ushort v3, v[3:4], off
	global_load_ushort v11, v[5:6], off
	v_mov_b32_e32 v4, v2
	v_mov_b32_e32 v5, v2
	;; [unrolled: 1-line block ×14, first 2 shown]
	s_waitcnt vmcnt(1)
	v_lshlrev_b32_e32 v3, 16, v3
	s_waitcnt vmcnt(0)
	v_lshlrev_b32_e32 v11, 16, v11
.LBB109_10:                             ;   in Loop: Header=BB109_3 Depth=1
	s_or_b32 exec_lo, exec_lo, s30
	v_add_co_u32 v61, vcc_lo, v21, 1
	v_add_co_ci_u32_e64 v62, null, 0, v22, vcc_lo
	v_cmp_gt_i64_e32 vcc_lo, s[8:9], v[61:62]
	s_and_b32 s31, s1, vcc_lo
	s_and_saveexec_b32 s30, s31
	s_cbranch_execz .LBB109_12
; %bb.11:                               ;   in Loop: Header=BB109_3 Depth=1
	v_add_co_u32 v61, vcc_lo, v53, v19
	v_add_co_ci_u32_e64 v62, null, v54, v20, vcc_lo
	v_add_co_u32 v63, vcc_lo, v55, v19
	v_add_co_ci_u32_e64 v64, null, v57, v20, vcc_lo
	global_load_ushort v4, v[61:62], off
	global_load_ushort v12, v[63:64], off
	s_waitcnt vmcnt(1)
	v_lshlrev_b32_e32 v4, 16, v4
	s_waitcnt vmcnt(0)
	v_lshlrev_b32_e32 v12, 16, v12
.LBB109_12:                             ;   in Loop: Header=BB109_3 Depth=1
	s_or_b32 exec_lo, exec_lo, s30
	v_add_co_u32 v61, vcc_lo, v21, 2
	v_add_co_ci_u32_e64 v62, null, 0, v22, vcc_lo
	v_cmp_gt_i64_e32 vcc_lo, s[8:9], v[61:62]
	s_and_b32 s31, s1, vcc_lo
	s_and_saveexec_b32 s30, s31
	s_cbranch_execz .LBB109_14
; %bb.13:                               ;   in Loop: Header=BB109_3 Depth=1
	v_add_co_u32 v61, vcc_lo, v49, v19
	v_add_co_ci_u32_e64 v62, null, v50, v20, vcc_lo
	v_add_co_u32 v63, vcc_lo, v51, v19
	v_add_co_ci_u32_e64 v64, null, v52, v20, vcc_lo
	global_load_ushort v5, v[61:62], off
	global_load_ushort v13, v[63:64], off
	s_waitcnt vmcnt(1)
	v_lshlrev_b32_e32 v5, 16, v5
	s_waitcnt vmcnt(0)
	v_lshlrev_b32_e32 v13, 16, v13
.LBB109_14:                             ;   in Loop: Header=BB109_3 Depth=1
	;; [unrolled: 19-line block ×7, first 2 shown]
	s_or_b32 exec_lo, exec_lo, s30
	s_waitcnt vmcnt(1)
	ds_bpermute_b32 v61, v2, v59
	ds_bpermute_b32 v62, v2, v59 offset:4
	ds_bpermute_b32 v63, v2, v59 offset:8
	s_waitcnt vmcnt(0)
	ds_bpermute_b32 v64, v2, v60
	ds_bpermute_b32 v65, v2, v59 offset:12
	ds_bpermute_b32 v66, v2, v60 offset:4
	;; [unrolled: 1-line block ×7, first 2 shown]
	s_mov_b32 s30, 0
	s_waitcnt lgkmcnt(10)
	v_sub_f32_e32 v11, v11, v61
	v_add_f32_e32 v61, v56, v3
	s_waitcnt lgkmcnt(9)
	v_sub_f32_e32 v12, v12, v62
	ds_bpermute_b32 v62, v2, v60 offset:16
	s_waitcnt lgkmcnt(9)
	v_sub_f32_e32 v13, v13, v63
	v_mul_f32_e32 v3, v3, v11
	ds_bpermute_b32 v63, v2, v60 offset:20
	v_mul_f32_e32 v12, v4, v12
	v_add_f32_e32 v4, v4, v61
	v_mul_f32_e32 v13, v5, v13
	s_waitcnt lgkmcnt(9)
	v_fma_f32 v11, v3, v64, v58
	s_waitcnt lgkmcnt(8)
	v_sub_f32_e32 v3, v14, v65
	ds_bpermute_b32 v64, v2, v60 offset:24
	v_add_f32_e32 v4, v5, v4
	ds_bpermute_b32 v60, v2, v60 offset:28
	s_waitcnt lgkmcnt(9)
	v_fmac_f32_e32 v11, v12, v66
	s_waitcnt lgkmcnt(8)
	v_sub_f32_e32 v12, v15, v67
	v_mul_f32_e32 v14, v6, v3
	ds_bpermute_b32 v3, v2, v59 offset:28
	s_waitcnt lgkmcnt(6)
	v_sub_f32_e32 v5, v16, v70
	v_fmac_f32_e32 v11, v13, v68
	v_mul_f32_e32 v12, v7, v12
	v_add_f32_e32 v4, v6, v4
	s_waitcnt lgkmcnt(5)
	v_sub_f32_e32 v6, v17, v71
	v_mul_f32_e32 v5, v8, v5
	v_fmac_f32_e32 v11, v14, v69
	v_add_f32_e32 v4, v7, v4
	v_mul_f32_e32 v6, v9, v6
	s_waitcnt lgkmcnt(4)
	v_fmac_f32_e32 v11, v12, v62
	v_add_f32_e32 v4, v8, v4
	s_waitcnt lgkmcnt(3)
	v_fmac_f32_e32 v11, v5, v63
	v_add_f32_e32 v4, v9, v4
	s_waitcnt lgkmcnt(2)
	v_fmac_f32_e32 v11, v6, v64
.LBB109_25:                             ;   in Loop: Header=BB109_3 Depth=1
	s_and_b32 vcc_lo, exec_lo, s30
	s_cbranch_vccz .LBB109_40
; %bb.26:                               ;   in Loop: Header=BB109_3 Depth=1
	s_load_dword s30, s[22:23], 0x0
	s_waitcnt lgkmcnt(0)
	v_mov_b32_e32 v60, 0
	v_mov_b32_e32 v59, 0
	s_cmp_lt_u32 s6, s30
	s_cselect_b32 s30, 12, 18
	s_add_u32 s30, s22, s30
	s_addc_u32 s31, s23, 0
	global_load_ushort v3, v2, s[30:31]
	s_mov_b32 s30, exec_lo
	s_waitcnt vmcnt(0)
	v_mad_u32_u24 v3, v1, v3, v0
	v_and_b32_e32 v3, 31, v3
	v_cmpx_gt_u32_e32 8, v3
	s_cbranch_execz .LBB109_30
; %bb.27:                               ;   in Loop: Header=BB109_3 Depth=1
	v_add_co_u32 v3, vcc_lo, v21, v3
	v_add_co_ci_u32_e64 v4, null, 0, v22, vcc_lo
	v_mov_b32_e32 v59, 0
	v_mov_b32_e32 v60, 0
	s_mov_b32 s31, exec_lo
	v_cmpx_gt_i64_e64 s[8:9], v[3:4]
	s_cbranch_execz .LBB109_29
; %bb.28:                               ;   in Loop: Header=BB109_3 Depth=1
	v_lshlrev_b64 v[3:4], 2, v[3:4]
	v_add_co_u32 v5, vcc_lo, s16, v3
	v_add_co_ci_u32_e64 v6, null, s17, v4, vcc_lo
	v_add_co_u32 v3, vcc_lo, s18, v3
	v_add_co_ci_u32_e64 v4, null, s19, v4, vcc_lo
	global_load_dword v59, v[5:6], off
	global_load_dword v60, v[3:4], off
.LBB109_29:                             ;   in Loop: Header=BB109_3 Depth=1
	s_or_b32 exec_lo, exec_lo, s31
.LBB109_30:                             ;   in Loop: Header=BB109_3 Depth=1
	s_or_b32 exec_lo, exec_lo, s30
	v_mov_b32_e32 v9, v2
	v_mov_b32_e32 v3, v2
	;; [unrolled: 1-line block ×23, first 2 shown]
	s_and_saveexec_b32 s30, s1
	s_cbranch_execnz .LBB109_42
; %bb.31:                               ;   in Loop: Header=BB109_3 Depth=1
	s_or_b32 exec_lo, exec_lo, s30
	s_and_saveexec_b32 s30, s1
	s_cbranch_execnz .LBB109_43
.LBB109_32:                             ;   in Loop: Header=BB109_3 Depth=1
	s_or_b32 exec_lo, exec_lo, s30
	s_and_saveexec_b32 s30, s1
	s_cbranch_execnz .LBB109_44
.LBB109_33:                             ;   in Loop: Header=BB109_3 Depth=1
	s_or_b32 exec_lo, exec_lo, s30
	s_and_saveexec_b32 s30, s1
	s_cbranch_execnz .LBB109_45
.LBB109_34:                             ;   in Loop: Header=BB109_3 Depth=1
	s_or_b32 exec_lo, exec_lo, s30
	s_and_saveexec_b32 s30, s1
	s_cbranch_execnz .LBB109_46
.LBB109_35:                             ;   in Loop: Header=BB109_3 Depth=1
	s_or_b32 exec_lo, exec_lo, s30
	s_and_saveexec_b32 s30, s1
	s_cbranch_execnz .LBB109_47
.LBB109_36:                             ;   in Loop: Header=BB109_3 Depth=1
	s_or_b32 exec_lo, exec_lo, s30
	s_and_saveexec_b32 s30, s1
	s_cbranch_execnz .LBB109_48
.LBB109_37:                             ;   in Loop: Header=BB109_3 Depth=1
	s_or_b32 exec_lo, exec_lo, s30
	s_and_saveexec_b32 s30, s1
	s_cbranch_execz .LBB109_39
.LBB109_38:                             ;   in Loop: Header=BB109_3 Depth=1
	v_add_co_u32 v21, vcc_lo, v29, v19
	v_add_co_ci_u32_e64 v22, null, v30, v20, vcc_lo
	v_add_co_u32 v61, vcc_lo, v31, v19
	v_add_co_ci_u32_e64 v62, null, v32, v20, vcc_lo
	global_load_ushort v10, v[21:22], off
	global_load_ushort v18, v[61:62], off
	s_waitcnt vmcnt(1)
	v_lshlrev_b32_e32 v10, 16, v10
	s_waitcnt vmcnt(0)
	v_lshlrev_b32_e32 v18, 16, v18
.LBB109_39:                             ;   in Loop: Header=BB109_3 Depth=1
	s_or_b32 exec_lo, exec_lo, s30
	s_waitcnt vmcnt(1)
	ds_bpermute_b32 v21, v2, v59
	ds_bpermute_b32 v22, v2, v59 offset:4
	ds_bpermute_b32 v61, v2, v59 offset:8
	s_waitcnt vmcnt(0)
	ds_bpermute_b32 v62, v2, v60
	ds_bpermute_b32 v63, v2, v59 offset:12
	ds_bpermute_b32 v64, v2, v60 offset:4
	;; [unrolled: 1-line block ×5, first 2 shown]
	s_waitcnt lgkmcnt(8)
	v_sub_f32_e32 v11, v11, v21
	ds_bpermute_b32 v21, v2, v60 offset:12
	s_waitcnt lgkmcnt(8)
	v_sub_f32_e32 v12, v12, v22
	ds_bpermute_b32 v22, v2, v60 offset:16
	s_waitcnt lgkmcnt(8)
	v_sub_f32_e32 v13, v13, v61
	v_mul_f32_e32 v11, v3, v11
	v_add_f32_e32 v3, v56, v3
	v_mul_f32_e32 v12, v4, v12
	ds_bpermute_b32 v56, v2, v60 offset:20
	s_waitcnt lgkmcnt(7)
	v_sub_f32_e32 v14, v14, v63
	v_fmac_f32_e32 v58, v11, v62
	ds_bpermute_b32 v11, v2, v59 offset:24
	v_mul_f32_e32 v13, v5, v13
	v_add_f32_e32 v3, v4, v3
	s_waitcnt lgkmcnt(6)
	v_sub_f32_e32 v4, v15, v65
	v_fmac_f32_e32 v58, v12, v64
	v_mul_f32_e32 v12, v6, v14
	s_waitcnt lgkmcnt(4)
	v_sub_f32_e32 v14, v16, v67
	v_add_f32_e32 v5, v5, v3
	v_mul_f32_e32 v4, v7, v4
	v_fmac_f32_e32 v58, v13, v66
	ds_bpermute_b32 v13, v2, v60 offset:24
	ds_bpermute_b32 v60, v2, v60 offset:28
	;; [unrolled: 1-line block ×3, first 2 shown]
	v_add_f32_e32 v5, v6, v5
	s_waitcnt lgkmcnt(6)
	v_fmac_f32_e32 v58, v12, v21
	v_mul_f32_e32 v6, v8, v14
	v_add_f32_e32 v5, v7, v5
	s_waitcnt lgkmcnt(5)
	v_fmac_f32_e32 v58, v4, v22
	s_waitcnt lgkmcnt(3)
	v_sub_f32_e32 v4, v17, v11
	v_add_f32_e32 v5, v8, v5
	v_fmac_f32_e32 v58, v6, v56
	v_mul_f32_e32 v4, v9, v4
	s_waitcnt lgkmcnt(2)
	v_fmac_f32_e32 v58, v4, v13
	v_add_f32_e32 v4, v9, v5
	v_mov_b32_e32 v11, v58
.LBB109_40:                             ;   in Loop: Header=BB109_3 Depth=1
	v_add_co_u32 v25, vcc_lo, v25, s2
	v_add_co_ci_u32_e64 v26, null, s3, v26, vcc_lo
	v_add_co_u32 v27, vcc_lo, v27, s2
	v_add_co_ci_u32_e64 v28, null, s3, v28, vcc_lo
	;; [unrolled: 2-line block ×11, first 2 shown]
	v_add_co_u32 v47, vcc_lo, v47, s2
	s_waitcnt lgkmcnt(0)
	v_sub_f32_e32 v3, v18, v3
	v_add_co_ci_u32_e64 v48, null, s3, v48, vcc_lo
	v_add_co_u32 v49, vcc_lo, v49, s2
	v_add_co_ci_u32_e64 v50, null, s3, v50, vcc_lo
	v_add_co_u32 v51, vcc_lo, v51, s2
	s_add_u32 s26, s26, s29
	v_add_co_ci_u32_e64 v52, null, s3, v52, vcc_lo
	v_add_co_u32 v53, vcc_lo, v53, s2
	v_mul_f32_e32 v3, v10, v3
	s_addc_u32 s27, s27, 0
	v_add_co_ci_u32_e64 v54, null, s3, v54, vcc_lo
	v_add_co_u32 v55, vcc_lo, v55, s2
	v_cmp_lt_i64_e64 s30, s[26:27], s[8:9]
	v_add_co_ci_u32_e64 v57, null, s3, v57, vcc_lo
	v_add_co_u32 v23, vcc_lo, v23, s29
	v_add_f32_e32 v56, v4, v10
	v_fmac_f32_e32 v11, v3, v60
	v_add_co_ci_u32_e64 v24, null, 0, v24, vcc_lo
	s_add_u32 s24, s24, s29
	s_addc_u32 s25, 0, s25
	s_and_b32 vcc_lo, exec_lo, s30
	s_cbranch_vccz .LBB109_50
; %bb.41:                               ;   in Loop: Header=BB109_3 Depth=1
	v_mov_b32_e32 v58, v11
	s_branch .LBB109_3
.LBB109_42:                             ;   in Loop: Header=BB109_3 Depth=1
	v_add_co_u32 v3, vcc_lo, v25, v19
	v_add_co_ci_u32_e64 v4, null, v26, v20, vcc_lo
	v_add_co_u32 v5, vcc_lo, v27, v19
	v_add_co_ci_u32_e64 v6, null, v28, v20, vcc_lo
	global_load_ushort v3, v[3:4], off
	global_load_ushort v11, v[5:6], off
	v_mov_b32_e32 v4, v2
	v_mov_b32_e32 v5, v2
	;; [unrolled: 1-line block ×14, first 2 shown]
	s_waitcnt vmcnt(1)
	v_lshlrev_b32_e32 v3, 16, v3
	s_waitcnt vmcnt(0)
	v_lshlrev_b32_e32 v11, 16, v11
	s_or_b32 exec_lo, exec_lo, s30
	s_and_saveexec_b32 s30, s1
	s_cbranch_execz .LBB109_32
.LBB109_43:                             ;   in Loop: Header=BB109_3 Depth=1
	v_add_co_u32 v21, vcc_lo, v53, v19
	v_add_co_ci_u32_e64 v22, null, v54, v20, vcc_lo
	v_add_co_u32 v61, vcc_lo, v55, v19
	v_add_co_ci_u32_e64 v62, null, v57, v20, vcc_lo
	global_load_ushort v4, v[21:22], off
	global_load_ushort v12, v[61:62], off
	s_waitcnt vmcnt(1)
	v_lshlrev_b32_e32 v4, 16, v4
	s_waitcnt vmcnt(0)
	v_lshlrev_b32_e32 v12, 16, v12
	s_or_b32 exec_lo, exec_lo, s30
	s_and_saveexec_b32 s30, s1
	s_cbranch_execz .LBB109_33
.LBB109_44:                             ;   in Loop: Header=BB109_3 Depth=1
	v_add_co_u32 v21, vcc_lo, v49, v19
	v_add_co_ci_u32_e64 v22, null, v50, v20, vcc_lo
	v_add_co_u32 v61, vcc_lo, v51, v19
	v_add_co_ci_u32_e64 v62, null, v52, v20, vcc_lo
	global_load_ushort v5, v[21:22], off
	global_load_ushort v13, v[61:62], off
	s_waitcnt vmcnt(1)
	v_lshlrev_b32_e32 v5, 16, v5
	s_waitcnt vmcnt(0)
	v_lshlrev_b32_e32 v13, 16, v13
	s_or_b32 exec_lo, exec_lo, s30
	s_and_saveexec_b32 s30, s1
	s_cbranch_execz .LBB109_34
.LBB109_45:                             ;   in Loop: Header=BB109_3 Depth=1
	v_add_co_u32 v21, vcc_lo, v45, v19
	v_add_co_ci_u32_e64 v22, null, v46, v20, vcc_lo
	v_add_co_u32 v61, vcc_lo, v47, v19
	v_add_co_ci_u32_e64 v62, null, v48, v20, vcc_lo
	global_load_ushort v6, v[21:22], off
	global_load_ushort v14, v[61:62], off
	s_waitcnt vmcnt(1)
	v_lshlrev_b32_e32 v6, 16, v6
	s_waitcnt vmcnt(0)
	v_lshlrev_b32_e32 v14, 16, v14
	s_or_b32 exec_lo, exec_lo, s30
	s_and_saveexec_b32 s30, s1
	s_cbranch_execz .LBB109_35
.LBB109_46:                             ;   in Loop: Header=BB109_3 Depth=1
	v_add_co_u32 v21, vcc_lo, v41, v19
	v_add_co_ci_u32_e64 v22, null, v42, v20, vcc_lo
	v_add_co_u32 v61, vcc_lo, v43, v19
	v_add_co_ci_u32_e64 v62, null, v44, v20, vcc_lo
	global_load_ushort v7, v[21:22], off
	global_load_ushort v15, v[61:62], off
	s_waitcnt vmcnt(1)
	v_lshlrev_b32_e32 v7, 16, v7
	s_waitcnt vmcnt(0)
	v_lshlrev_b32_e32 v15, 16, v15
	s_or_b32 exec_lo, exec_lo, s30
	s_and_saveexec_b32 s30, s1
	s_cbranch_execz .LBB109_36
.LBB109_47:                             ;   in Loop: Header=BB109_3 Depth=1
	v_add_co_u32 v21, vcc_lo, v37, v19
	v_add_co_ci_u32_e64 v22, null, v38, v20, vcc_lo
	v_add_co_u32 v61, vcc_lo, v39, v19
	v_add_co_ci_u32_e64 v62, null, v40, v20, vcc_lo
	global_load_ushort v8, v[21:22], off
	global_load_ushort v16, v[61:62], off
	s_waitcnt vmcnt(1)
	v_lshlrev_b32_e32 v8, 16, v8
	s_waitcnt vmcnt(0)
	v_lshlrev_b32_e32 v16, 16, v16
	s_or_b32 exec_lo, exec_lo, s30
	s_and_saveexec_b32 s30, s1
	s_cbranch_execz .LBB109_37
.LBB109_48:                             ;   in Loop: Header=BB109_3 Depth=1
	v_add_co_u32 v21, vcc_lo, v33, v19
	v_add_co_ci_u32_e64 v22, null, v34, v20, vcc_lo
	v_add_co_u32 v61, vcc_lo, v35, v19
	v_add_co_ci_u32_e64 v62, null, v36, v20, vcc_lo
	global_load_ushort v9, v[21:22], off
	global_load_ushort v17, v[61:62], off
	s_waitcnt vmcnt(1)
	v_lshlrev_b32_e32 v9, 16, v9
	s_waitcnt vmcnt(0)
	v_lshlrev_b32_e32 v17, 16, v17
	s_or_b32 exec_lo, exec_lo, s30
	s_and_saveexec_b32 s30, s1
	s_cbranch_execnz .LBB109_38
	s_branch .LBB109_39
.LBB109_49:
                                        ; implicit-def: $vgpr11
                                        ; implicit-def: $vgpr56
	s_branch .LBB109_51
.LBB109_50:
	s_cbranch_execnz .LBB109_83
.LBB109_51:
	v_mov_b32_e32 v11, 0
	v_mov_b32_e32 v56, 0
	s_andn2_b32 vcc_lo, exec_lo, s28
	s_cbranch_vccnz .LBB109_83
; %bb.52:
	v_lshlrev_b32_e32 v51, 3, v1
	v_lshlrev_b32_e32 v4, 4, v1
	s_add_u32 s2, s4, 64
	s_addc_u32 s3, s5, 0
	s_lshl_b64 s[22:23], s[20:21], 1
	v_add_co_u32 v10, s1, v51, s20
	v_add_co_ci_u32_e64 v11, null, 0, 0, s1
	v_add_co_u32 v7, s1, v4, s22
	v_mul_lo_u32 v5, s11, v10
	v_mul_lo_u32 v6, s10, v11
	v_mad_u64_u32 v[2:3], null, s10, v10, 0
	v_add_co_ci_u32_e64 v8, null, 0, s23, s1
	v_mov_b32_e32 v87, 0
	v_mov_b32_e32 v86, 0
	s_mov_b64 s[22:23], s[20:21]
	v_add3_u32 v3, v3, v6, v5
	v_add_co_u32 v6, vcc_lo, v7, 2
	v_add_co_ci_u32_e64 v9, null, 0, v8, vcc_lo
	v_lshlrev_b64 v[4:5], 1, v[2:3]
	v_mad_u64_u32 v[19:20], null, s10, v6, s[12:13]
	v_mul_lo_u32 v9, s10, v9
	v_mul_lo_u32 v12, s11, v6
	v_mad_u64_u32 v[33:34], null, s10, v6, s[14:15]
	v_add_co_u32 v52, vcc_lo, s12, v4
	v_add_co_ci_u32_e64 v53, null, s13, v5, vcc_lo
	v_add_co_u32 v54, vcc_lo, s14, v4
	v_add_co_ci_u32_e64 v55, null, s15, v5, vcc_lo
	;; [unrolled: 2-line block ×4, first 2 shown]
	v_add_co_u32 v16, vcc_lo, v7, 8
	v_mad_u64_u32 v[21:22], null, s10, v4, s[12:13]
	v_mul_lo_u32 v5, s10, v5
	v_mul_lo_u32 v15, s11, v4
	v_add_co_ci_u32_e64 v18, null, 0, v8, vcc_lo
	v_add_co_u32 v41, vcc_lo, v7, 10
	v_mad_u64_u32 v[35:36], null, s10, v4, s[14:15]
	v_add_co_ci_u32_e64 v29, null, 0, v8, vcc_lo
	v_add_co_u32 v44, vcc_lo, v7, 12
	v_add_co_ci_u32_e64 v31, null, 0, v8, vcc_lo
	v_add_co_u32 v7, vcc_lo, v7, 14
	;; [unrolled: 2-line block ×3, first 2 shown]
	v_add3_u32 v22, v15, v22, v5
	v_add3_u32 v36, v15, v36, v5
	v_add_co_ci_u32_e64 v5, null, 0, v11, vcc_lo
	v_add3_u32 v20, v12, v20, v9
	v_add3_u32 v34, v12, v34, v9
	v_mul_lo_u32 v6, s11, v4
	v_mul_lo_u32 v9, s10, v5
	v_mad_u64_u32 v[4:5], null, s10, v4, 0
	v_mul_lo_u32 v49, s10, v31
	v_mad_u64_u32 v[31:32], null, s10, v7, s[12:13]
	v_mul_lo_u32 v8, s10, v8
	v_mul_lo_u32 v56, s11, v7
	v_mad_u64_u32 v[45:46], null, s10, v7, s[14:15]
	v_add3_u32 v5, v5, v9, v6
	v_add_co_u32 v6, vcc_lo, v10, 6
	v_add_co_ci_u32_e64 v7, null, 0, v11, vcc_lo
	v_mad_u64_u32 v[23:24], null, s10, v13, s[12:13]
	v_mul_lo_u32 v14, s10, v14
	v_mul_lo_u32 v17, s11, v13
	v_add3_u32 v32, v56, v32, v8
	v_mad_u64_u32 v[37:38], null, s10, v13, s[14:15]
	v_add3_u32 v46, v56, v46, v8
	v_mul_lo_u32 v8, s11, v6
	v_mul_lo_u32 v9, s10, v7
	v_mad_u64_u32 v[6:7], null, s10, v6, 0
	v_lshlrev_b64 v[4:5], 1, v[4:5]
	v_add_co_u32 v12, vcc_lo, v10, 5
	v_add_co_ci_u32_e64 v13, null, 0, v11, vcc_lo
	v_add3_u32 v24, v17, v24, v14
	v_add_co_u32 v57, vcc_lo, s12, v4
	v_add3_u32 v38, v17, v38, v14
	v_add3_u32 v7, v7, v9, v8
	v_mul_lo_u32 v14, s11, v12
	v_mul_lo_u32 v13, s10, v13
	v_mad_u64_u32 v[8:9], null, s10, v12, 0
	v_add_co_ci_u32_e64 v58, null, s13, v5, vcc_lo
	v_add_co_u32 v12, vcc_lo, v10, 4
	v_add_co_ci_u32_e64 v15, null, 0, v11, vcc_lo
	v_add_co_u32 v59, vcc_lo, s14, v4
	v_add_co_ci_u32_e64 v60, null, s15, v5, vcc_lo
	v_lshlrev_b64 v[4:5], 1, v[6:7]
	v_add3_u32 v9, v9, v13, v14
	v_mul_lo_u32 v13, s11, v12
	v_mul_lo_u32 v14, s10, v15
	v_mad_u64_u32 v[6:7], null, s10, v12, 0
	v_lshlrev_b64 v[8:9], 1, v[8:9]
	v_add_co_u32 v61, vcc_lo, s12, v4
	v_add_co_ci_u32_e64 v62, null, s13, v5, vcc_lo
	v_add_co_u32 v63, vcc_lo, s14, v4
	v_add3_u32 v7, v7, v14, v13
	v_add_co_ci_u32_e64 v64, null, s15, v5, vcc_lo
	v_add_co_u32 v65, vcc_lo, s12, v8
	v_add_co_ci_u32_e64 v66, null, s13, v9, vcc_lo
	v_lshlrev_b64 v[4:5], 1, v[6:7]
	v_add_co_u32 v6, vcc_lo, v10, 3
	v_add_co_ci_u32_e64 v7, null, 0, v11, vcc_lo
	v_add_co_u32 v67, s1, s14, v8
	v_add_co_u32 v8, vcc_lo, v10, 2
	v_add_co_ci_u32_e64 v68, null, s15, v9, s1
	v_mul_lo_u32 v12, s11, v6
	v_add_co_ci_u32_e64 v9, null, 0, v11, vcc_lo
	v_mul_lo_u32 v10, s10, v7
	v_mad_u64_u32 v[6:7], null, s10, v6, 0
	v_mul_lo_u32 v11, s11, v8
	v_mul_lo_u32 v13, s10, v9
	v_mad_u64_u32 v[8:9], null, s10, v8, 0
	v_add_co_u32 v69, vcc_lo, s12, v4
	v_add3_u32 v7, v7, v10, v12
	s_load_dword s1, s[4:5], 0x44
	v_add_co_ci_u32_e64 v70, null, s13, v5, vcc_lo
	v_add_co_u32 v71, vcc_lo, s14, v4
	v_add_co_ci_u32_e64 v72, null, s15, v5, vcc_lo
	v_lshlrev_b64 v[4:5], 1, v[6:7]
	v_add3_u32 v9, v9, v13, v11
	v_add_co_u32 v2, vcc_lo, v2, s10
	v_mad_u64_u32 v[25:26], null, s10, v16, s[12:13]
	v_mul_lo_u32 v18, s10, v18
	v_mul_lo_u32 v43, s11, v16
	v_mad_u64_u32 v[39:40], null, s10, v16, s[14:15]
	v_add_co_ci_u32_e64 v3, null, s11, v3, vcc_lo
	v_lshlrev_b64 v[6:7], 1, v[8:9]
	v_add_co_u32 v73, vcc_lo, s12, v4
	v_add_co_ci_u32_e64 v74, null, s13, v5, vcc_lo
	v_add_co_u32 v75, vcc_lo, s14, v4
	v_lshlrev_b64 v[3:4], 1, v[2:3]
	v_mov_b32_e32 v2, 0
	v_mad_u64_u32 v[27:28], null, s10, v41, s[12:13]
	v_mul_lo_u32 v47, s10, v29
	v_mul_lo_u32 v48, s11, v41
	v_mad_u64_u32 v[41:42], null, s10, v41, s[14:15]
	v_mad_u64_u32 v[29:30], null, s10, v44, s[12:13]
	v_mul_lo_u32 v50, s11, v44
	v_add3_u32 v26, v43, v26, v18
	v_add3_u32 v40, v43, v40, v18
	v_mad_u64_u32 v[43:44], null, s10, v44, s[14:15]
	v_add_co_ci_u32_e64 v76, null, s15, v5, vcc_lo
	v_add_co_u32 v77, vcc_lo, s12, v6
	v_add_co_ci_u32_e64 v78, null, s13, v7, vcc_lo
	v_add_co_u32 v79, vcc_lo, s14, v6
	v_add_nc_u32_e32 v5, s7, v0
	v_mov_b32_e32 v6, v2
	v_add_co_ci_u32_e64 v80, null, s15, v7, vcc_lo
	v_add_co_u32 v81, vcc_lo, s12, v3
	s_waitcnt lgkmcnt(0)
	s_lshl_b32 s24, s1, 3
	v_add_co_ci_u32_e64 v82, null, s13, v4, vcc_lo
	v_add_co_u32 v83, vcc_lo, s14, v3
	v_add3_u32 v28, v48, v28, v47
	v_add3_u32 v42, v48, v42, v47
	s_mul_i32 s1, s11, s24
	s_mul_hi_u32 s7, s10, s24
	v_lshlrev_b64 v[47:48], 1, v[5:6]
	v_add3_u32 v30, v50, v30, v49
	v_add3_u32 v44, v50, v44, v49
	v_add_co_ci_u32_e64 v84, null, s15, v4, vcc_lo
	v_mov_b32_e32 v85, v2
	s_add_i32 s13, s7, s1
	s_mul_i32 s12, s10, s24
	s_mov_b64 s[14:15], 7
	s_lshl_b64 s[12:13], s[12:13], 1
.LBB109_53:                             ; =>This Inner Loop Header: Depth=1
	s_add_u32 s26, s20, s14
	s_addc_u32 s27, 0, s15
	v_add_co_u32 v49, vcc_lo, s20, v51
	v_cmp_ge_i64_e64 s1, s[26:27], s[8:9]
	v_add_co_ci_u32_e64 v50, null, 0, v85, vcc_lo
                                        ; implicit-def: $vgpr56
                                        ; implicit-def: $vgpr11
	s_and_b32 vcc_lo, exec_lo, s1
	s_mov_b32 s1, -1
	s_cbranch_vccz .LBB109_75
; %bb.54:                               ;   in Loop: Header=BB109_53 Depth=1
	s_load_dword s1, s[2:3], 0xc
	v_mov_b32_e32 v88, 0
	v_mov_b32_e32 v56, 0
	s_waitcnt lgkmcnt(0)
	s_and_b32 s1, s1, 0xffff
	v_mad_u32_u24 v3, v1, s1, v0
	s_mov_b32 s1, exec_lo
	v_and_b32_e32 v3, 31, v3
	v_cmpx_gt_u32_e32 8, v3
	s_cbranch_execz .LBB109_58
; %bb.55:                               ;   in Loop: Header=BB109_53 Depth=1
	v_add_co_u32 v3, vcc_lo, v49, v3
	v_add_co_ci_u32_e64 v4, null, 0, v50, vcc_lo
	v_mov_b32_e32 v56, 0
	v_mov_b32_e32 v88, 0
	s_mov_b32 s7, exec_lo
	v_cmpx_gt_i64_e64 s[8:9], v[3:4]
	s_cbranch_execz .LBB109_57
; %bb.56:                               ;   in Loop: Header=BB109_53 Depth=1
	v_lshlrev_b64 v[3:4], 2, v[3:4]
	v_add_co_u32 v5, vcc_lo, s16, v3
	v_add_co_ci_u32_e64 v6, null, s17, v4, vcc_lo
	v_add_co_u32 v3, vcc_lo, s18, v3
	v_add_co_ci_u32_e64 v4, null, s19, v4, vcc_lo
	global_load_dword v56, v[5:6], off
	global_load_dword v88, v[3:4], off
.LBB109_57:                             ;   in Loop: Header=BB109_53 Depth=1
	s_or_b32 exec_lo, exec_lo, s7
.LBB109_58:                             ;   in Loop: Header=BB109_53 Depth=1
	s_or_b32 exec_lo, exec_lo, s1
	v_mov_b32_e32 v9, v2
	v_mov_b32_e32 v3, v2
	;; [unrolled: 1-line block ×23, first 2 shown]
	s_mov_b32 s1, exec_lo
	v_cmpx_gt_i64_e64 s[8:9], v[49:50]
	s_cbranch_execz .LBB109_60
; %bb.59:                               ;   in Loop: Header=BB109_53 Depth=1
	v_add_co_u32 v3, vcc_lo, v52, v47
	v_add_co_ci_u32_e64 v4, null, v53, v48, vcc_lo
	v_add_co_u32 v5, vcc_lo, v54, v47
	v_add_co_ci_u32_e64 v6, null, v55, v48, vcc_lo
	global_load_ushort v3, v[3:4], off
	global_load_ushort v11, v[5:6], off
	v_mov_b32_e32 v4, v2
	v_mov_b32_e32 v5, v2
	;; [unrolled: 1-line block ×14, first 2 shown]
	s_waitcnt vmcnt(1)
	v_lshlrev_b32_e32 v3, 16, v3
	s_waitcnt vmcnt(0)
	v_lshlrev_b32_e32 v11, 16, v11
.LBB109_60:                             ;   in Loop: Header=BB109_53 Depth=1
	s_or_b32 exec_lo, exec_lo, s1
	v_add_co_u32 v89, vcc_lo, v49, 1
	v_add_co_ci_u32_e64 v90, null, 0, v50, vcc_lo
	s_mov_b32 s1, exec_lo
	v_cmpx_gt_i64_e64 s[8:9], v[89:90]
	s_cbranch_execz .LBB109_62
; %bb.61:                               ;   in Loop: Header=BB109_53 Depth=1
	v_add_co_u32 v89, vcc_lo, v81, v47
	v_add_co_ci_u32_e64 v90, null, v82, v48, vcc_lo
	v_add_co_u32 v91, vcc_lo, v83, v47
	v_add_co_ci_u32_e64 v92, null, v84, v48, vcc_lo
	global_load_ushort v4, v[89:90], off
	global_load_ushort v12, v[91:92], off
	s_waitcnt vmcnt(1)
	v_lshlrev_b32_e32 v4, 16, v4
	s_waitcnt vmcnt(0)
	v_lshlrev_b32_e32 v12, 16, v12
.LBB109_62:                             ;   in Loop: Header=BB109_53 Depth=1
	s_or_b32 exec_lo, exec_lo, s1
	v_add_co_u32 v89, vcc_lo, v49, 2
	v_add_co_ci_u32_e64 v90, null, 0, v50, vcc_lo
	s_mov_b32 s1, exec_lo
	v_cmpx_gt_i64_e64 s[8:9], v[89:90]
	s_cbranch_execz .LBB109_64
; %bb.63:                               ;   in Loop: Header=BB109_53 Depth=1
	v_add_co_u32 v89, vcc_lo, v77, v47
	v_add_co_ci_u32_e64 v90, null, v78, v48, vcc_lo
	v_add_co_u32 v91, vcc_lo, v79, v47
	v_add_co_ci_u32_e64 v92, null, v80, v48, vcc_lo
	global_load_ushort v5, v[89:90], off
	global_load_ushort v13, v[91:92], off
	s_waitcnt vmcnt(1)
	v_lshlrev_b32_e32 v5, 16, v5
	s_waitcnt vmcnt(0)
	v_lshlrev_b32_e32 v13, 16, v13
.LBB109_64:                             ;   in Loop: Header=BB109_53 Depth=1
	;; [unrolled: 18-line block ×7, first 2 shown]
	s_or_b32 exec_lo, exec_lo, s1
	s_waitcnt vmcnt(1)
	ds_bpermute_b32 v90, v2, v56
	s_waitcnt vmcnt(0)
	ds_bpermute_b32 v89, v2, v88
	s_mov_b32 s1, 0
	s_waitcnt lgkmcnt(1)
	v_sub_f32_e32 v11, v11, v90
	ds_bpermute_b32 v90, v2, v56 offset:4
	v_mul_f32_e32 v11, v3, v11
	v_add_f32_e32 v3, v87, v3
	s_waitcnt lgkmcnt(1)
	v_fma_f32 v11, v11, v89, v86
	ds_bpermute_b32 v89, v2, v88 offset:4
	v_add_f32_e32 v3, v4, v3
	v_add_f32_e32 v3, v5, v3
	s_waitcnt lgkmcnt(1)
	v_sub_f32_e32 v12, v12, v90
	v_add_f32_e32 v3, v6, v3
	v_mul_f32_e32 v12, v4, v12
	ds_bpermute_b32 v4, v2, v88 offset:8
	v_add_f32_e32 v3, v7, v3
	s_waitcnt lgkmcnt(1)
	v_fmac_f32_e32 v11, v12, v89
	ds_bpermute_b32 v12, v2, v56 offset:8
	v_add_f32_e32 v3, v8, v3
	v_add_f32_e32 v3, v9, v3
	s_waitcnt lgkmcnt(0)
	v_sub_f32_e32 v12, v13, v12
	v_mul_f32_e32 v12, v5, v12
	ds_bpermute_b32 v5, v2, v56 offset:12
	v_fmac_f32_e32 v11, v12, v4
	ds_bpermute_b32 v4, v2, v88 offset:12
	s_waitcnt lgkmcnt(1)
	v_sub_f32_e32 v5, v14, v5
	v_mul_f32_e32 v5, v6, v5
	s_waitcnt lgkmcnt(0)
	v_fmac_f32_e32 v11, v5, v4
	ds_bpermute_b32 v5, v2, v56 offset:16
	ds_bpermute_b32 v4, v2, v88 offset:16
	s_waitcnt lgkmcnt(1)
	v_sub_f32_e32 v5, v15, v5
	v_mul_f32_e32 v5, v7, v5
	s_waitcnt lgkmcnt(0)
	v_fmac_f32_e32 v11, v5, v4
	ds_bpermute_b32 v5, v2, v56 offset:20
	;; [unrolled: 7-line block ×4, first 2 shown]
	ds_bpermute_b32 v4, v2, v88 offset:28
	v_add_f32_e32 v56, v10, v3
	s_waitcnt lgkmcnt(1)
	v_sub_f32_e32 v5, v18, v5
	v_mul_f32_e32 v5, v10, v5
	s_waitcnt lgkmcnt(0)
	v_fmac_f32_e32 v11, v5, v4
.LBB109_75:                             ;   in Loop: Header=BB109_53 Depth=1
	s_and_b32 vcc_lo, exec_lo, s1
	s_cbranch_vccz .LBB109_81
; %bb.76:                               ;   in Loop: Header=BB109_53 Depth=1
	s_load_dword s1, s[2:3], 0x0
	v_mov_b32_e32 v6, 0
	v_mov_b32_e32 v5, 0
	s_waitcnt lgkmcnt(0)
	s_cmp_lt_u32 s6, s1
	s_cselect_b32 s1, 12, 18
	s_add_u32 s26, s2, s1
	s_addc_u32 s27, s3, 0
	s_mov_b32 s1, exec_lo
	global_load_ushort v3, v2, s[26:27]
	s_waitcnt vmcnt(0)
	v_mad_u32_u24 v3, v1, v3, v0
	v_and_b32_e32 v3, 31, v3
	v_cmpx_gt_u32_e32 8, v3
	s_cbranch_execz .LBB109_80
; %bb.77:                               ;   in Loop: Header=BB109_53 Depth=1
	v_add_co_u32 v3, vcc_lo, v49, v3
	v_add_co_ci_u32_e64 v4, null, 0, v50, vcc_lo
	v_mov_b32_e32 v5, 0
	v_mov_b32_e32 v6, 0
	s_mov_b32 s7, exec_lo
	v_cmpx_gt_i64_e64 s[8:9], v[3:4]
	s_cbranch_execz .LBB109_79
; %bb.78:                               ;   in Loop: Header=BB109_53 Depth=1
	v_lshlrev_b64 v[3:4], 2, v[3:4]
	v_add_co_u32 v5, vcc_lo, s16, v3
	v_add_co_ci_u32_e64 v6, null, s17, v4, vcc_lo
	v_add_co_u32 v3, vcc_lo, s18, v3
	v_add_co_ci_u32_e64 v4, null, s19, v4, vcc_lo
	global_load_dword v5, v[5:6], off
	global_load_dword v6, v[3:4], off
.LBB109_79:                             ;   in Loop: Header=BB109_53 Depth=1
	s_or_b32 exec_lo, exec_lo, s7
.LBB109_80:                             ;   in Loop: Header=BB109_53 Depth=1
	s_or_b32 exec_lo, exec_lo, s1
	v_add_co_u32 v3, vcc_lo, v52, v47
	v_add_co_ci_u32_e64 v4, null, v53, v48, vcc_lo
	v_add_co_u32 v7, vcc_lo, v54, v47
	v_add_co_ci_u32_e64 v8, null, v55, v48, vcc_lo
	global_load_ushort v15, v[3:4], off
	v_add_co_u32 v3, vcc_lo, v19, v47
	v_add_co_ci_u32_e64 v4, null, v20, v48, vcc_lo
	v_add_co_u32 v9, vcc_lo, v33, v47
	v_add_co_ci_u32_e64 v10, null, v34, v48, vcc_lo
	;; [unrolled: 2-line block ×4, first 2 shown]
	global_load_ushort v16, v[7:8], off
	global_load_ushort v17, v[3:4], off
	;; [unrolled: 1-line block ×5, first 2 shown]
	v_add_co_u32 v3, vcc_lo, v23, v47
	v_add_co_ci_u32_e64 v4, null, v24, v48, vcc_lo
	v_add_co_u32 v7, vcc_lo, v37, v47
	v_add_co_ci_u32_e64 v8, null, v38, v48, vcc_lo
	;; [unrolled: 2-line block ×5, first 2 shown]
	global_load_ushort v56, v[7:8], off
	global_load_ushort v88, v[3:4], off
	;; [unrolled: 1-line block ×5, first 2 shown]
	v_add_co_u32 v3, vcc_lo, v41, v47
	v_add_co_ci_u32_e64 v4, null, v42, v48, vcc_lo
	v_add_co_u32 v7, vcc_lo, v29, v47
	v_add_co_ci_u32_e64 v8, null, v30, v48, vcc_lo
	;; [unrolled: 2-line block ×3, first 2 shown]
	global_load_ushort v13, v[3:4], off
	global_load_ushort v14, v[7:8], off
	;; [unrolled: 1-line block ×3, first 2 shown]
	v_add_co_u32 v7, s1, v45, v47
	v_add_co_u32 v3, vcc_lo, v31, v47
	v_add_co_ci_u32_e64 v8, null, v46, v48, s1
	v_add_co_ci_u32_e64 v4, null, v32, v48, vcc_lo
	global_load_ushort v7, v[7:8], off
	global_load_ushort v3, v[3:4], off
	s_waitcnt vmcnt(17)
	ds_bpermute_b32 v4, v2, v5
	s_waitcnt vmcnt(16)
	ds_bpermute_b32 v8, v2, v6
	ds_bpermute_b32 v90, v2, v5 offset:8
	ds_bpermute_b32 v91, v2, v6 offset:4
	;; [unrolled: 1-line block ×4, first 2 shown]
	s_waitcnt vmcnt(15)
	v_lshlrev_b32_e32 v15, 16, v15
	s_waitcnt vmcnt(14)
	v_lshlrev_b32_e32 v10, 16, v16
	ds_bpermute_b32 v16, v2, v5 offset:4
	s_waitcnt vmcnt(12)
	v_lshlrev_b32_e32 v18, 16, v18
	v_lshlrev_b32_e32 v17, 16, v17
	s_waitcnt vmcnt(10)
	v_lshlrev_b32_e32 v50, 16, v50
	s_waitcnt lgkmcnt(6)
	v_sub_f32_e32 v4, v10, v4
	ds_bpermute_b32 v10, v2, v5 offset:12
	v_lshlrev_b32_e32 v49, 16, v49
	s_waitcnt lgkmcnt(5)
	v_sub_f32_e32 v50, v50, v90
	v_mul_f32_e32 v4, v4, v15
	v_add_f32_e32 v15, v87, v15
	ds_bpermute_b32 v87, v2, v6 offset:20
	ds_bpermute_b32 v90, v2, v6 offset:24
	v_mul_f32_e32 v50, v50, v49
	v_fmac_f32_e32 v86, v4, v8
	ds_bpermute_b32 v8, v2, v5 offset:16
	ds_bpermute_b32 v4, v2, v6 offset:16
	;; [unrolled: 1-line block ×3, first 2 shown]
	s_waitcnt vmcnt(9)
	v_lshlrev_b32_e32 v56, 16, v56
	s_waitcnt lgkmcnt(6)
	v_sub_f32_e32 v16, v18, v16
	ds_bpermute_b32 v18, v2, v5 offset:20
	s_waitcnt vmcnt(8)
	v_lshlrev_b32_e32 v88, 16, v88
	s_waitcnt vmcnt(6)
	v_lshlrev_b32_e32 v11, 16, v11
	s_waitcnt lgkmcnt(6)
	v_sub_f32_e32 v10, v56, v10
	ds_bpermute_b32 v56, v2, v5 offset:24
	v_mul_f32_e32 v16, v16, v17
	ds_bpermute_b32 v5, v2, v5 offset:28
	v_lshlrev_b32_e32 v89, 16, v89
	v_mul_f32_e32 v10, v10, v88
	s_waitcnt vmcnt(5)
	v_lshlrev_b32_e32 v12, 16, v12
	v_fmac_f32_e32 v86, v16, v91
	s_waitcnt lgkmcnt(5)
	v_sub_f32_e32 v8, v11, v8
	s_waitcnt vmcnt(4)
	v_lshlrev_b32_e32 v13, 16, v13
	v_add_f32_e32 v11, v15, v17
	v_fmac_f32_e32 v86, v50, v92
	s_waitcnt vmcnt(2)
	v_lshlrev_b32_e32 v9, 16, v9
	v_mul_f32_e32 v8, v8, v89
	s_waitcnt lgkmcnt(2)
	v_sub_f32_e32 v13, v13, v18
	v_add_f32_e32 v11, v11, v49
	v_fmac_f32_e32 v86, v10, v93
	v_lshlrev_b32_e32 v10, 16, v14
	s_waitcnt lgkmcnt(1)
	v_sub_f32_e32 v9, v9, v56
	v_mul_f32_e32 v13, v13, v12
	v_add_f32_e32 v11, v11, v88
	v_fmac_f32_e32 v86, v8, v4
	s_waitcnt vmcnt(1)
	v_lshlrev_b32_e32 v4, 16, v7
	s_waitcnt vmcnt(0)
	v_lshlrev_b32_e32 v3, 16, v3
	v_mul_f32_e32 v7, v9, v10
	v_add_f32_e32 v8, v11, v89
	v_fmac_f32_e32 v86, v13, v87
	s_waitcnt lgkmcnt(0)
	v_sub_f32_e32 v4, v4, v5
	v_add_f32_e32 v5, v8, v12
	v_fmac_f32_e32 v86, v7, v90
	v_mul_f32_e32 v4, v4, v3
	v_add_f32_e32 v5, v5, v10
	v_fmac_f32_e32 v86, v4, v6
	v_add_f32_e32 v56, v5, v3
	v_mov_b32_e32 v11, v86
.LBB109_81:                             ;   in Loop: Header=BB109_53 Depth=1
	v_add_co_u32 v52, vcc_lo, v52, s12
	v_add_co_ci_u32_e64 v53, null, s13, v53, vcc_lo
	v_add_co_u32 v54, vcc_lo, v54, s12
	v_add_co_ci_u32_e64 v55, null, s13, v55, vcc_lo
	;; [unrolled: 2-line block ×27, first 2 shown]
	v_add_co_u32 v77, vcc_lo, v77, s12
	s_add_u32 s22, s22, s24
	v_add_co_ci_u32_e64 v78, null, s13, v78, vcc_lo
	v_add_co_u32 v79, vcc_lo, v79, s12
	s_addc_u32 s23, s23, 0
	v_add_co_ci_u32_e64 v80, null, s13, v80, vcc_lo
	v_add_co_u32 v81, vcc_lo, v81, s12
	v_cmp_ge_i64_e64 s1, s[22:23], s[8:9]
	v_add_co_ci_u32_e64 v82, null, s13, v82, vcc_lo
	v_add_co_u32 v83, vcc_lo, v83, s12
	v_add_co_ci_u32_e64 v84, null, s13, v84, vcc_lo
	s_add_u32 s14, s14, s24
	s_addc_u32 s15, 0, s15
	s_and_b32 vcc_lo, exec_lo, s1
	s_cbranch_vccnz .LBB109_83
; %bb.82:                               ;   in Loop: Header=BB109_53 Depth=1
	v_mov_b32_e32 v87, v56
	v_mov_b32_e32 v86, v11
	s_branch .LBB109_53
.LBB109_83:
	s_mov_b32 s7, 0
	s_mov_b32 s1, exec_lo
	s_lshl_b64 s[2:3], s[6:7], 5
	v_or_b32_e32 v4, s2, v0
	v_mov_b32_e32 v5, s3
	v_cmpx_gt_i64_e64 s[10:11], v[4:5]
	s_cbranch_execz .LBB109_88
; %bb.84:
	s_clause 0x1
	s_load_dword s1, s[4:5], 0x4c
	s_load_dwordx4 s[4:7], s[4:5], 0x30
	v_mov_b32_e32 v2, 0
	s_waitcnt lgkmcnt(0)
	s_lshr_b32 s1, s1, 16
	s_cmp_eq_u64 s[4:5], 0
	v_mad_u64_u32 v[2:3], null, s1, s0, v[1:2]
	v_lshlrev_b64 v[0:1], 1, v[4:5]
	v_mul_lo_u32 v3, v3, s10
	v_mul_lo_u32 v6, v2, s11
	s_cbranch_scc1 .LBB109_86
; %bb.85:
	v_mad_u64_u32 v[4:5], null, v2, s10, 0
	v_bfe_u32 v7, v11, 16, 1
	v_cmp_o_f32_e32 vcc_lo, v11, v11
	v_mov_b32_e32 v8, 0x7fc0
	v_add3_u32 v7, v11, v7, 0x7fff
	v_add3_u32 v5, v5, v6, v3
	v_cndmask_b32_sdwa v7, v8, v7, vcc_lo dst_sel:DWORD dst_unused:UNUSED_PAD src0_sel:DWORD src1_sel:WORD_1
	v_lshlrev_b64 v[4:5], 1, v[4:5]
	v_add_co_u32 v4, s0, s4, v4
	v_add_co_ci_u32_e64 v5, null, s5, v5, s0
	v_add_co_u32 v4, vcc_lo, v4, v0
	v_add_co_ci_u32_e64 v5, null, v5, v1, vcc_lo
	global_store_short v[4:5], v7, off
.LBB109_86:
	s_cmp_eq_u64 s[6:7], 0
	s_cbranch_scc1 .LBB109_88
; %bb.87:
	v_mad_u64_u32 v[4:5], null, v2, s10, 0
	v_cmp_o_f32_e32 vcc_lo, v56, v56
	v_add3_u32 v5, v5, v6, v3
	v_bfe_u32 v6, v56, 16, 1
	v_lshlrev_b64 v[2:3], 1, v[4:5]
	v_mov_b32_e32 v4, 0x7fc0
	v_add3_u32 v5, v56, v6, 0x7fff
	v_add_co_u32 v2, s0, s6, v2
	v_add_co_ci_u32_e64 v3, null, s7, v3, s0
	v_cndmask_b32_sdwa v4, v4, v5, vcc_lo dst_sel:DWORD dst_unused:UNUSED_PAD src0_sel:DWORD src1_sel:WORD_1
	v_add_co_u32 v0, vcc_lo, v2, v0
	v_add_co_ci_u32_e64 v1, null, v3, v1, vcc_lo
	global_store_short v[0:1], v4, off
.LBB109_88:
	s_endpgm
	.section	.rodata,"a",@progbits
	.p2align	6, 0x0
	.amdhsa_kernel _ZN2at6native12_GLOBAL__N_135GammaBetaBackwardCUDAKernelTemplateIN3c108BFloat16EfLj32ELj1ELj8ELb1ELb0ELb0EEEvllPKT_S7_PKT0_SA_PS5_SB_
		.amdhsa_group_segment_fixed_size 0
		.amdhsa_private_segment_fixed_size 0
		.amdhsa_kernarg_size 320
		.amdhsa_user_sgpr_count 6
		.amdhsa_user_sgpr_private_segment_buffer 1
		.amdhsa_user_sgpr_dispatch_ptr 0
		.amdhsa_user_sgpr_queue_ptr 0
		.amdhsa_user_sgpr_kernarg_segment_ptr 1
		.amdhsa_user_sgpr_dispatch_id 0
		.amdhsa_user_sgpr_flat_scratch_init 0
		.amdhsa_user_sgpr_private_segment_size 0
		.amdhsa_wavefront_size32 1
		.amdhsa_uses_dynamic_stack 0
		.amdhsa_system_sgpr_private_segment_wavefront_offset 0
		.amdhsa_system_sgpr_workgroup_id_x 1
		.amdhsa_system_sgpr_workgroup_id_y 1
		.amdhsa_system_sgpr_workgroup_id_z 0
		.amdhsa_system_sgpr_workgroup_info 0
		.amdhsa_system_vgpr_workitem_id 1
		.amdhsa_next_free_vgpr 94
		.amdhsa_next_free_sgpr 32
		.amdhsa_reserve_vcc 1
		.amdhsa_reserve_flat_scratch 0
		.amdhsa_float_round_mode_32 0
		.amdhsa_float_round_mode_16_64 0
		.amdhsa_float_denorm_mode_32 3
		.amdhsa_float_denorm_mode_16_64 3
		.amdhsa_dx10_clamp 1
		.amdhsa_ieee_mode 1
		.amdhsa_fp16_overflow 0
		.amdhsa_workgroup_processor_mode 1
		.amdhsa_memory_ordered 1
		.amdhsa_forward_progress 1
		.amdhsa_shared_vgpr_count 0
		.amdhsa_exception_fp_ieee_invalid_op 0
		.amdhsa_exception_fp_denorm_src 0
		.amdhsa_exception_fp_ieee_div_zero 0
		.amdhsa_exception_fp_ieee_overflow 0
		.amdhsa_exception_fp_ieee_underflow 0
		.amdhsa_exception_fp_ieee_inexact 0
		.amdhsa_exception_int_div_zero 0
	.end_amdhsa_kernel
	.section	.text._ZN2at6native12_GLOBAL__N_135GammaBetaBackwardCUDAKernelTemplateIN3c108BFloat16EfLj32ELj1ELj8ELb1ELb0ELb0EEEvllPKT_S7_PKT0_SA_PS5_SB_,"axG",@progbits,_ZN2at6native12_GLOBAL__N_135GammaBetaBackwardCUDAKernelTemplateIN3c108BFloat16EfLj32ELj1ELj8ELb1ELb0ELb0EEEvllPKT_S7_PKT0_SA_PS5_SB_,comdat
.Lfunc_end109:
	.size	_ZN2at6native12_GLOBAL__N_135GammaBetaBackwardCUDAKernelTemplateIN3c108BFloat16EfLj32ELj1ELj8ELb1ELb0ELb0EEEvllPKT_S7_PKT0_SA_PS5_SB_, .Lfunc_end109-_ZN2at6native12_GLOBAL__N_135GammaBetaBackwardCUDAKernelTemplateIN3c108BFloat16EfLj32ELj1ELj8ELb1ELb0ELb0EEEvllPKT_S7_PKT0_SA_PS5_SB_
                                        ; -- End function
	.set _ZN2at6native12_GLOBAL__N_135GammaBetaBackwardCUDAKernelTemplateIN3c108BFloat16EfLj32ELj1ELj8ELb1ELb0ELb0EEEvllPKT_S7_PKT0_SA_PS5_SB_.num_vgpr, 94
	.set _ZN2at6native12_GLOBAL__N_135GammaBetaBackwardCUDAKernelTemplateIN3c108BFloat16EfLj32ELj1ELj8ELb1ELb0ELb0EEEvllPKT_S7_PKT0_SA_PS5_SB_.num_agpr, 0
	.set _ZN2at6native12_GLOBAL__N_135GammaBetaBackwardCUDAKernelTemplateIN3c108BFloat16EfLj32ELj1ELj8ELb1ELb0ELb0EEEvllPKT_S7_PKT0_SA_PS5_SB_.numbered_sgpr, 32
	.set _ZN2at6native12_GLOBAL__N_135GammaBetaBackwardCUDAKernelTemplateIN3c108BFloat16EfLj32ELj1ELj8ELb1ELb0ELb0EEEvllPKT_S7_PKT0_SA_PS5_SB_.num_named_barrier, 0
	.set _ZN2at6native12_GLOBAL__N_135GammaBetaBackwardCUDAKernelTemplateIN3c108BFloat16EfLj32ELj1ELj8ELb1ELb0ELb0EEEvllPKT_S7_PKT0_SA_PS5_SB_.private_seg_size, 0
	.set _ZN2at6native12_GLOBAL__N_135GammaBetaBackwardCUDAKernelTemplateIN3c108BFloat16EfLj32ELj1ELj8ELb1ELb0ELb0EEEvllPKT_S7_PKT0_SA_PS5_SB_.uses_vcc, 1
	.set _ZN2at6native12_GLOBAL__N_135GammaBetaBackwardCUDAKernelTemplateIN3c108BFloat16EfLj32ELj1ELj8ELb1ELb0ELb0EEEvllPKT_S7_PKT0_SA_PS5_SB_.uses_flat_scratch, 0
	.set _ZN2at6native12_GLOBAL__N_135GammaBetaBackwardCUDAKernelTemplateIN3c108BFloat16EfLj32ELj1ELj8ELb1ELb0ELb0EEEvllPKT_S7_PKT0_SA_PS5_SB_.has_dyn_sized_stack, 0
	.set _ZN2at6native12_GLOBAL__N_135GammaBetaBackwardCUDAKernelTemplateIN3c108BFloat16EfLj32ELj1ELj8ELb1ELb0ELb0EEEvllPKT_S7_PKT0_SA_PS5_SB_.has_recursion, 0
	.set _ZN2at6native12_GLOBAL__N_135GammaBetaBackwardCUDAKernelTemplateIN3c108BFloat16EfLj32ELj1ELj8ELb1ELb0ELb0EEEvllPKT_S7_PKT0_SA_PS5_SB_.has_indirect_call, 0
	.section	.AMDGPU.csdata,"",@progbits
; Kernel info:
; codeLenInByte = 8520
; TotalNumSgprs: 34
; NumVgprs: 94
; ScratchSize: 0
; MemoryBound: 0
; FloatMode: 240
; IeeeMode: 1
; LDSByteSize: 0 bytes/workgroup (compile time only)
; SGPRBlocks: 0
; VGPRBlocks: 11
; NumSGPRsForWavesPerEU: 34
; NumVGPRsForWavesPerEU: 94
; Occupancy: 10
; WaveLimiterHint : 0
; COMPUTE_PGM_RSRC2:SCRATCH_EN: 0
; COMPUTE_PGM_RSRC2:USER_SGPR: 6
; COMPUTE_PGM_RSRC2:TRAP_HANDLER: 0
; COMPUTE_PGM_RSRC2:TGID_X_EN: 1
; COMPUTE_PGM_RSRC2:TGID_Y_EN: 1
; COMPUTE_PGM_RSRC2:TGID_Z_EN: 0
; COMPUTE_PGM_RSRC2:TIDIG_COMP_CNT: 1
	.section	.text._ZN2at6native12_GLOBAL__N_135GammaBetaBackwardCUDAKernelTemplateIN3c108BFloat16EfLj32ELj8ELj64ELb0ELb1ELb0EEEvllPKT_S7_PKT0_SA_PS5_SB_,"axG",@progbits,_ZN2at6native12_GLOBAL__N_135GammaBetaBackwardCUDAKernelTemplateIN3c108BFloat16EfLj32ELj8ELj64ELb0ELb1ELb0EEEvllPKT_S7_PKT0_SA_PS5_SB_,comdat
	.globl	_ZN2at6native12_GLOBAL__N_135GammaBetaBackwardCUDAKernelTemplateIN3c108BFloat16EfLj32ELj8ELj64ELb0ELb1ELb0EEEvllPKT_S7_PKT0_SA_PS5_SB_ ; -- Begin function _ZN2at6native12_GLOBAL__N_135GammaBetaBackwardCUDAKernelTemplateIN3c108BFloat16EfLj32ELj8ELj64ELb0ELb1ELb0EEEvllPKT_S7_PKT0_SA_PS5_SB_
	.p2align	8
	.type	_ZN2at6native12_GLOBAL__N_135GammaBetaBackwardCUDAKernelTemplateIN3c108BFloat16EfLj32ELj8ELj64ELb0ELb1ELb0EEEvllPKT_S7_PKT0_SA_PS5_SB_,@function
_ZN2at6native12_GLOBAL__N_135GammaBetaBackwardCUDAKernelTemplateIN3c108BFloat16EfLj32ELj8ELj64ELb0ELb1ELb0EEEvllPKT_S7_PKT0_SA_PS5_SB_: ; @_ZN2at6native12_GLOBAL__N_135GammaBetaBackwardCUDAKernelTemplateIN3c108BFloat16EfLj32ELj8ELj64ELb0ELb1ELb0EEEvllPKT_S7_PKT0_SA_PS5_SB_
; %bb.0:
	s_load_dwordx4 s[20:23], s[4:5], 0x0
	s_lshl_b32 s2, s7, 6
	s_mov_b32 s3, 0
	s_waitcnt lgkmcnt(0)
	v_cmp_gt_i64_e64 s0, s[20:21], s[2:3]
	s_and_b32 vcc_lo, exec_lo, s0
	s_cbranch_vccnz .LBB110_2
; %bb.1:
	s_mov_b32 s0, s3
	s_branch .LBB110_3
.LBB110_2:
	s_mov_b32 s0, -1
.LBB110_3:
	s_load_dwordx4 s[16:19], s[4:5], 0x30
	v_mov_b32_e32 v15, 0
	v_mov_b32_e32 v17, 0
	s_andn2_b32 vcc_lo, exec_lo, s0
	s_cbranch_vccnz .LBB110_10
; %bb.4:
	s_clause 0x2
	s_load_dword s0, s[4:5], 0x4c
	s_load_dword s1, s[4:5], 0x44
	s_load_dwordx8 s[8:15], s[4:5], 0x10
	v_lshlrev_b32_e32 v2, 3, v1
	v_mov_b32_e32 v3, 0
	v_mov_b32_e32 v8, 8
	;; [unrolled: 1-line block ×4, first 2 shown]
	v_add_co_u32 v4, s4, v2, s2
	v_add_co_ci_u32_e64 v5, null, 0, 0, s4
	v_lshl_add_u32 v2, s6, 5, v0
	v_mul_lo_u32 v17, s23, v4
	v_mad_u64_u32 v[6:7], null, s22, v4, 0
	v_mul_lo_u32 v18, s22, v5
	v_mov_b32_e32 v11, 16
	v_mov_b32_e32 v12, 20
	;; [unrolled: 1-line block ×3, first 2 shown]
	s_waitcnt lgkmcnt(0)
	s_and_b32 s0, s0, 0xffff
	s_lshl_b32 s4, s1, 6
	v_mad_u32_u24 v15, v1, s0, v0
	s_mul_i32 s1, s23, s4
	v_add3_u32 v7, v7, v18, v17
	s_mul_hi_u32 s7, s22, s4
	v_mov_b32_e32 v14, 28
	v_and_b32_e32 v19, 31, v15
	v_lshlrev_b64 v[15:16], 1, v[2:3]
	v_lshlrev_b64 v[17:18], 1, v[6:7]
	s_mov_b32 s5, 0
	s_add_i32 s27, s7, s1
	v_add_co_u32 v4, vcc_lo, v4, v19
	v_add_co_ci_u32_e64 v5, null, 0, v5, vcc_lo
	v_add_co_u32 v2, vcc_lo, v17, v15
	v_cmp_gt_u32_e64 s0, 8, v19
	v_lshlrev_b64 v[6:7], 2, v[4:5]
	v_add_co_ci_u32_e64 v16, null, v18, v16, vcc_lo
	v_mov_b32_e32 v17, 0
	v_mov_b32_e32 v15, 0
	s_mul_i32 s26, s22, s4
	s_lshl_b64 s[24:25], s[4:5], 2
	s_lshl_b64 s[26:27], s[26:27], 1
	s_lshl_b64 s[22:23], s[22:23], 1
	s_branch .LBB110_7
.LBB110_5:                              ;   in Loop: Header=BB110_7 Depth=1
	s_or_b32 exec_lo, exec_lo, s5
.LBB110_6:                              ;   in Loop: Header=BB110_7 Depth=1
	s_or_b32 exec_lo, exec_lo, s1
	v_add_co_u32 v20, vcc_lo, s8, v2
	v_add_co_ci_u32_e64 v21, null, s9, v16, vcc_lo
	v_add_co_u32 v22, vcc_lo, s10, v2
	v_add_co_ci_u32_e64 v23, null, s11, v16, vcc_lo
	;; [unrolled: 2-line block ×5, first 2 shown]
	global_load_ushort v30, v[20:21], off
	global_load_ushort v31, v[22:23], off
	;; [unrolled: 1-line block ×5, first 2 shown]
	v_add_co_u32 v20, vcc_lo, v26, s22
	v_add_co_ci_u32_e64 v21, null, s23, v27, vcc_lo
	v_add_co_u32 v22, vcc_lo, v28, s22
	v_add_co_ci_u32_e64 v23, null, s23, v29, vcc_lo
	;; [unrolled: 2-line block ×5, first 2 shown]
	global_load_ushort v35, v[20:21], off
	global_load_ushort v36, v[22:23], off
	;; [unrolled: 1-line block ×5, first 2 shown]
	v_add_co_u32 v20, vcc_lo, v26, s22
	v_add_co_ci_u32_e64 v21, null, s23, v27, vcc_lo
	v_add_co_u32 v22, vcc_lo, v28, s22
	v_add_co_ci_u32_e64 v23, null, s23, v29, vcc_lo
	;; [unrolled: 2-line block ×4, first 2 shown]
	global_load_ushort v28, v[20:21], off
	global_load_ushort v29, v[22:23], off
	;; [unrolled: 1-line block ×4, first 2 shown]
	v_add_co_u32 v20, vcc_lo, v26, s22
	v_add_co_ci_u32_e64 v21, null, s23, v27, vcc_lo
	v_add_co_u32 v22, vcc_lo, v24, s22
	v_add_co_ci_u32_e64 v23, null, s23, v25, vcc_lo
	global_load_ushort v20, v[20:21], off
	global_load_ushort v21, v[22:23], off
	s_waitcnt vmcnt(17)
	ds_bpermute_b32 v22, v3, v18
	ds_bpermute_b32 v25, v9, v18
	s_waitcnt vmcnt(16)
	ds_bpermute_b32 v23, v3, v19
	ds_bpermute_b32 v27, v8, v18
	;; [unrolled: 1-line block ×14, first 2 shown]
	s_add_u32 s2, s2, s4
	v_add_co_u32 v6, vcc_lo, v6, s24
	s_addc_u32 s3, s3, 0
	v_add_co_ci_u32_e64 v7, null, s25, v7, vcc_lo
	v_add_co_u32 v4, vcc_lo, v4, s4
	v_cmp_lt_i64_e64 s1, s[2:3], s[20:21]
	v_add_co_ci_u32_e64 v5, null, 0, v5, vcc_lo
	v_add_co_u32 v2, vcc_lo, v2, s26
	v_add_co_ci_u32_e64 v16, null, s27, v16, vcc_lo
	s_and_b32 vcc_lo, exec_lo, s1
	s_waitcnt vmcnt(15)
	v_lshlrev_b32_e32 v30, 16, v30
	s_waitcnt vmcnt(14)
	v_lshlrev_b32_e32 v31, 16, v31
	;; [unrolled: 2-line block ×3, first 2 shown]
	v_add_f32_e32 v17, v17, v30
	s_waitcnt lgkmcnt(15)
	v_sub_f32_e32 v22, v31, v22
	v_lshlrev_b32_e32 v31, 16, v32
	s_waitcnt lgkmcnt(14)
	v_sub_f32_e32 v25, v33, v25
	v_mul_f32_e32 v22, v22, v30
	s_waitcnt vmcnt(11)
	v_lshlrev_b32_e32 v30, 16, v34
	v_add_f32_e32 v17, v17, v31
	s_waitcnt lgkmcnt(13)
	v_fmac_f32_e32 v15, v22, v23
	v_mul_f32_e32 v22, v25, v31
	v_add_f32_e32 v17, v17, v30
	s_waitcnt vmcnt(10)
	v_lshlrev_b32_e32 v32, 16, v35
	s_waitcnt lgkmcnt(11)
	v_fmac_f32_e32 v15, v22, v24
	s_waitcnt vmcnt(8)
	v_lshlrev_b32_e32 v25, 16, v37
	s_waitcnt vmcnt(6)
	v_lshlrev_b32_e32 v24, 16, v39
	v_sub_f32_e32 v23, v32, v27
	v_lshlrev_b32_e32 v27, 16, v36
	v_mul_f32_e32 v22, v23, v30
	s_waitcnt lgkmcnt(10)
	v_sub_f32_e32 v23, v25, v43
	v_lshlrev_b32_e32 v25, 16, v38
	v_add_f32_e32 v17, v17, v27
	s_waitcnt lgkmcnt(9)
	v_fmac_f32_e32 v15, v22, v26
	v_mul_f32_e32 v22, v23, v27
	s_waitcnt lgkmcnt(8)
	v_sub_f32_e32 v23, v24, v45
	s_waitcnt vmcnt(5)
	v_lshlrev_b32_e32 v26, 16, v28
	s_waitcnt vmcnt(4)
	v_lshlrev_b32_e32 v24, 16, v29
	v_add_f32_e32 v17, v17, v25
	s_waitcnt lgkmcnt(7)
	v_fmac_f32_e32 v15, v22, v42
	v_mul_f32_e32 v22, v23, v25
	s_waitcnt vmcnt(3)
	v_lshlrev_b32_e32 v25, 16, v40
	s_waitcnt lgkmcnt(6)
	v_sub_f32_e32 v23, v24, v47
	s_waitcnt vmcnt(2)
	v_lshlrev_b32_e32 v24, 16, v41
	v_add_f32_e32 v17, v17, v26
	s_waitcnt lgkmcnt(5)
	v_fmac_f32_e32 v15, v22, v44
	v_mul_f32_e32 v22, v23, v26
	s_waitcnt lgkmcnt(4)
	v_sub_f32_e32 v23, v24, v49
	s_waitcnt vmcnt(1)
	v_lshlrev_b32_e32 v20, 16, v20
	s_waitcnt vmcnt(0)
	v_lshlrev_b32_e32 v21, 16, v21
	v_add_f32_e32 v17, v17, v25
	s_waitcnt lgkmcnt(3)
	v_fmac_f32_e32 v15, v22, v46
	v_mul_f32_e32 v22, v23, v25
	s_waitcnt lgkmcnt(2)
	v_sub_f32_e32 v18, v20, v18
	v_add_f32_e32 v17, v17, v21
	s_waitcnt lgkmcnt(1)
	v_fmac_f32_e32 v15, v22, v48
	v_mul_f32_e32 v18, v18, v21
	s_waitcnt lgkmcnt(0)
	v_fmac_f32_e32 v15, v18, v19
	s_cbranch_vccz .LBB110_10
.LBB110_7:                              ; =>This Inner Loop Header: Depth=1
	v_mov_b32_e32 v19, 0
	v_mov_b32_e32 v18, 0
	s_and_saveexec_b32 s1, s0
	s_cbranch_execz .LBB110_6
; %bb.8:                                ;   in Loop: Header=BB110_7 Depth=1
	v_mov_b32_e32 v18, 0
	v_mov_b32_e32 v19, 0
	s_mov_b32 s5, exec_lo
	v_cmpx_gt_i64_e64 s[20:21], v[4:5]
	s_cbranch_execz .LBB110_5
; %bb.9:                                ;   in Loop: Header=BB110_7 Depth=1
	v_add_co_u32 v18, vcc_lo, s12, v6
	v_add_co_ci_u32_e64 v19, null, s13, v7, vcc_lo
	v_add_co_u32 v20, vcc_lo, s14, v6
	v_add_co_ci_u32_e64 v21, null, s15, v7, vcc_lo
	global_load_dword v18, v[18:19], off
	global_load_dword v19, v[20:21], off
	s_branch .LBB110_5
.LBB110_10:
	v_mad_u32_u24 v2, v1, 33, v0
	v_lshrrev_b32_e32 v3, 5, v0
	s_mov_b32 s0, exec_lo
	v_lshl_add_u32 v4, v2, 2, 0
	v_add_nc_u32_e32 v2, v3, v1
	ds_write_b32 v4, v15
	ds_write_b32 v4, v17 offset:1056
	s_waitcnt lgkmcnt(0)
	s_barrier
	buffer_gl0_inv
	v_cmpx_gt_u32_e32 32, v2
	s_cbranch_execz .LBB110_42
; %bb.11:
	v_and_b32_e32 v1, 31, v0
                                        ; implicit-def: $vgpr6
	v_cmp_gt_u32_e64 s0, 8, v1
	v_mul_u32_u24_e32 v3, 33, v1
                                        ; implicit-def: $vgpr1
	s_and_saveexec_b32 s1, s0
	s_cbranch_execz .LBB110_13
; %bb.12:
	v_add_nc_u32_e32 v1, v2, v3
	v_lshl_add_u32 v1, v1, 2, 0
	ds_read_b32 v6, v1
	ds_read_b32 v1, v1 offset:1056
.LBB110_13:
	s_or_b32 exec_lo, exec_lo, s1
	v_mbcnt_lo_u32_b32 v7, -1, 0
	s_mov_b32 s7, 0
	v_cmp_eq_u32_e64 s1, 0, v0
	s_lshl_b64 s[2:3], s[6:7], 5
	s_cmp_lg_u64 s[16:17], 0
	v_xor_b32_e32 v4, 4, v7
	v_xor_b32_e32 v5, 2, v7
	s_cselect_b32 s5, -1, 0
	s_cmp_lg_u64 s[18:19], 0
	s_cselect_b32 s4, -1, 0
	v_cmp_gt_i32_e32 vcc_lo, 32, v4
	v_cndmask_b32_e32 v4, v7, v4, vcc_lo
	v_cmp_gt_i32_e32 vcc_lo, 32, v5
	v_lshlrev_b32_e32 v4, 2, v4
	v_cndmask_b32_e32 v5, v7, v5, vcc_lo
	s_waitcnt lgkmcnt(1)
	ds_bpermute_b32 v8, v4, v6
	s_waitcnt lgkmcnt(1)
	ds_bpermute_b32 v9, v4, v1
	v_lshlrev_b32_e32 v5, 2, v5
	s_waitcnt lgkmcnt(1)
	v_add_f32_e32 v8, v6, v8
	s_waitcnt lgkmcnt(0)
	v_add_f32_e32 v1, v1, v9
	v_xor_b32_e32 v6, 1, v7
	ds_bpermute_b32 v9, v5, v8
	ds_bpermute_b32 v10, v5, v1
	v_cmp_gt_i32_e32 vcc_lo, 32, v6
	v_cndmask_b32_e32 v6, v7, v6, vcc_lo
	v_lshlrev_b32_e32 v6, 2, v6
	s_waitcnt lgkmcnt(1)
	v_add_f32_e32 v7, v8, v9
	s_waitcnt lgkmcnt(0)
	v_add_f32_e32 v1, v1, v10
	ds_bpermute_b32 v8, v6, v7
	ds_bpermute_b32 v9, v6, v1
	s_waitcnt lgkmcnt(1)
	v_add_f32_e32 v7, v7, v8
	s_waitcnt lgkmcnt(0)
	v_add_f32_e32 v8, v1, v9
	s_and_saveexec_b32 s6, s1
	s_cbranch_execz .LBB110_18
; %bb.14:
	v_mov_b32_e32 v1, s3
	v_or_b32_e32 v0, s2, v2
	s_andn2_b32 vcc_lo, exec_lo, s5
	v_lshlrev_b64 v[0:1], 1, v[0:1]
	s_cbranch_vccnz .LBB110_16
; %bb.15:
	v_bfe_u32 v9, v7, 16, 1
	v_cmp_o_f32_e32 vcc_lo, v7, v7
	v_mov_b32_e32 v10, 0x7fc0
	v_add3_u32 v9, v7, v9, 0x7fff
	v_cndmask_b32_sdwa v11, v10, v9, vcc_lo dst_sel:DWORD dst_unused:UNUSED_PAD src0_sel:DWORD src1_sel:WORD_1
	v_add_co_u32 v9, vcc_lo, s16, v0
	v_add_co_ci_u32_e64 v10, null, s17, v1, vcc_lo
	global_store_short v[9:10], v11, off
.LBB110_16:
	s_andn2_b32 vcc_lo, exec_lo, s4
	s_cbranch_vccnz .LBB110_18
; %bb.17:
	v_bfe_u32 v9, v8, 16, 1
	v_cmp_o_f32_e32 vcc_lo, v8, v8
	v_mov_b32_e32 v10, 0x7fc0
	v_add3_u32 v9, v8, v9, 0x7fff
	v_cndmask_b32_sdwa v9, v10, v9, vcc_lo dst_sel:DWORD dst_unused:UNUSED_PAD src0_sel:DWORD src1_sel:WORD_1
	v_add_co_u32 v0, vcc_lo, s18, v0
	v_add_co_ci_u32_e64 v1, null, s19, v1, vcc_lo
	global_store_short v[0:1], v9, off
.LBB110_18:
	s_or_b32 exec_lo, exec_lo, s6
	v_cmp_gt_u32_e32 vcc_lo, 24, v2
	s_and_b32 exec_lo, exec_lo, vcc_lo
	s_cbranch_execz .LBB110_42
; %bb.19:
	s_and_saveexec_b32 s6, s0
	s_cbranch_execz .LBB110_21
; %bb.20:
	v_add_nc_u32_e32 v0, v2, v3
	v_lshl_add_u32 v0, v0, 2, 0
	ds_read_b32 v7, v0 offset:32
	ds_read_b32 v8, v0 offset:1088
.LBB110_21:
	s_or_b32 exec_lo, exec_lo, s6
	s_waitcnt lgkmcnt(1)
	ds_bpermute_b32 v0, v4, v7
	s_waitcnt lgkmcnt(1)
	ds_bpermute_b32 v1, v4, v8
	s_waitcnt lgkmcnt(1)
	v_add_f32_e32 v0, v7, v0
	s_waitcnt lgkmcnt(0)
	v_add_f32_e32 v1, v8, v1
	ds_bpermute_b32 v7, v5, v0
	ds_bpermute_b32 v8, v5, v1
	s_waitcnt lgkmcnt(1)
	v_add_f32_e32 v0, v0, v7
	s_waitcnt lgkmcnt(0)
	v_add_f32_e32 v1, v1, v8
	ds_bpermute_b32 v7, v6, v0
	ds_bpermute_b32 v8, v6, v1
	s_waitcnt lgkmcnt(1)
	v_add_f32_e32 v0, v0, v7
	s_waitcnt lgkmcnt(0)
	v_add_f32_e32 v1, v1, v8
	s_and_saveexec_b32 s6, s1
	s_cbranch_execz .LBB110_26
; %bb.22:
	s_andn2_b32 vcc_lo, exec_lo, s5
	s_cbranch_vccnz .LBB110_24
; %bb.23:
	v_add_co_u32 v7, s7, s2, v2
	v_add_co_ci_u32_e64 v8, null, s3, 0, s7
	v_bfe_u32 v9, v0, 16, 1
	v_cmp_o_f32_e32 vcc_lo, v0, v0
	v_mov_b32_e32 v10, 0x7fc0
	v_lshlrev_b64 v[7:8], 1, v[7:8]
	v_add3_u32 v9, v0, v9, 0x7fff
	v_cndmask_b32_sdwa v9, v10, v9, vcc_lo dst_sel:DWORD dst_unused:UNUSED_PAD src0_sel:DWORD src1_sel:WORD_1
	v_add_co_u32 v7, vcc_lo, s16, v7
	v_add_co_ci_u32_e64 v8, null, s17, v8, vcc_lo
	global_store_short v[7:8], v9, off offset:16
.LBB110_24:
	s_andn2_b32 vcc_lo, exec_lo, s4
	s_cbranch_vccnz .LBB110_26
; %bb.25:
	v_add_co_u32 v7, s7, s2, v2
	v_add_co_ci_u32_e64 v8, null, s3, 0, s7
	v_bfe_u32 v9, v1, 16, 1
	v_cmp_o_f32_e32 vcc_lo, v1, v1
	v_mov_b32_e32 v10, 0x7fc0
	v_lshlrev_b64 v[7:8], 1, v[7:8]
	v_add3_u32 v9, v1, v9, 0x7fff
	v_cndmask_b32_sdwa v9, v10, v9, vcc_lo dst_sel:DWORD dst_unused:UNUSED_PAD src0_sel:DWORD src1_sel:WORD_1
	v_add_co_u32 v7, vcc_lo, s18, v7
	v_add_co_ci_u32_e64 v8, null, s19, v8, vcc_lo
	global_store_short v[7:8], v9, off offset:16
.LBB110_26:
	s_or_b32 exec_lo, exec_lo, s6
	v_cmp_gt_u32_e32 vcc_lo, 16, v2
	s_and_b32 exec_lo, exec_lo, vcc_lo
	s_cbranch_execz .LBB110_42
; %bb.27:
	s_and_saveexec_b32 s6, s0
	s_cbranch_execz .LBB110_29
; %bb.28:
	v_add_nc_u32_e32 v0, v2, v3
	v_lshl_add_u32 v1, v0, 2, 0
	ds_read_b32 v0, v1 offset:64
	ds_read_b32 v1, v1 offset:1120
.LBB110_29:
	s_or_b32 exec_lo, exec_lo, s6
	s_waitcnt lgkmcnt(1)
	ds_bpermute_b32 v7, v4, v0
	s_waitcnt lgkmcnt(1)
	ds_bpermute_b32 v8, v4, v1
	s_waitcnt lgkmcnt(1)
	v_add_f32_e32 v0, v0, v7
	s_waitcnt lgkmcnt(0)
	v_add_f32_e32 v1, v1, v8
	ds_bpermute_b32 v7, v5, v0
	ds_bpermute_b32 v8, v5, v1
	s_waitcnt lgkmcnt(1)
	v_add_f32_e32 v0, v0, v7
	s_waitcnt lgkmcnt(0)
	v_add_f32_e32 v1, v1, v8
	ds_bpermute_b32 v7, v6, v0
	ds_bpermute_b32 v8, v6, v1
	s_waitcnt lgkmcnt(1)
	v_add_f32_e32 v0, v0, v7
	s_waitcnt lgkmcnt(0)
	v_add_f32_e32 v1, v1, v8
	s_and_saveexec_b32 s6, s1
	s_cbranch_execz .LBB110_34
; %bb.30:
	s_andn2_b32 vcc_lo, exec_lo, s5
	s_cbranch_vccnz .LBB110_32
; %bb.31:
	v_add_co_u32 v7, s7, s2, v2
	v_add_co_ci_u32_e64 v8, null, s3, 0, s7
	v_bfe_u32 v9, v0, 16, 1
	v_cmp_o_f32_e32 vcc_lo, v0, v0
	v_mov_b32_e32 v10, 0x7fc0
	v_lshlrev_b64 v[7:8], 1, v[7:8]
	v_add3_u32 v9, v0, v9, 0x7fff
	v_cndmask_b32_sdwa v9, v10, v9, vcc_lo dst_sel:DWORD dst_unused:UNUSED_PAD src0_sel:DWORD src1_sel:WORD_1
	v_add_co_u32 v7, vcc_lo, s16, v7
	v_add_co_ci_u32_e64 v8, null, s17, v8, vcc_lo
	global_store_short v[7:8], v9, off offset:32
.LBB110_32:
	s_andn2_b32 vcc_lo, exec_lo, s4
	s_cbranch_vccnz .LBB110_34
; %bb.33:
	v_add_co_u32 v7, s7, s2, v2
	v_add_co_ci_u32_e64 v8, null, s3, 0, s7
	v_bfe_u32 v9, v1, 16, 1
	v_cmp_o_f32_e32 vcc_lo, v1, v1
	v_mov_b32_e32 v10, 0x7fc0
	v_lshlrev_b64 v[7:8], 1, v[7:8]
	v_add3_u32 v9, v1, v9, 0x7fff
	v_cndmask_b32_sdwa v9, v10, v9, vcc_lo dst_sel:DWORD dst_unused:UNUSED_PAD src0_sel:DWORD src1_sel:WORD_1
	v_add_co_u32 v7, vcc_lo, s18, v7
	v_add_co_ci_u32_e64 v8, null, s19, v8, vcc_lo
	global_store_short v[7:8], v9, off offset:32
.LBB110_34:
	s_or_b32 exec_lo, exec_lo, s6
	v_cmp_gt_u32_e32 vcc_lo, 8, v2
	s_and_b32 exec_lo, exec_lo, vcc_lo
	s_cbranch_execz .LBB110_42
; %bb.35:
	s_and_saveexec_b32 s6, s0
	s_cbranch_execz .LBB110_37
; %bb.36:
	v_add_nc_u32_e32 v0, v2, v3
	v_lshl_add_u32 v1, v0, 2, 0
	ds_read_b32 v0, v1 offset:96
	ds_read_b32 v1, v1 offset:1152
.LBB110_37:
	s_or_b32 exec_lo, exec_lo, s6
	s_waitcnt lgkmcnt(1)
	ds_bpermute_b32 v3, v4, v0
	s_waitcnt lgkmcnt(1)
	ds_bpermute_b32 v4, v4, v1
	s_waitcnt lgkmcnt(1)
	v_add_f32_e32 v0, v0, v3
	s_waitcnt lgkmcnt(0)
	v_add_f32_e32 v1, v1, v4
	ds_bpermute_b32 v3, v5, v0
	ds_bpermute_b32 v4, v5, v1
	s_waitcnt lgkmcnt(1)
	v_add_f32_e32 v3, v0, v3
	s_waitcnt lgkmcnt(0)
	v_add_f32_e32 v0, v1, v4
	ds_bpermute_b32 v4, v6, v3
	ds_bpermute_b32 v1, v6, v0
	s_and_b32 exec_lo, exec_lo, s1
	s_cbranch_execz .LBB110_42
; %bb.38:
	s_andn2_b32 vcc_lo, exec_lo, s5
	s_cbranch_vccnz .LBB110_40
; %bb.39:
	s_waitcnt lgkmcnt(1)
	v_add_f32_e32 v5, v3, v4
	v_add_co_u32 v3, s0, s2, v2
	v_add_co_ci_u32_e64 v4, null, s3, 0, s0
	v_bfe_u32 v6, v5, 16, 1
	v_cmp_o_f32_e32 vcc_lo, v5, v5
	v_mov_b32_e32 v7, 0x7fc0
	v_lshlrev_b64 v[3:4], 1, v[3:4]
	v_add3_u32 v5, v5, v6, 0x7fff
	v_cndmask_b32_sdwa v5, v7, v5, vcc_lo dst_sel:DWORD dst_unused:UNUSED_PAD src0_sel:DWORD src1_sel:WORD_1
	v_add_co_u32 v3, vcc_lo, s16, v3
	v_add_co_ci_u32_e64 v4, null, s17, v4, vcc_lo
	global_store_short v[3:4], v5, off offset:48
.LBB110_40:
	s_andn2_b32 vcc_lo, exec_lo, s4
	s_cbranch_vccnz .LBB110_42
; %bb.41:
	s_waitcnt lgkmcnt(0)
	v_add_f32_e32 v3, v0, v1
	v_add_co_u32 v0, s0, s2, v2
	v_add_co_ci_u32_e64 v1, null, s3, 0, s0
	v_bfe_u32 v4, v3, 16, 1
	v_cmp_o_f32_e32 vcc_lo, v3, v3
	v_mov_b32_e32 v2, 0x7fc0
	v_lshlrev_b64 v[0:1], 1, v[0:1]
	v_add3_u32 v3, v3, v4, 0x7fff
	v_cndmask_b32_sdwa v2, v2, v3, vcc_lo dst_sel:DWORD dst_unused:UNUSED_PAD src0_sel:DWORD src1_sel:WORD_1
	v_add_co_u32 v0, vcc_lo, s18, v0
	v_add_co_ci_u32_e64 v1, null, s19, v1, vcc_lo
	global_store_short v[0:1], v2, off offset:48
.LBB110_42:
	s_endpgm
	.section	.rodata,"a",@progbits
	.p2align	6, 0x0
	.amdhsa_kernel _ZN2at6native12_GLOBAL__N_135GammaBetaBackwardCUDAKernelTemplateIN3c108BFloat16EfLj32ELj8ELj64ELb0ELb1ELb0EEEvllPKT_S7_PKT0_SA_PS5_SB_
		.amdhsa_group_segment_fixed_size 0
		.amdhsa_private_segment_fixed_size 0
		.amdhsa_kernarg_size 320
		.amdhsa_user_sgpr_count 6
		.amdhsa_user_sgpr_private_segment_buffer 1
		.amdhsa_user_sgpr_dispatch_ptr 0
		.amdhsa_user_sgpr_queue_ptr 0
		.amdhsa_user_sgpr_kernarg_segment_ptr 1
		.amdhsa_user_sgpr_dispatch_id 0
		.amdhsa_user_sgpr_flat_scratch_init 0
		.amdhsa_user_sgpr_private_segment_size 0
		.amdhsa_wavefront_size32 1
		.amdhsa_uses_dynamic_stack 0
		.amdhsa_system_sgpr_private_segment_wavefront_offset 0
		.amdhsa_system_sgpr_workgroup_id_x 1
		.amdhsa_system_sgpr_workgroup_id_y 1
		.amdhsa_system_sgpr_workgroup_id_z 0
		.amdhsa_system_sgpr_workgroup_info 0
		.amdhsa_system_vgpr_workitem_id 1
		.amdhsa_next_free_vgpr 50
		.amdhsa_next_free_sgpr 28
		.amdhsa_reserve_vcc 1
		.amdhsa_reserve_flat_scratch 0
		.amdhsa_float_round_mode_32 0
		.amdhsa_float_round_mode_16_64 0
		.amdhsa_float_denorm_mode_32 3
		.amdhsa_float_denorm_mode_16_64 3
		.amdhsa_dx10_clamp 1
		.amdhsa_ieee_mode 1
		.amdhsa_fp16_overflow 0
		.amdhsa_workgroup_processor_mode 1
		.amdhsa_memory_ordered 1
		.amdhsa_forward_progress 1
		.amdhsa_shared_vgpr_count 0
		.amdhsa_exception_fp_ieee_invalid_op 0
		.amdhsa_exception_fp_denorm_src 0
		.amdhsa_exception_fp_ieee_div_zero 0
		.amdhsa_exception_fp_ieee_overflow 0
		.amdhsa_exception_fp_ieee_underflow 0
		.amdhsa_exception_fp_ieee_inexact 0
		.amdhsa_exception_int_div_zero 0
	.end_amdhsa_kernel
	.section	.text._ZN2at6native12_GLOBAL__N_135GammaBetaBackwardCUDAKernelTemplateIN3c108BFloat16EfLj32ELj8ELj64ELb0ELb1ELb0EEEvllPKT_S7_PKT0_SA_PS5_SB_,"axG",@progbits,_ZN2at6native12_GLOBAL__N_135GammaBetaBackwardCUDAKernelTemplateIN3c108BFloat16EfLj32ELj8ELj64ELb0ELb1ELb0EEEvllPKT_S7_PKT0_SA_PS5_SB_,comdat
.Lfunc_end110:
	.size	_ZN2at6native12_GLOBAL__N_135GammaBetaBackwardCUDAKernelTemplateIN3c108BFloat16EfLj32ELj8ELj64ELb0ELb1ELb0EEEvllPKT_S7_PKT0_SA_PS5_SB_, .Lfunc_end110-_ZN2at6native12_GLOBAL__N_135GammaBetaBackwardCUDAKernelTemplateIN3c108BFloat16EfLj32ELj8ELj64ELb0ELb1ELb0EEEvllPKT_S7_PKT0_SA_PS5_SB_
                                        ; -- End function
	.set _ZN2at6native12_GLOBAL__N_135GammaBetaBackwardCUDAKernelTemplateIN3c108BFloat16EfLj32ELj8ELj64ELb0ELb1ELb0EEEvllPKT_S7_PKT0_SA_PS5_SB_.num_vgpr, 50
	.set _ZN2at6native12_GLOBAL__N_135GammaBetaBackwardCUDAKernelTemplateIN3c108BFloat16EfLj32ELj8ELj64ELb0ELb1ELb0EEEvllPKT_S7_PKT0_SA_PS5_SB_.num_agpr, 0
	.set _ZN2at6native12_GLOBAL__N_135GammaBetaBackwardCUDAKernelTemplateIN3c108BFloat16EfLj32ELj8ELj64ELb0ELb1ELb0EEEvllPKT_S7_PKT0_SA_PS5_SB_.numbered_sgpr, 28
	.set _ZN2at6native12_GLOBAL__N_135GammaBetaBackwardCUDAKernelTemplateIN3c108BFloat16EfLj32ELj8ELj64ELb0ELb1ELb0EEEvllPKT_S7_PKT0_SA_PS5_SB_.num_named_barrier, 0
	.set _ZN2at6native12_GLOBAL__N_135GammaBetaBackwardCUDAKernelTemplateIN3c108BFloat16EfLj32ELj8ELj64ELb0ELb1ELb0EEEvllPKT_S7_PKT0_SA_PS5_SB_.private_seg_size, 0
	.set _ZN2at6native12_GLOBAL__N_135GammaBetaBackwardCUDAKernelTemplateIN3c108BFloat16EfLj32ELj8ELj64ELb0ELb1ELb0EEEvllPKT_S7_PKT0_SA_PS5_SB_.uses_vcc, 1
	.set _ZN2at6native12_GLOBAL__N_135GammaBetaBackwardCUDAKernelTemplateIN3c108BFloat16EfLj32ELj8ELj64ELb0ELb1ELb0EEEvllPKT_S7_PKT0_SA_PS5_SB_.uses_flat_scratch, 0
	.set _ZN2at6native12_GLOBAL__N_135GammaBetaBackwardCUDAKernelTemplateIN3c108BFloat16EfLj32ELj8ELj64ELb0ELb1ELb0EEEvllPKT_S7_PKT0_SA_PS5_SB_.has_dyn_sized_stack, 0
	.set _ZN2at6native12_GLOBAL__N_135GammaBetaBackwardCUDAKernelTemplateIN3c108BFloat16EfLj32ELj8ELj64ELb0ELb1ELb0EEEvllPKT_S7_PKT0_SA_PS5_SB_.has_recursion, 0
	.set _ZN2at6native12_GLOBAL__N_135GammaBetaBackwardCUDAKernelTemplateIN3c108BFloat16EfLj32ELj8ELj64ELb0ELb1ELb0EEEvllPKT_S7_PKT0_SA_PS5_SB_.has_indirect_call, 0
	.section	.AMDGPU.csdata,"",@progbits
; Kernel info:
; codeLenInByte = 2892
; TotalNumSgprs: 30
; NumVgprs: 50
; ScratchSize: 0
; MemoryBound: 0
; FloatMode: 240
; IeeeMode: 1
; LDSByteSize: 0 bytes/workgroup (compile time only)
; SGPRBlocks: 0
; VGPRBlocks: 6
; NumSGPRsForWavesPerEU: 30
; NumVGPRsForWavesPerEU: 50
; Occupancy: 16
; WaveLimiterHint : 0
; COMPUTE_PGM_RSRC2:SCRATCH_EN: 0
; COMPUTE_PGM_RSRC2:USER_SGPR: 6
; COMPUTE_PGM_RSRC2:TRAP_HANDLER: 0
; COMPUTE_PGM_RSRC2:TGID_X_EN: 1
; COMPUTE_PGM_RSRC2:TGID_Y_EN: 1
; COMPUTE_PGM_RSRC2:TGID_Z_EN: 0
; COMPUTE_PGM_RSRC2:TIDIG_COMP_CNT: 1
	.section	.text._ZN2at6native12_GLOBAL__N_135GammaBetaBackwardCUDAKernelTemplateIN3c108BFloat16EfLj32ELj8ELj64ELb0ELb0ELb0EEEvllPKT_S7_PKT0_SA_PS5_SB_,"axG",@progbits,_ZN2at6native12_GLOBAL__N_135GammaBetaBackwardCUDAKernelTemplateIN3c108BFloat16EfLj32ELj8ELj64ELb0ELb0ELb0EEEvllPKT_S7_PKT0_SA_PS5_SB_,comdat
	.globl	_ZN2at6native12_GLOBAL__N_135GammaBetaBackwardCUDAKernelTemplateIN3c108BFloat16EfLj32ELj8ELj64ELb0ELb0ELb0EEEvllPKT_S7_PKT0_SA_PS5_SB_ ; -- Begin function _ZN2at6native12_GLOBAL__N_135GammaBetaBackwardCUDAKernelTemplateIN3c108BFloat16EfLj32ELj8ELj64ELb0ELb0ELb0EEEvllPKT_S7_PKT0_SA_PS5_SB_
	.p2align	8
	.type	_ZN2at6native12_GLOBAL__N_135GammaBetaBackwardCUDAKernelTemplateIN3c108BFloat16EfLj32ELj8ELj64ELb0ELb0ELb0EEEvllPKT_S7_PKT0_SA_PS5_SB_,@function
_ZN2at6native12_GLOBAL__N_135GammaBetaBackwardCUDAKernelTemplateIN3c108BFloat16EfLj32ELj8ELj64ELb0ELb0ELb0EEEvllPKT_S7_PKT0_SA_PS5_SB_: ; @_ZN2at6native12_GLOBAL__N_135GammaBetaBackwardCUDAKernelTemplateIN3c108BFloat16EfLj32ELj8ELj64ELb0ELb0ELb0EEEvllPKT_S7_PKT0_SA_PS5_SB_
; %bb.0:
	s_clause 0x1
	s_load_dwordx8 s[8:15], s[4:5], 0x0
	s_load_dwordx4 s[16:19], s[4:5], 0x20
	s_lshl_b32 s28, s6, 5
	s_mov_b32 s3, 0
	s_or_b32 s2, s28, 31
	s_waitcnt lgkmcnt(0)
	v_cmp_le_i64_e64 s0, s[10:11], s[2:3]
	s_lshl_b32 s2, s7, 6
	v_cmp_gt_i64_e64 s7, s[8:9], s[2:3]
	s_and_b32 vcc_lo, exec_lo, s0
	v_cndmask_b32_e64 v2, 0, 1, s7
	v_cmp_ne_u32_e64 s0, 1, v2
	s_cbranch_vccz .LBB111_49
; %bb.1:
	v_mov_b32_e32 v11, 0
	v_mov_b32_e32 v62, 0
	s_and_b32 vcc_lo, exec_lo, s0
	s_cbranch_vccnz .LBB111_50
; %bb.2:
	v_lshlrev_b32_e32 v21, 3, v1
	v_mov_b32_e32 v2, 0
	v_add_nc_u32_e32 v5, s28, v0
	s_load_dword s1, s[4:5], 0x44
	s_add_u32 s20, s4, 64
	v_add_co_u32 v11, s0, v21, s2
	v_add_co_ci_u32_e64 v12, null, 0, 0, s0
	v_mov_b32_e32 v6, v2
	v_mul_lo_u32 v7, s11, v11
	v_mad_u64_u32 v[3:4], null, s10, v11, 0
	v_mul_lo_u32 v8, s10, v12
	v_cmp_gt_i64_e64 s0, s[10:11], v[5:6]
	v_lshlrev_b64 v[19:20], 1, v[5:6]
	s_addc_u32 s21, s5, 0
	v_mov_b32_e32 v62, 0
	v_mov_b32_e32 v54, 0
	s_mov_b64 s[26:27], s[2:3]
	v_add3_u32 v4, v4, v8, v7
	v_add_co_u32 v7, vcc_lo, v11, 7
	v_add_co_ci_u32_e64 v8, null, 0, v12, vcc_lo
	v_lshlrev_b64 v[5:6], 1, v[3:4]
	v_mul_lo_u32 v13, s11, v7
	s_waitcnt lgkmcnt(0)
	s_lshl_b32 s29, s1, 6
	v_mul_lo_u32 v14, s10, v8
	v_mad_u64_u32 v[7:8], null, s10, v7, 0
	v_add_co_u32 v22, vcc_lo, s12, v5
	v_add_co_ci_u32_e64 v23, null, s13, v6, vcc_lo
	v_add_co_u32 v9, vcc_lo, v11, 6
	v_add_co_ci_u32_e64 v10, null, 0, v12, vcc_lo
	v_add_co_u32 v24, vcc_lo, s14, v5
	v_mul_lo_u32 v15, s11, v9
	v_mul_lo_u32 v16, s10, v10
	v_mad_u64_u32 v[9:10], null, s10, v9, 0
	v_add3_u32 v8, v8, v14, v13
	v_add_co_ci_u32_e64 v25, null, s15, v6, vcc_lo
	v_add_co_u32 v13, vcc_lo, v11, 5
	v_add_co_ci_u32_e64 v14, null, 0, v12, vcc_lo
	v_add3_u32 v10, v10, v16, v15
	v_lshlrev_b64 v[5:6], 1, v[7:8]
	v_mul_lo_u32 v15, s11, v13
	v_mul_lo_u32 v14, s10, v14
	s_mul_i32 s1, s11, s29
	v_lshlrev_b64 v[7:8], 1, v[9:10]
	v_mad_u64_u32 v[9:10], null, s10, v13, 0
	v_add_co_u32 v26, vcc_lo, s12, v5
	v_add_co_ci_u32_e64 v27, null, s13, v6, vcc_lo
	v_add_co_u32 v28, vcc_lo, s14, v5
	v_add_co_ci_u32_e64 v29, null, s15, v6, vcc_lo
	v_add_co_u32 v30, vcc_lo, s12, v7
	v_add3_u32 v10, v10, v14, v15
	s_mul_hi_u32 s22, s10, s29
	v_add_co_ci_u32_e64 v31, null, s13, v8, vcc_lo
	v_add_co_u32 v13, vcc_lo, v11, 4
	s_add_i32 s23, s22, s1
	v_add_co_u32 v32, s1, s14, v7
	v_add_co_ci_u32_e64 v7, null, 0, v12, vcc_lo
	v_lshlrev_b64 v[5:6], 1, v[9:10]
	v_add_co_u32 v9, vcc_lo, v11, 3
	v_add_co_ci_u32_e64 v10, null, 0, v12, vcc_lo
	v_add_co_ci_u32_e64 v33, null, s15, v8, s1
	v_mul_lo_u32 v14, s11, v13
	v_mul_lo_u32 v15, s10, v7
	v_mad_u64_u32 v[7:8], null, s10, v13, 0
	v_mul_lo_u32 v13, s11, v9
	v_mul_lo_u32 v16, s10, v10
	v_mad_u64_u32 v[9:10], null, s10, v9, 0
	v_add_co_u32 v34, vcc_lo, s12, v5
	v_add_co_ci_u32_e64 v35, null, s13, v6, vcc_lo
	v_add3_u32 v8, v8, v15, v14
	v_add_co_u32 v36, vcc_lo, s14, v5
	v_add_co_ci_u32_e64 v37, null, s15, v6, vcc_lo
	v_add_co_u32 v11, vcc_lo, v11, 2
	v_add3_u32 v10, v10, v16, v13
	v_add_co_ci_u32_e64 v12, null, 0, v12, vcc_lo
	v_lshlrev_b64 v[5:6], 1, v[7:8]
	v_mul_lo_u32 v13, s11, v11
	v_lshlrev_b64 v[7:8], 1, v[9:10]
	v_mul_lo_u32 v12, s10, v12
	v_mad_u64_u32 v[9:10], null, s10, v11, 0
	v_add_co_u32 v38, vcc_lo, s12, v5
	v_add_co_ci_u32_e64 v39, null, s13, v6, vcc_lo
	v_add_co_u32 v40, vcc_lo, s14, v5
	v_add_co_ci_u32_e64 v41, null, s15, v6, vcc_lo
	;; [unrolled: 2-line block ×3, first 2 shown]
	v_add3_u32 v10, v10, v12, v13
	v_add_co_u32 v44, vcc_lo, s14, v7
	v_add_co_ci_u32_e64 v45, null, s15, v8, vcc_lo
	v_add_co_u32 v3, vcc_lo, v3, s10
	v_add_co_ci_u32_e64 v4, null, s11, v4, vcc_lo
	v_lshlrev_b64 v[5:6], 1, v[9:10]
	s_mul_i32 s22, s10, s29
	v_lshlrev_b64 v[3:4], 1, v[3:4]
	s_lshl_b64 s[22:23], s[22:23], 1
	s_add_u32 s24, s2, 63
	v_add_co_u32 v46, vcc_lo, s12, v5
	v_add_co_ci_u32_e64 v47, null, s13, v6, vcc_lo
	v_add_co_u32 v48, vcc_lo, s14, v5
	v_add_co_ci_u32_e64 v49, null, s15, v6, vcc_lo
	;; [unrolled: 2-line block ×4, first 2 shown]
	s_addc_u32 s25, 0, 0
.LBB111_3:                              ; =>This Inner Loop Header: Depth=1
	v_cmp_ge_i64_e64 s1, s[24:25], s[8:9]
	v_add_co_u32 v55, s30, v21, s24
	v_add_co_ci_u32_e64 v56, null, 0, s25, s30
                                        ; implicit-def: $vgpr11_vgpr12_vgpr13_vgpr14_vgpr15_vgpr16_vgpr17_vgpr18
                                        ; implicit-def: $vgpr3_vgpr4_vgpr5_vgpr6_vgpr7_vgpr8_vgpr9_vgpr10
                                        ; implicit-def: $vgpr58
                                        ; implicit-def: $vgpr3
	s_and_b32 vcc_lo, exec_lo, s1
	s_mov_b32 s1, -1
                                        ; implicit-def: $vgpr11
                                        ; implicit-def: $vgpr4
	s_cbranch_vccz .LBB111_25
; %bb.4:                                ;   in Loop: Header=BB111_3 Depth=1
	s_load_dword s1, s[20:21], 0xc
	v_mov_b32_e32 v58, 0
	v_mov_b32_e32 v57, 0
	s_waitcnt lgkmcnt(0)
	s_and_b32 s1, s1, 0xffff
	v_mad_u32_u24 v3, v1, s1, v0
	s_mov_b32 s1, exec_lo
	v_and_b32_e32 v3, 31, v3
	v_cmpx_gt_u32_e32 8, v3
	s_cbranch_execz .LBB111_8
; %bb.5:                                ;   in Loop: Header=BB111_3 Depth=1
	v_add_co_u32 v3, vcc_lo, v55, v3
	v_add_co_ci_u32_e64 v4, null, 0, v56, vcc_lo
	v_mov_b32_e32 v57, 0
	v_add_co_u32 v3, vcc_lo, 0xffffffc1, v3
	v_add_co_ci_u32_e64 v4, null, -1, v4, vcc_lo
	v_mov_b32_e32 v58, 0
	s_mov_b32 s30, exec_lo
	v_cmpx_gt_i64_e64 s[8:9], v[3:4]
	s_cbranch_execz .LBB111_7
; %bb.6:                                ;   in Loop: Header=BB111_3 Depth=1
	v_lshlrev_b64 v[3:4], 2, v[3:4]
	v_add_co_u32 v5, vcc_lo, s16, v3
	v_add_co_ci_u32_e64 v6, null, s17, v4, vcc_lo
	v_add_co_u32 v3, vcc_lo, s18, v3
	v_add_co_ci_u32_e64 v4, null, s19, v4, vcc_lo
	global_load_dword v57, v[5:6], off
	global_load_dword v58, v[3:4], off
.LBB111_7:                              ;   in Loop: Header=BB111_3 Depth=1
	s_or_b32 exec_lo, exec_lo, s30
.LBB111_8:                              ;   in Loop: Header=BB111_3 Depth=1
	s_or_b32 exec_lo, exec_lo, s1
	v_add_co_u32 v10, vcc_lo, 0xffffffc1, v55
	v_add_co_ci_u32_e64 v11, null, -1, v56, vcc_lo
	v_mov_b32_e32 v9, v2
	v_mov_b32_e32 v3, v2
	;; [unrolled: 1-line block ×7, first 2 shown]
	v_cmp_gt_i64_e32 vcc_lo, s[8:9], v[10:11]
	v_mov_b32_e32 v18, v9
	v_mov_b32_e32 v15, v6
	;; [unrolled: 1-line block ×16, first 2 shown]
	s_and_b32 s30, s0, vcc_lo
	s_and_saveexec_b32 s1, s30
	s_cbranch_execz .LBB111_10
; %bb.9:                                ;   in Loop: Header=BB111_3 Depth=1
	v_add_co_u32 v3, vcc_lo, v22, v19
	v_add_co_ci_u32_e64 v4, null, v23, v20, vcc_lo
	v_add_co_u32 v5, vcc_lo, v24, v19
	v_add_co_ci_u32_e64 v6, null, v25, v20, vcc_lo
	global_load_ushort v3, v[3:4], off
	global_load_ushort v11, v[5:6], off
	v_mov_b32_e32 v4, v2
	v_mov_b32_e32 v5, v2
	;; [unrolled: 1-line block ×14, first 2 shown]
	s_waitcnt vmcnt(1)
	v_lshlrev_b32_e32 v3, 16, v3
	s_waitcnt vmcnt(0)
	v_lshlrev_b32_e32 v11, 16, v11
.LBB111_10:                             ;   in Loop: Header=BB111_3 Depth=1
	s_or_b32 exec_lo, exec_lo, s1
	v_add_co_u32 v59, vcc_lo, 0xffffffc2, v55
	v_add_co_ci_u32_e64 v60, null, -1, v56, vcc_lo
	v_cmp_gt_i64_e32 vcc_lo, s[8:9], v[59:60]
	s_and_b32 s30, s0, vcc_lo
	s_and_saveexec_b32 s1, s30
	s_cbranch_execz .LBB111_12
; %bb.11:                               ;   in Loop: Header=BB111_3 Depth=1
	v_add_co_u32 v59, vcc_lo, v50, v19
	v_add_co_ci_u32_e64 v60, null, v51, v20, vcc_lo
	v_add_co_u32 v63, vcc_lo, v52, v19
	v_add_co_ci_u32_e64 v64, null, v53, v20, vcc_lo
	global_load_ushort v4, v[59:60], off
	global_load_ushort v12, v[63:64], off
	s_waitcnt vmcnt(1)
	v_lshlrev_b32_e32 v4, 16, v4
	s_waitcnt vmcnt(0)
	v_lshlrev_b32_e32 v12, 16, v12
.LBB111_12:                             ;   in Loop: Header=BB111_3 Depth=1
	s_or_b32 exec_lo, exec_lo, s1
	v_add_co_u32 v59, vcc_lo, 0xffffffc3, v55
	v_add_co_ci_u32_e64 v60, null, -1, v56, vcc_lo
	v_cmp_gt_i64_e32 vcc_lo, s[8:9], v[59:60]
	s_and_b32 s30, s0, vcc_lo
	s_and_saveexec_b32 s1, s30
	s_cbranch_execz .LBB111_14
; %bb.13:                               ;   in Loop: Header=BB111_3 Depth=1
	v_add_co_u32 v59, vcc_lo, v46, v19
	v_add_co_ci_u32_e64 v60, null, v47, v20, vcc_lo
	v_add_co_u32 v63, vcc_lo, v48, v19
	v_add_co_ci_u32_e64 v64, null, v49, v20, vcc_lo
	global_load_ushort v5, v[59:60], off
	global_load_ushort v13, v[63:64], off
	s_waitcnt vmcnt(1)
	v_lshlrev_b32_e32 v5, 16, v5
	s_waitcnt vmcnt(0)
	v_lshlrev_b32_e32 v13, 16, v13
.LBB111_14:                             ;   in Loop: Header=BB111_3 Depth=1
	;; [unrolled: 19-line block ×7, first 2 shown]
	s_or_b32 exec_lo, exec_lo, s1
	s_waitcnt vmcnt(1)
	ds_bpermute_b32 v59, v2, v57
	ds_bpermute_b32 v60, v2, v57 offset:4
	ds_bpermute_b32 v61, v2, v57 offset:8
	s_waitcnt vmcnt(0)
	ds_bpermute_b32 v63, v2, v58
	ds_bpermute_b32 v64, v2, v57 offset:12
	ds_bpermute_b32 v65, v2, v58 offset:4
	;; [unrolled: 1-line block ×7, first 2 shown]
	s_mov_b32 s1, 0
	s_waitcnt lgkmcnt(10)
	v_sub_f32_e32 v11, v11, v59
	v_add_f32_e32 v59, v62, v3
	s_waitcnt lgkmcnt(9)
	v_sub_f32_e32 v12, v12, v60
	ds_bpermute_b32 v60, v2, v58 offset:16
	s_waitcnt lgkmcnt(9)
	v_sub_f32_e32 v13, v13, v61
	v_mul_f32_e32 v3, v3, v11
	ds_bpermute_b32 v61, v2, v58 offset:20
	v_mul_f32_e32 v12, v4, v12
	v_add_f32_e32 v4, v4, v59
	v_mul_f32_e32 v13, v5, v13
	s_waitcnt lgkmcnt(9)
	v_fma_f32 v11, v3, v63, v54
	s_waitcnt lgkmcnt(8)
	v_sub_f32_e32 v3, v14, v64
	ds_bpermute_b32 v63, v2, v58 offset:24
	v_add_f32_e32 v4, v5, v4
	ds_bpermute_b32 v58, v2, v58 offset:28
	s_waitcnt lgkmcnt(9)
	v_fmac_f32_e32 v11, v12, v65
	s_waitcnt lgkmcnt(8)
	v_sub_f32_e32 v12, v15, v66
	v_mul_f32_e32 v14, v6, v3
	ds_bpermute_b32 v3, v2, v57 offset:28
	s_waitcnt lgkmcnt(6)
	v_sub_f32_e32 v5, v16, v69
	v_fmac_f32_e32 v11, v13, v67
	v_mul_f32_e32 v12, v7, v12
	v_add_f32_e32 v4, v6, v4
	s_waitcnt lgkmcnt(5)
	v_sub_f32_e32 v6, v17, v70
	v_mul_f32_e32 v5, v8, v5
	v_fmac_f32_e32 v11, v14, v68
	v_add_f32_e32 v4, v7, v4
	v_mul_f32_e32 v6, v9, v6
	s_waitcnt lgkmcnt(4)
	v_fmac_f32_e32 v11, v12, v60
	v_add_f32_e32 v4, v8, v4
	s_waitcnt lgkmcnt(3)
	v_fmac_f32_e32 v11, v5, v61
	v_add_f32_e32 v4, v9, v4
	s_waitcnt lgkmcnt(2)
	v_fmac_f32_e32 v11, v6, v63
.LBB111_25:                             ;   in Loop: Header=BB111_3 Depth=1
	s_and_b32 vcc_lo, exec_lo, s1
	s_cbranch_vccz .LBB111_40
; %bb.26:                               ;   in Loop: Header=BB111_3 Depth=1
	s_load_dword s1, s[20:21], 0x0
	s_waitcnt lgkmcnt(0)
	v_mov_b32_e32 v58, 0
	v_mov_b32_e32 v57, 0
	s_cmp_lt_u32 s6, s1
	s_cselect_b32 s1, 12, 18
	s_add_u32 s30, s20, s1
	s_addc_u32 s31, s21, 0
	s_mov_b32 s1, exec_lo
	global_load_ushort v3, v2, s[30:31]
	s_waitcnt vmcnt(0)
	v_mad_u32_u24 v3, v1, v3, v0
	v_and_b32_e32 v3, 31, v3
	v_cmpx_gt_u32_e32 8, v3
	s_cbranch_execz .LBB111_30
; %bb.27:                               ;   in Loop: Header=BB111_3 Depth=1
	v_add_co_u32 v3, vcc_lo, v55, v3
	v_add_co_ci_u32_e64 v4, null, 0, v56, vcc_lo
	v_mov_b32_e32 v57, 0
	v_add_co_u32 v3, vcc_lo, 0xffffffc1, v3
	v_add_co_ci_u32_e64 v4, null, -1, v4, vcc_lo
	v_mov_b32_e32 v58, 0
	s_mov_b32 s30, exec_lo
	v_cmpx_gt_i64_e64 s[8:9], v[3:4]
	s_cbranch_execz .LBB111_29
; %bb.28:                               ;   in Loop: Header=BB111_3 Depth=1
	v_lshlrev_b64 v[3:4], 2, v[3:4]
	v_add_co_u32 v5, vcc_lo, s16, v3
	v_add_co_ci_u32_e64 v6, null, s17, v4, vcc_lo
	v_add_co_u32 v3, vcc_lo, s18, v3
	v_add_co_ci_u32_e64 v4, null, s19, v4, vcc_lo
	global_load_dword v57, v[5:6], off
	global_load_dword v58, v[3:4], off
.LBB111_29:                             ;   in Loop: Header=BB111_3 Depth=1
	s_or_b32 exec_lo, exec_lo, s30
.LBB111_30:                             ;   in Loop: Header=BB111_3 Depth=1
	s_or_b32 exec_lo, exec_lo, s1
	v_mov_b32_e32 v9, v2
	v_mov_b32_e32 v3, v2
	;; [unrolled: 1-line block ×23, first 2 shown]
	s_and_saveexec_b32 s1, s0
	s_cbranch_execnz .LBB111_42
; %bb.31:                               ;   in Loop: Header=BB111_3 Depth=1
	s_or_b32 exec_lo, exec_lo, s1
	s_and_saveexec_b32 s1, s0
	s_cbranch_execnz .LBB111_43
.LBB111_32:                             ;   in Loop: Header=BB111_3 Depth=1
	s_or_b32 exec_lo, exec_lo, s1
	s_and_saveexec_b32 s1, s0
	s_cbranch_execnz .LBB111_44
.LBB111_33:                             ;   in Loop: Header=BB111_3 Depth=1
	s_or_b32 exec_lo, exec_lo, s1
	s_and_saveexec_b32 s1, s0
	s_cbranch_execnz .LBB111_45
.LBB111_34:                             ;   in Loop: Header=BB111_3 Depth=1
	s_or_b32 exec_lo, exec_lo, s1
	s_and_saveexec_b32 s1, s0
	s_cbranch_execnz .LBB111_46
.LBB111_35:                             ;   in Loop: Header=BB111_3 Depth=1
	s_or_b32 exec_lo, exec_lo, s1
	s_and_saveexec_b32 s1, s0
	s_cbranch_execnz .LBB111_47
.LBB111_36:                             ;   in Loop: Header=BB111_3 Depth=1
	s_or_b32 exec_lo, exec_lo, s1
	s_and_saveexec_b32 s1, s0
	s_cbranch_execnz .LBB111_48
.LBB111_37:                             ;   in Loop: Header=BB111_3 Depth=1
	s_or_b32 exec_lo, exec_lo, s1
	s_and_saveexec_b32 s1, s0
	s_cbranch_execz .LBB111_39
.LBB111_38:                             ;   in Loop: Header=BB111_3 Depth=1
	v_add_co_u32 v55, vcc_lo, v26, v19
	v_add_co_ci_u32_e64 v56, null, v27, v20, vcc_lo
	v_add_co_u32 v59, vcc_lo, v28, v19
	v_add_co_ci_u32_e64 v60, null, v29, v20, vcc_lo
	global_load_ushort v10, v[55:56], off
	global_load_ushort v18, v[59:60], off
	s_waitcnt vmcnt(1)
	v_lshlrev_b32_e32 v10, 16, v10
	s_waitcnt vmcnt(0)
	v_lshlrev_b32_e32 v18, 16, v18
.LBB111_39:                             ;   in Loop: Header=BB111_3 Depth=1
	s_or_b32 exec_lo, exec_lo, s1
	s_waitcnt vmcnt(1)
	ds_bpermute_b32 v55, v2, v57
	ds_bpermute_b32 v56, v2, v57 offset:4
	ds_bpermute_b32 v59, v2, v57 offset:8
	s_waitcnt vmcnt(0)
	ds_bpermute_b32 v60, v2, v58
	ds_bpermute_b32 v61, v2, v57 offset:12
	ds_bpermute_b32 v63, v2, v58 offset:4
	;; [unrolled: 1-line block ×5, first 2 shown]
	s_waitcnt lgkmcnt(8)
	v_sub_f32_e32 v11, v11, v55
	ds_bpermute_b32 v55, v2, v58 offset:12
	s_waitcnt lgkmcnt(8)
	v_sub_f32_e32 v12, v12, v56
	ds_bpermute_b32 v56, v2, v58 offset:16
	s_waitcnt lgkmcnt(8)
	v_sub_f32_e32 v13, v13, v59
	v_mul_f32_e32 v11, v3, v11
	v_add_f32_e32 v3, v62, v3
	v_mul_f32_e32 v12, v4, v12
	ds_bpermute_b32 v59, v2, v58 offset:20
	s_waitcnt lgkmcnt(7)
	v_sub_f32_e32 v14, v14, v61
	v_fmac_f32_e32 v54, v11, v60
	ds_bpermute_b32 v11, v2, v57 offset:24
	v_mul_f32_e32 v13, v5, v13
	v_add_f32_e32 v3, v4, v3
	s_waitcnt lgkmcnt(6)
	v_sub_f32_e32 v4, v15, v64
	v_fmac_f32_e32 v54, v12, v63
	v_mul_f32_e32 v12, v6, v14
	s_waitcnt lgkmcnt(4)
	v_sub_f32_e32 v14, v16, v66
	v_add_f32_e32 v5, v5, v3
	v_mul_f32_e32 v4, v7, v4
	v_fmac_f32_e32 v54, v13, v65
	ds_bpermute_b32 v13, v2, v58 offset:24
	ds_bpermute_b32 v58, v2, v58 offset:28
	;; [unrolled: 1-line block ×3, first 2 shown]
	v_add_f32_e32 v5, v6, v5
	s_waitcnt lgkmcnt(6)
	v_fmac_f32_e32 v54, v12, v55
	v_mul_f32_e32 v6, v8, v14
	v_add_f32_e32 v5, v7, v5
	s_waitcnt lgkmcnt(5)
	v_fmac_f32_e32 v54, v4, v56
	s_waitcnt lgkmcnt(3)
	v_sub_f32_e32 v4, v17, v11
	v_add_f32_e32 v5, v8, v5
	v_fmac_f32_e32 v54, v6, v59
	v_mul_f32_e32 v4, v9, v4
	s_waitcnt lgkmcnt(2)
	v_fmac_f32_e32 v54, v4, v13
	v_add_f32_e32 v4, v9, v5
	v_mov_b32_e32 v11, v54
.LBB111_40:                             ;   in Loop: Header=BB111_3 Depth=1
	v_add_co_u32 v22, vcc_lo, v22, s22
	v_add_co_ci_u32_e64 v23, null, s23, v23, vcc_lo
	v_add_co_u32 v24, vcc_lo, v24, s22
	v_add_co_ci_u32_e64 v25, null, s23, v25, vcc_lo
	;; [unrolled: 2-line block ×10, first 2 shown]
	v_add_co_u32 v42, vcc_lo, v42, s22
	s_waitcnt lgkmcnt(0)
	v_sub_f32_e32 v3, v18, v3
	v_add_co_ci_u32_e64 v43, null, s23, v43, vcc_lo
	v_add_co_u32 v44, vcc_lo, v44, s22
	v_add_co_ci_u32_e64 v45, null, s23, v45, vcc_lo
	v_add_co_u32 v46, vcc_lo, v46, s22
	s_add_u32 s26, s26, s29
	v_add_co_ci_u32_e64 v47, null, s23, v47, vcc_lo
	v_add_co_u32 v48, vcc_lo, v48, s22
	v_mul_f32_e32 v3, v10, v3
	s_addc_u32 s27, s27, 0
	v_add_co_ci_u32_e64 v49, null, s23, v49, vcc_lo
	v_add_co_u32 v50, vcc_lo, v50, s22
	v_cmp_lt_i64_e64 s1, s[26:27], s[8:9]
	v_add_co_ci_u32_e64 v51, null, s23, v51, vcc_lo
	v_add_co_u32 v52, vcc_lo, v52, s22
	v_add_f32_e32 v62, v4, v10
	v_fmac_f32_e32 v11, v3, v58
	v_add_co_ci_u32_e64 v53, null, s23, v53, vcc_lo
	s_add_u32 s24, s24, s29
	s_addc_u32 s25, s25, 0
	s_and_b32 vcc_lo, exec_lo, s1
	s_cbranch_vccz .LBB111_50
; %bb.41:                               ;   in Loop: Header=BB111_3 Depth=1
	v_mov_b32_e32 v54, v11
	s_branch .LBB111_3
.LBB111_42:                             ;   in Loop: Header=BB111_3 Depth=1
	v_add_co_u32 v3, vcc_lo, v22, v19
	v_add_co_ci_u32_e64 v4, null, v23, v20, vcc_lo
	v_add_co_u32 v5, vcc_lo, v24, v19
	v_add_co_ci_u32_e64 v6, null, v25, v20, vcc_lo
	global_load_ushort v3, v[3:4], off
	global_load_ushort v11, v[5:6], off
	v_mov_b32_e32 v4, v2
	v_mov_b32_e32 v5, v2
	;; [unrolled: 1-line block ×14, first 2 shown]
	s_waitcnt vmcnt(1)
	v_lshlrev_b32_e32 v3, 16, v3
	s_waitcnt vmcnt(0)
	v_lshlrev_b32_e32 v11, 16, v11
	s_or_b32 exec_lo, exec_lo, s1
	s_and_saveexec_b32 s1, s0
	s_cbranch_execz .LBB111_32
.LBB111_43:                             ;   in Loop: Header=BB111_3 Depth=1
	v_add_co_u32 v55, vcc_lo, v50, v19
	v_add_co_ci_u32_e64 v56, null, v51, v20, vcc_lo
	v_add_co_u32 v59, vcc_lo, v52, v19
	v_add_co_ci_u32_e64 v60, null, v53, v20, vcc_lo
	global_load_ushort v4, v[55:56], off
	global_load_ushort v12, v[59:60], off
	s_waitcnt vmcnt(1)
	v_lshlrev_b32_e32 v4, 16, v4
	s_waitcnt vmcnt(0)
	v_lshlrev_b32_e32 v12, 16, v12
	s_or_b32 exec_lo, exec_lo, s1
	s_and_saveexec_b32 s1, s0
	s_cbranch_execz .LBB111_33
.LBB111_44:                             ;   in Loop: Header=BB111_3 Depth=1
	v_add_co_u32 v55, vcc_lo, v46, v19
	v_add_co_ci_u32_e64 v56, null, v47, v20, vcc_lo
	v_add_co_u32 v59, vcc_lo, v48, v19
	v_add_co_ci_u32_e64 v60, null, v49, v20, vcc_lo
	global_load_ushort v5, v[55:56], off
	global_load_ushort v13, v[59:60], off
	s_waitcnt vmcnt(1)
	v_lshlrev_b32_e32 v5, 16, v5
	s_waitcnt vmcnt(0)
	v_lshlrev_b32_e32 v13, 16, v13
	s_or_b32 exec_lo, exec_lo, s1
	s_and_saveexec_b32 s1, s0
	s_cbranch_execz .LBB111_34
.LBB111_45:                             ;   in Loop: Header=BB111_3 Depth=1
	v_add_co_u32 v55, vcc_lo, v42, v19
	v_add_co_ci_u32_e64 v56, null, v43, v20, vcc_lo
	v_add_co_u32 v59, vcc_lo, v44, v19
	v_add_co_ci_u32_e64 v60, null, v45, v20, vcc_lo
	global_load_ushort v6, v[55:56], off
	global_load_ushort v14, v[59:60], off
	s_waitcnt vmcnt(1)
	v_lshlrev_b32_e32 v6, 16, v6
	s_waitcnt vmcnt(0)
	v_lshlrev_b32_e32 v14, 16, v14
	s_or_b32 exec_lo, exec_lo, s1
	s_and_saveexec_b32 s1, s0
	s_cbranch_execz .LBB111_35
.LBB111_46:                             ;   in Loop: Header=BB111_3 Depth=1
	v_add_co_u32 v55, vcc_lo, v38, v19
	v_add_co_ci_u32_e64 v56, null, v39, v20, vcc_lo
	v_add_co_u32 v59, vcc_lo, v40, v19
	v_add_co_ci_u32_e64 v60, null, v41, v20, vcc_lo
	global_load_ushort v7, v[55:56], off
	global_load_ushort v15, v[59:60], off
	s_waitcnt vmcnt(1)
	v_lshlrev_b32_e32 v7, 16, v7
	s_waitcnt vmcnt(0)
	v_lshlrev_b32_e32 v15, 16, v15
	s_or_b32 exec_lo, exec_lo, s1
	s_and_saveexec_b32 s1, s0
	s_cbranch_execz .LBB111_36
.LBB111_47:                             ;   in Loop: Header=BB111_3 Depth=1
	v_add_co_u32 v55, vcc_lo, v34, v19
	v_add_co_ci_u32_e64 v56, null, v35, v20, vcc_lo
	v_add_co_u32 v59, vcc_lo, v36, v19
	v_add_co_ci_u32_e64 v60, null, v37, v20, vcc_lo
	global_load_ushort v8, v[55:56], off
	global_load_ushort v16, v[59:60], off
	s_waitcnt vmcnt(1)
	v_lshlrev_b32_e32 v8, 16, v8
	s_waitcnt vmcnt(0)
	v_lshlrev_b32_e32 v16, 16, v16
	s_or_b32 exec_lo, exec_lo, s1
	s_and_saveexec_b32 s1, s0
	s_cbranch_execz .LBB111_37
.LBB111_48:                             ;   in Loop: Header=BB111_3 Depth=1
	v_add_co_u32 v55, vcc_lo, v30, v19
	v_add_co_ci_u32_e64 v56, null, v31, v20, vcc_lo
	v_add_co_u32 v59, vcc_lo, v32, v19
	v_add_co_ci_u32_e64 v60, null, v33, v20, vcc_lo
	global_load_ushort v9, v[55:56], off
	global_load_ushort v17, v[59:60], off
	s_waitcnt vmcnt(1)
	v_lshlrev_b32_e32 v9, 16, v9
	s_waitcnt vmcnt(0)
	v_lshlrev_b32_e32 v17, 16, v17
	s_or_b32 exec_lo, exec_lo, s1
	s_and_saveexec_b32 s1, s0
	s_cbranch_execnz .LBB111_38
	s_branch .LBB111_39
.LBB111_49:
                                        ; implicit-def: $vgpr11
                                        ; implicit-def: $vgpr62
	s_branch .LBB111_51
.LBB111_50:
	s_cbranch_execnz .LBB111_83
.LBB111_51:
	v_mov_b32_e32 v11, 0
	v_mov_b32_e32 v62, 0
	s_andn2_b32 vcc_lo, exec_lo, s7
	s_cbranch_vccnz .LBB111_83
; %bb.52:
	s_load_dword s0, s[4:5], 0x44
	v_lshlrev_b32_e32 v49, 3, v1
	s_add_u32 s20, s4, 64
	s_addc_u32 s21, s5, 0
	v_lshlrev_b32_e32 v6, 4, v1
	v_mov_b32_e32 v84, 0
	v_add_co_u32 v10, s1, v49, s2
	v_add_co_ci_u32_e64 v11, null, 0, 0, s1
	v_mov_b32_e32 v83, 0
	v_mul_lo_u32 v4, s11, v10
	v_mad_u64_u32 v[2:3], null, s10, v10, 0
	v_mul_lo_u32 v5, s10, v11
	s_waitcnt lgkmcnt(0)
	s_lshl_b32 s1, s0, 6
	v_add3_u32 v3, v3, v5, v4
	s_mul_i32 s0, s11, s1
	s_mul_hi_u32 s7, s10, s1
	s_mul_i32 s22, s10, s1
	s_add_i32 s23, s7, s0
	v_lshlrev_b64 v[4:5], 1, v[2:3]
	s_lshl_b64 s[22:23], s[22:23], 1
	s_add_u32 s24, s2, 63
	s_addc_u32 s25, 0, 0
	s_lshl_b64 s[26:27], s[2:3], 1
	v_add_co_u32 v6, s0, v6, s26
	v_add_co_ci_u32_e64 v7, null, 0, s27, s0
	v_add_co_u32 v8, vcc_lo, v6, 2
	v_add_co_ci_u32_e64 v9, null, 0, v7, vcc_lo
	v_add_co_u32 v50, vcc_lo, s12, v4
	v_add_co_ci_u32_e64 v51, null, s13, v5, vcc_lo
	;; [unrolled: 2-line block ×6, first 2 shown]
	v_add_co_u32 v41, vcc_lo, v6, 10
	v_mad_u64_u32 v[21:22], null, s10, v4, s[12:13]
	v_mul_lo_u32 v5, s10, v5
	v_mul_lo_u32 v15, s11, v4
	v_mad_u64_u32 v[35:36], null, s10, v4, s[14:15]
	v_add_co_ci_u32_e64 v29, null, 0, v7, vcc_lo
	v_add_co_u32 v43, vcc_lo, v6, 12
	v_add_co_ci_u32_e64 v31, null, 0, v7, vcc_lo
	v_add_co_u32 v6, vcc_lo, v6, 14
	v_mad_u64_u32 v[19:20], null, s10, v8, s[12:13]
	v_mul_lo_u32 v9, s10, v9
	v_mul_lo_u32 v12, s11, v8
	v_mad_u64_u32 v[33:34], null, s10, v8, s[14:15]
	v_add_co_ci_u32_e64 v7, null, 0, v7, vcc_lo
	v_add_co_u32 v4, vcc_lo, v10, 7
	v_add3_u32 v22, v15, v22, v5
	v_add3_u32 v36, v15, v36, v5
	v_add_co_ci_u32_e64 v5, null, 0, v11, vcc_lo
	v_mul_lo_u32 v57, s10, v7
	v_add_co_u32 v7, vcc_lo, v10, 6
	v_add3_u32 v20, v12, v20, v9
	v_add3_u32 v34, v12, v34, v9
	v_add_co_ci_u32_e64 v12, null, 0, v11, vcc_lo
	v_mul_lo_u32 v8, s11, v4
	v_mul_lo_u32 v9, s10, v5
	v_mad_u64_u32 v[4:5], null, s10, v4, 0
	v_mad_u64_u32 v[23:24], null, s10, v13, s[12:13]
	v_mul_lo_u32 v17, s11, v13
	v_mul_lo_u32 v55, s10, v31
	v_mad_u64_u32 v[31:32], null, s10, v6, s[12:13]
	v_mul_lo_u32 v58, s11, v6
	v_mad_u64_u32 v[37:38], null, s10, v13, s[14:15]
	v_mad_u64_u32 v[45:46], null, s10, v6, s[14:15]
	v_mul_lo_u32 v13, s11, v7
	v_mul_lo_u32 v12, s10, v12
	v_mad_u64_u32 v[6:7], null, s10, v7, 0
	v_add3_u32 v5, v5, v9, v8
	v_add_co_u32 v8, vcc_lo, v10, 5
	v_mad_u64_u32 v[27:28], null, s10, v41, s[12:13]
	v_mul_lo_u32 v48, s10, v29
	v_mul_lo_u32 v54, s11, v41
	v_mad_u64_u32 v[41:42], null, s10, v41, s[14:15]
	v_add3_u32 v7, v7, v12, v13
	v_add_co_ci_u32_e64 v9, null, 0, v11, vcc_lo
	v_mad_u64_u32 v[29:30], null, s10, v43, s[12:13]
	v_mul_lo_u32 v56, s11, v43
	v_mad_u64_u32 v[43:44], null, s10, v43, s[14:15]
	v_lshlrev_b64 v[4:5], 1, v[4:5]
	v_lshlrev_b64 v[6:7], 1, v[6:7]
	v_mul_lo_u32 v12, s11, v8
	v_mul_lo_u32 v13, s10, v9
	v_mad_u64_u32 v[8:9], null, s10, v8, 0
	v_add3_u32 v28, v54, v28, v48
	v_add3_u32 v42, v54, v42, v48
	v_add_co_u32 v54, vcc_lo, s12, v4
	v_add3_u32 v30, v56, v30, v55
	v_add3_u32 v44, v56, v44, v55
	v_add_co_ci_u32_e64 v55, null, s13, v5, vcc_lo
	v_add_co_u32 v56, vcc_lo, s14, v4
	v_add3_u32 v32, v58, v32, v57
	v_add3_u32 v46, v58, v46, v57
	v_add_co_ci_u32_e64 v57, null, s15, v5, vcc_lo
	v_add_co_u32 v58, vcc_lo, s12, v6
	v_add_co_ci_u32_e64 v59, null, s13, v7, vcc_lo
	v_add3_u32 v9, v9, v13, v12
	v_add_co_u32 v12, vcc_lo, v10, 4
	v_add_co_ci_u32_e64 v13, null, 0, v11, vcc_lo
	v_add_co_u32 v60, vcc_lo, s14, v6
	v_add_co_ci_u32_e64 v61, null, s15, v7, vcc_lo
	v_lshlrev_b64 v[4:5], 1, v[8:9]
	v_mul_lo_u32 v8, s11, v12
	v_mul_lo_u32 v9, s10, v13
	v_mad_u64_u32 v[6:7], null, s10, v12, 0
	v_mul_lo_u32 v14, s10, v14
	v_add_co_u32 v12, vcc_lo, v10, 3
	v_add_co_ci_u32_e64 v13, null, 0, v11, vcc_lo
	v_add_co_u32 v63, vcc_lo, s12, v4
	v_add_co_ci_u32_e64 v64, null, s13, v5, vcc_lo
	v_add3_u32 v7, v7, v9, v8
	v_add_co_u32 v10, vcc_lo, v10, 2
	v_add3_u32 v24, v17, v24, v14
	v_add3_u32 v38, v17, v38, v14
	v_mul_lo_u32 v14, s11, v12
	v_mul_lo_u32 v13, s10, v13
	v_mad_u64_u32 v[8:9], null, s10, v12, 0
	v_add_co_ci_u32_e64 v11, null, 0, v11, vcc_lo
	v_add_co_u32 v65, vcc_lo, s14, v4
	v_add_co_ci_u32_e64 v66, null, s15, v5, vcc_lo
	v_lshlrev_b64 v[4:5], 1, v[6:7]
	v_mul_lo_u32 v12, s11, v10
	v_mul_lo_u32 v11, s10, v11
	v_mad_u64_u32 v[6:7], null, s10, v10, 0
	v_add3_u32 v9, v9, v13, v14
	v_add_co_u32 v67, vcc_lo, s12, v4
	v_add_co_ci_u32_e64 v68, null, s13, v5, vcc_lo
	v_add_co_u32 v69, vcc_lo, s14, v4
	v_add_co_ci_u32_e64 v70, null, s15, v5, vcc_lo
	v_lshlrev_b64 v[4:5], 1, v[8:9]
	v_add3_u32 v7, v7, v11, v12
	v_add_co_u32 v2, vcc_lo, v2, s10
	v_add_co_ci_u32_e64 v3, null, s11, v3, vcc_lo
	v_lshlrev_b64 v[6:7], 1, v[6:7]
	v_add_co_u32 v71, vcc_lo, s12, v4
	v_add_co_ci_u32_e64 v72, null, s13, v5, vcc_lo
	v_add_co_u32 v73, vcc_lo, s14, v4
	v_lshlrev_b64 v[3:4], 1, v[2:3]
	v_mov_b32_e32 v2, 0
	v_mad_u64_u32 v[25:26], null, s10, v16, s[12:13]
	v_mul_lo_u32 v18, s10, v18
	v_mul_lo_u32 v47, s11, v16
	v_mad_u64_u32 v[39:40], null, s10, v16, s[14:15]
	v_add_co_ci_u32_e64 v74, null, s15, v5, vcc_lo
	v_add_co_u32 v75, vcc_lo, s12, v6
	v_add_co_ci_u32_e64 v76, null, s13, v7, vcc_lo
	v_add_co_u32 v77, vcc_lo, s14, v6
	v_add_nc_u32_e32 v5, s28, v0
	v_mov_b32_e32 v6, v2
	v_add_co_ci_u32_e64 v78, null, s15, v7, vcc_lo
	v_add_co_u32 v79, vcc_lo, s12, v3
	v_add_co_ci_u32_e64 v80, null, s13, v4, vcc_lo
	v_add_co_u32 v81, vcc_lo, s14, v3
	v_add3_u32 v26, v47, v26, v18
	v_add3_u32 v40, v47, v40, v18
	v_lshlrev_b64 v[47:48], 1, v[5:6]
	v_add_co_ci_u32_e64 v82, null, s15, v4, vcc_lo
.LBB111_53:                             ; =>This Inner Loop Header: Depth=1
	v_cmp_ge_i64_e64 s0, s[24:25], s[8:9]
	v_add_co_u32 v85, s7, v49, s24
	v_add_co_ci_u32_e64 v86, null, 0, s25, s7
                                        ; implicit-def: $vgpr62
                                        ; implicit-def: $vgpr11
	s_and_b32 vcc_lo, exec_lo, s0
	s_mov_b32 s0, -1
	s_cbranch_vccz .LBB111_75
; %bb.54:                               ;   in Loop: Header=BB111_53 Depth=1
	s_load_dword s0, s[20:21], 0xc
	v_mov_b32_e32 v87, 0
	v_mov_b32_e32 v62, 0
	s_waitcnt lgkmcnt(0)
	s_and_b32 s0, s0, 0xffff
	v_mad_u32_u24 v3, v1, s0, v0
	s_mov_b32 s0, exec_lo
	v_and_b32_e32 v3, 31, v3
	v_cmpx_gt_u32_e32 8, v3
	s_cbranch_execz .LBB111_58
; %bb.55:                               ;   in Loop: Header=BB111_53 Depth=1
	v_add_co_u32 v3, vcc_lo, v85, v3
	v_add_co_ci_u32_e64 v4, null, 0, v86, vcc_lo
	v_mov_b32_e32 v62, 0
	v_add_co_u32 v3, vcc_lo, 0xffffffc1, v3
	v_add_co_ci_u32_e64 v4, null, -1, v4, vcc_lo
	v_mov_b32_e32 v87, 0
	s_mov_b32 s7, exec_lo
	v_cmpx_gt_i64_e64 s[8:9], v[3:4]
	s_cbranch_execz .LBB111_57
; %bb.56:                               ;   in Loop: Header=BB111_53 Depth=1
	v_lshlrev_b64 v[3:4], 2, v[3:4]
	v_add_co_u32 v5, vcc_lo, s16, v3
	v_add_co_ci_u32_e64 v6, null, s17, v4, vcc_lo
	v_add_co_u32 v3, vcc_lo, s18, v3
	v_add_co_ci_u32_e64 v4, null, s19, v4, vcc_lo
	global_load_dword v62, v[5:6], off
	global_load_dword v87, v[3:4], off
.LBB111_57:                             ;   in Loop: Header=BB111_53 Depth=1
	s_or_b32 exec_lo, exec_lo, s7
.LBB111_58:                             ;   in Loop: Header=BB111_53 Depth=1
	s_or_b32 exec_lo, exec_lo, s0
	v_add_co_u32 v10, vcc_lo, 0xffffffc1, v85
	v_add_co_ci_u32_e64 v11, null, -1, v86, vcc_lo
	v_mov_b32_e32 v9, v2
	v_mov_b32_e32 v3, v2
	;; [unrolled: 1-line block ×7, first 2 shown]
	v_cmp_gt_i64_e32 vcc_lo, s[8:9], v[10:11]
	v_mov_b32_e32 v18, v9
	v_mov_b32_e32 v15, v6
	;; [unrolled: 1-line block ×16, first 2 shown]
	s_and_saveexec_b32 s0, vcc_lo
	s_cbranch_execz .LBB111_60
; %bb.59:                               ;   in Loop: Header=BB111_53 Depth=1
	v_add_co_u32 v3, vcc_lo, v50, v47
	v_add_co_ci_u32_e64 v4, null, v51, v48, vcc_lo
	v_add_co_u32 v5, vcc_lo, v52, v47
	v_add_co_ci_u32_e64 v6, null, v53, v48, vcc_lo
	global_load_ushort v3, v[3:4], off
	global_load_ushort v11, v[5:6], off
	v_mov_b32_e32 v4, v2
	v_mov_b32_e32 v5, v2
	;; [unrolled: 1-line block ×14, first 2 shown]
	s_waitcnt vmcnt(1)
	v_lshlrev_b32_e32 v3, 16, v3
	s_waitcnt vmcnt(0)
	v_lshlrev_b32_e32 v11, 16, v11
.LBB111_60:                             ;   in Loop: Header=BB111_53 Depth=1
	s_or_b32 exec_lo, exec_lo, s0
	v_add_co_u32 v88, vcc_lo, 0xffffffc2, v85
	v_add_co_ci_u32_e64 v89, null, -1, v86, vcc_lo
	s_mov_b32 s0, exec_lo
	v_cmpx_gt_i64_e64 s[8:9], v[88:89]
	s_cbranch_execz .LBB111_62
; %bb.61:                               ;   in Loop: Header=BB111_53 Depth=1
	v_add_co_u32 v88, vcc_lo, v79, v47
	v_add_co_ci_u32_e64 v89, null, v80, v48, vcc_lo
	v_add_co_u32 v90, vcc_lo, v81, v47
	v_add_co_ci_u32_e64 v91, null, v82, v48, vcc_lo
	global_load_ushort v4, v[88:89], off
	global_load_ushort v12, v[90:91], off
	s_waitcnt vmcnt(1)
	v_lshlrev_b32_e32 v4, 16, v4
	s_waitcnt vmcnt(0)
	v_lshlrev_b32_e32 v12, 16, v12
.LBB111_62:                             ;   in Loop: Header=BB111_53 Depth=1
	s_or_b32 exec_lo, exec_lo, s0
	v_add_co_u32 v88, vcc_lo, 0xffffffc3, v85
	v_add_co_ci_u32_e64 v89, null, -1, v86, vcc_lo
	s_mov_b32 s0, exec_lo
	v_cmpx_gt_i64_e64 s[8:9], v[88:89]
	s_cbranch_execz .LBB111_64
; %bb.63:                               ;   in Loop: Header=BB111_53 Depth=1
	v_add_co_u32 v88, vcc_lo, v75, v47
	v_add_co_ci_u32_e64 v89, null, v76, v48, vcc_lo
	v_add_co_u32 v90, vcc_lo, v77, v47
	v_add_co_ci_u32_e64 v91, null, v78, v48, vcc_lo
	global_load_ushort v5, v[88:89], off
	global_load_ushort v13, v[90:91], off
	s_waitcnt vmcnt(1)
	v_lshlrev_b32_e32 v5, 16, v5
	s_waitcnt vmcnt(0)
	v_lshlrev_b32_e32 v13, 16, v13
.LBB111_64:                             ;   in Loop: Header=BB111_53 Depth=1
	;; [unrolled: 18-line block ×7, first 2 shown]
	s_or_b32 exec_lo, exec_lo, s0
	s_waitcnt vmcnt(1)
	ds_bpermute_b32 v89, v2, v62
	s_waitcnt vmcnt(0)
	ds_bpermute_b32 v88, v2, v87
	s_mov_b32 s0, 0
	s_waitcnt lgkmcnt(1)
	v_sub_f32_e32 v11, v11, v89
	ds_bpermute_b32 v89, v2, v62 offset:4
	v_mul_f32_e32 v11, v3, v11
	v_add_f32_e32 v3, v84, v3
	s_waitcnt lgkmcnt(1)
	v_fma_f32 v11, v11, v88, v83
	ds_bpermute_b32 v88, v2, v87 offset:4
	v_add_f32_e32 v3, v4, v3
	v_add_f32_e32 v3, v5, v3
	s_waitcnt lgkmcnt(1)
	v_sub_f32_e32 v12, v12, v89
	v_add_f32_e32 v3, v6, v3
	v_mul_f32_e32 v12, v4, v12
	ds_bpermute_b32 v4, v2, v87 offset:8
	v_add_f32_e32 v3, v7, v3
	s_waitcnt lgkmcnt(1)
	v_fmac_f32_e32 v11, v12, v88
	ds_bpermute_b32 v12, v2, v62 offset:8
	v_add_f32_e32 v3, v8, v3
	v_add_f32_e32 v3, v9, v3
	s_waitcnt lgkmcnt(0)
	v_sub_f32_e32 v12, v13, v12
	v_mul_f32_e32 v12, v5, v12
	ds_bpermute_b32 v5, v2, v62 offset:12
	v_fmac_f32_e32 v11, v12, v4
	ds_bpermute_b32 v4, v2, v87 offset:12
	s_waitcnt lgkmcnt(1)
	v_sub_f32_e32 v5, v14, v5
	v_mul_f32_e32 v5, v6, v5
	s_waitcnt lgkmcnt(0)
	v_fmac_f32_e32 v11, v5, v4
	ds_bpermute_b32 v5, v2, v62 offset:16
	ds_bpermute_b32 v4, v2, v87 offset:16
	s_waitcnt lgkmcnt(1)
	v_sub_f32_e32 v5, v15, v5
	v_mul_f32_e32 v5, v7, v5
	s_waitcnt lgkmcnt(0)
	v_fmac_f32_e32 v11, v5, v4
	ds_bpermute_b32 v5, v2, v62 offset:20
	;; [unrolled: 7-line block ×4, first 2 shown]
	ds_bpermute_b32 v4, v2, v87 offset:28
	v_add_f32_e32 v62, v10, v3
	s_waitcnt lgkmcnt(1)
	v_sub_f32_e32 v5, v18, v5
	v_mul_f32_e32 v5, v10, v5
	s_waitcnt lgkmcnt(0)
	v_fmac_f32_e32 v11, v5, v4
.LBB111_75:                             ;   in Loop: Header=BB111_53 Depth=1
	s_and_b32 vcc_lo, exec_lo, s0
	s_cbranch_vccz .LBB111_81
; %bb.76:                               ;   in Loop: Header=BB111_53 Depth=1
	s_load_dword s0, s[20:21], 0x0
	v_mov_b32_e32 v6, 0
	v_mov_b32_e32 v5, 0
	s_waitcnt lgkmcnt(0)
	s_cmp_lt_u32 s6, s0
	s_cselect_b32 s0, 12, 18
	s_add_u32 s12, s20, s0
	s_addc_u32 s13, s21, 0
	s_mov_b32 s0, exec_lo
	global_load_ushort v3, v2, s[12:13]
	s_waitcnt vmcnt(0)
	v_mad_u32_u24 v3, v1, v3, v0
	v_and_b32_e32 v3, 31, v3
	v_cmpx_gt_u32_e32 8, v3
	s_cbranch_execz .LBB111_80
; %bb.77:                               ;   in Loop: Header=BB111_53 Depth=1
	v_add_co_u32 v3, vcc_lo, v85, v3
	v_add_co_ci_u32_e64 v4, null, 0, v86, vcc_lo
	v_mov_b32_e32 v5, 0
	v_add_co_u32 v3, vcc_lo, 0xffffffc1, v3
	v_add_co_ci_u32_e64 v4, null, -1, v4, vcc_lo
	v_mov_b32_e32 v6, 0
	s_mov_b32 s7, exec_lo
	v_cmpx_gt_i64_e64 s[8:9], v[3:4]
	s_cbranch_execz .LBB111_79
; %bb.78:                               ;   in Loop: Header=BB111_53 Depth=1
	v_lshlrev_b64 v[3:4], 2, v[3:4]
	v_add_co_u32 v5, vcc_lo, s16, v3
	v_add_co_ci_u32_e64 v6, null, s17, v4, vcc_lo
	v_add_co_u32 v3, vcc_lo, s18, v3
	v_add_co_ci_u32_e64 v4, null, s19, v4, vcc_lo
	global_load_dword v5, v[5:6], off
	global_load_dword v6, v[3:4], off
.LBB111_79:                             ;   in Loop: Header=BB111_53 Depth=1
	s_or_b32 exec_lo, exec_lo, s7
.LBB111_80:                             ;   in Loop: Header=BB111_53 Depth=1
	s_or_b32 exec_lo, exec_lo, s0
	v_add_co_u32 v3, vcc_lo, v50, v47
	v_add_co_ci_u32_e64 v4, null, v51, v48, vcc_lo
	v_add_co_u32 v7, vcc_lo, v52, v47
	v_add_co_ci_u32_e64 v8, null, v53, v48, vcc_lo
	global_load_ushort v15, v[3:4], off
	v_add_co_u32 v3, vcc_lo, v19, v47
	v_add_co_ci_u32_e64 v4, null, v20, v48, vcc_lo
	v_add_co_u32 v9, vcc_lo, v33, v47
	v_add_co_ci_u32_e64 v10, null, v34, v48, vcc_lo
	;; [unrolled: 2-line block ×4, first 2 shown]
	global_load_ushort v16, v[7:8], off
	global_load_ushort v17, v[3:4], off
	;; [unrolled: 1-line block ×5, first 2 shown]
	v_add_co_u32 v3, vcc_lo, v23, v47
	v_add_co_ci_u32_e64 v4, null, v24, v48, vcc_lo
	v_add_co_u32 v7, vcc_lo, v37, v47
	v_add_co_ci_u32_e64 v8, null, v38, v48, vcc_lo
	;; [unrolled: 2-line block ×5, first 2 shown]
	global_load_ushort v86, v[7:8], off
	global_load_ushort v87, v[3:4], off
	;; [unrolled: 1-line block ×5, first 2 shown]
	v_add_co_u32 v3, vcc_lo, v41, v47
	v_add_co_ci_u32_e64 v4, null, v42, v48, vcc_lo
	v_add_co_u32 v7, vcc_lo, v29, v47
	v_add_co_ci_u32_e64 v8, null, v30, v48, vcc_lo
	;; [unrolled: 2-line block ×3, first 2 shown]
	global_load_ushort v13, v[3:4], off
	global_load_ushort v14, v[7:8], off
	;; [unrolled: 1-line block ×3, first 2 shown]
	v_add_co_u32 v7, s0, v45, v47
	v_add_co_u32 v3, vcc_lo, v31, v47
	v_add_co_ci_u32_e64 v8, null, v46, v48, s0
	v_add_co_ci_u32_e64 v4, null, v32, v48, vcc_lo
	global_load_ushort v7, v[7:8], off
	global_load_ushort v3, v[3:4], off
	s_waitcnt vmcnt(17)
	ds_bpermute_b32 v4, v2, v5
	s_waitcnt vmcnt(16)
	ds_bpermute_b32 v8, v2, v6
	ds_bpermute_b32 v89, v2, v5 offset:8
	ds_bpermute_b32 v90, v2, v6 offset:4
	;; [unrolled: 1-line block ×4, first 2 shown]
	s_waitcnt vmcnt(15)
	v_lshlrev_b32_e32 v15, 16, v15
	s_waitcnt vmcnt(14)
	v_lshlrev_b32_e32 v10, 16, v16
	ds_bpermute_b32 v16, v2, v5 offset:4
	s_waitcnt vmcnt(12)
	v_lshlrev_b32_e32 v18, 16, v18
	v_lshlrev_b32_e32 v17, 16, v17
	s_waitcnt vmcnt(10)
	v_lshlrev_b32_e32 v85, 16, v85
	s_waitcnt lgkmcnt(6)
	v_sub_f32_e32 v4, v10, v4
	ds_bpermute_b32 v10, v2, v5 offset:12
	v_lshlrev_b32_e32 v62, 16, v62
	s_waitcnt lgkmcnt(5)
	v_sub_f32_e32 v85, v85, v89
	v_mul_f32_e32 v4, v4, v15
	v_add_f32_e32 v15, v84, v15
	ds_bpermute_b32 v84, v2, v6 offset:20
	ds_bpermute_b32 v89, v2, v6 offset:24
	v_mul_f32_e32 v85, v85, v62
	v_fmac_f32_e32 v83, v4, v8
	ds_bpermute_b32 v8, v2, v5 offset:16
	ds_bpermute_b32 v4, v2, v6 offset:16
	;; [unrolled: 1-line block ×3, first 2 shown]
	s_waitcnt vmcnt(9)
	v_lshlrev_b32_e32 v86, 16, v86
	s_waitcnt lgkmcnt(6)
	v_sub_f32_e32 v16, v18, v16
	ds_bpermute_b32 v18, v2, v5 offset:20
	s_waitcnt vmcnt(8)
	v_lshlrev_b32_e32 v87, 16, v87
	s_waitcnt vmcnt(6)
	v_lshlrev_b32_e32 v11, 16, v11
	s_waitcnt lgkmcnt(6)
	v_sub_f32_e32 v10, v86, v10
	ds_bpermute_b32 v86, v2, v5 offset:24
	v_mul_f32_e32 v16, v16, v17
	ds_bpermute_b32 v5, v2, v5 offset:28
	v_lshlrev_b32_e32 v88, 16, v88
	v_mul_f32_e32 v10, v10, v87
	s_waitcnt vmcnt(5)
	v_lshlrev_b32_e32 v12, 16, v12
	v_fmac_f32_e32 v83, v16, v90
	s_waitcnt lgkmcnt(5)
	v_sub_f32_e32 v8, v11, v8
	s_waitcnt vmcnt(4)
	v_lshlrev_b32_e32 v13, 16, v13
	v_add_f32_e32 v11, v15, v17
	v_fmac_f32_e32 v83, v85, v91
	s_waitcnt vmcnt(2)
	v_lshlrev_b32_e32 v9, 16, v9
	v_mul_f32_e32 v8, v8, v88
	s_waitcnt lgkmcnt(2)
	v_sub_f32_e32 v13, v13, v18
	v_add_f32_e32 v11, v11, v62
	v_fmac_f32_e32 v83, v10, v92
	v_lshlrev_b32_e32 v10, 16, v14
	s_waitcnt lgkmcnt(1)
	v_sub_f32_e32 v9, v9, v86
	v_mul_f32_e32 v13, v13, v12
	v_add_f32_e32 v11, v11, v87
	v_fmac_f32_e32 v83, v8, v4
	s_waitcnt vmcnt(1)
	v_lshlrev_b32_e32 v4, 16, v7
	s_waitcnt vmcnt(0)
	v_lshlrev_b32_e32 v3, 16, v3
	v_mul_f32_e32 v7, v9, v10
	v_add_f32_e32 v8, v11, v88
	v_fmac_f32_e32 v83, v13, v84
	s_waitcnt lgkmcnt(0)
	v_sub_f32_e32 v4, v4, v5
	v_add_f32_e32 v5, v8, v12
	v_fmac_f32_e32 v83, v7, v89
	v_mul_f32_e32 v4, v4, v3
	v_add_f32_e32 v5, v5, v10
	v_fmac_f32_e32 v83, v4, v6
	v_add_f32_e32 v62, v5, v3
	v_mov_b32_e32 v11, v83
.LBB111_81:                             ;   in Loop: Header=BB111_53 Depth=1
	v_add_co_u32 v50, vcc_lo, v50, s22
	v_add_co_ci_u32_e64 v51, null, s23, v51, vcc_lo
	v_add_co_u32 v52, vcc_lo, v52, s22
	v_add_co_ci_u32_e64 v53, null, s23, v53, vcc_lo
	;; [unrolled: 2-line block ×26, first 2 shown]
	v_add_co_u32 v75, vcc_lo, v75, s22
	s_add_u32 s2, s2, s1
	v_add_co_ci_u32_e64 v76, null, s23, v76, vcc_lo
	v_add_co_u32 v77, vcc_lo, v77, s22
	s_addc_u32 s3, s3, 0
	v_add_co_ci_u32_e64 v78, null, s23, v78, vcc_lo
	v_add_co_u32 v79, vcc_lo, v79, s22
	v_cmp_ge_i64_e64 s0, s[2:3], s[8:9]
	v_add_co_ci_u32_e64 v80, null, s23, v80, vcc_lo
	v_add_co_u32 v81, vcc_lo, v81, s22
	v_add_co_ci_u32_e64 v82, null, s23, v82, vcc_lo
	s_add_u32 s24, s24, s1
	s_addc_u32 s25, s25, 0
	s_and_b32 vcc_lo, exec_lo, s0
	s_cbranch_vccnz .LBB111_83
; %bb.82:                               ;   in Loop: Header=BB111_53 Depth=1
	v_mov_b32_e32 v84, v62
	v_mov_b32_e32 v83, v11
	s_branch .LBB111_53
.LBB111_83:
	v_mad_u32_u24 v2, v1, 33, v0
	v_lshrrev_b32_e32 v3, 5, v0
	s_mov_b32 s0, exec_lo
	v_lshl_add_u32 v2, v2, 2, 0
	v_add_nc_u32_e32 v3, v3, v1
	ds_write_b32 v2, v11
	ds_write_b32 v2, v62 offset:1056
	s_waitcnt lgkmcnt(0)
	s_barrier
	buffer_gl0_inv
	v_cmpx_gt_u32_e32 32, v3
	s_cbranch_execz .LBB111_115
; %bb.84:
	s_load_dwordx4 s[12:15], s[4:5], 0x30
	v_and_b32_e32 v1, 31, v0
                                        ; implicit-def: $vgpr2
	v_cmp_gt_u32_e64 s0, 8, v1
	v_mul_u32_u24_e32 v4, 33, v1
                                        ; implicit-def: $vgpr1
	s_and_saveexec_b32 s1, s0
	s_cbranch_execz .LBB111_86
; %bb.85:
	v_add_nc_u32_e32 v1, v3, v4
	v_lshl_add_u32 v1, v1, 2, 0
	ds_read_b32 v2, v1
	ds_read_b32 v1, v1 offset:1056
.LBB111_86:
	s_or_b32 exec_lo, exec_lo, s1
	v_mbcnt_lo_u32_b32 v7, -1, 0
	s_mov_b32 s7, 0
	v_cmp_eq_u32_e64 s1, 0, v0
	s_lshl_b64 s[2:3], s[6:7], 5
	s_waitcnt lgkmcnt(0)
	s_cmp_lg_u64 s[12:13], 0
	v_xor_b32_e32 v5, 4, v7
	v_xor_b32_e32 v6, 2, v7
	v_xor_b32_e32 v10, 1, v7
	s_cselect_b32 s5, -1, 0
	s_cmp_lg_u64 s[14:15], 0
	v_cmp_gt_i32_e32 vcc_lo, 32, v5
	s_cselect_b32 s4, -1, 0
	v_cndmask_b32_e32 v5, v7, v5, vcc_lo
	v_cmp_gt_i32_e32 vcc_lo, 32, v6
	v_lshlrev_b32_e32 v5, 2, v5
	v_cndmask_b32_e32 v6, v7, v6, vcc_lo
	v_cmp_gt_i32_e32 vcc_lo, 32, v10
	ds_bpermute_b32 v8, v5, v2
	ds_bpermute_b32 v9, v5, v1
	v_lshlrev_b32_e32 v6, 2, v6
	v_cndmask_b32_e32 v7, v7, v10, vcc_lo
	v_lshlrev_b32_e32 v7, 2, v7
	s_waitcnt lgkmcnt(1)
	v_add_f32_e32 v2, v2, v8
	s_waitcnt lgkmcnt(0)
	v_add_f32_e32 v1, v1, v9
	ds_bpermute_b32 v8, v6, v2
	ds_bpermute_b32 v9, v6, v1
	s_waitcnt lgkmcnt(1)
	v_add_f32_e32 v8, v2, v8
	s_waitcnt lgkmcnt(0)
	v_add_f32_e32 v9, v1, v9
	v_or_b32_e32 v1, s2, v3
	v_mov_b32_e32 v2, s3
	ds_bpermute_b32 v10, v7, v8
	ds_bpermute_b32 v11, v7, v9
	v_cmp_gt_i64_e32 vcc_lo, s[10:11], v[1:2]
	s_and_b32 s7, s1, vcc_lo
	s_waitcnt lgkmcnt(1)
	v_add_f32_e32 v8, v8, v10
	s_waitcnt lgkmcnt(0)
	v_add_f32_e32 v9, v9, v11
	s_and_saveexec_b32 s6, s7
	s_cbranch_execz .LBB111_91
; %bb.87:
	v_lshlrev_b64 v[0:1], 1, v[1:2]
	s_andn2_b32 vcc_lo, exec_lo, s5
	s_cbranch_vccnz .LBB111_89
; %bb.88:
	v_bfe_u32 v2, v8, 16, 1
	v_cmp_o_f32_e32 vcc_lo, v8, v8
	v_mov_b32_e32 v10, 0x7fc0
	v_add3_u32 v2, v8, v2, 0x7fff
	v_cndmask_b32_sdwa v2, v10, v2, vcc_lo dst_sel:DWORD dst_unused:UNUSED_PAD src0_sel:DWORD src1_sel:WORD_1
	v_add_co_u32 v10, vcc_lo, s12, v0
	v_add_co_ci_u32_e64 v11, null, s13, v1, vcc_lo
	global_store_short v[10:11], v2, off
.LBB111_89:
	s_andn2_b32 vcc_lo, exec_lo, s4
	s_cbranch_vccnz .LBB111_91
; %bb.90:
	v_bfe_u32 v2, v9, 16, 1
	v_cmp_o_f32_e32 vcc_lo, v9, v9
	v_mov_b32_e32 v10, 0x7fc0
	v_add3_u32 v2, v9, v2, 0x7fff
	v_cndmask_b32_sdwa v2, v10, v2, vcc_lo dst_sel:DWORD dst_unused:UNUSED_PAD src0_sel:DWORD src1_sel:WORD_1
	v_add_co_u32 v0, vcc_lo, s14, v0
	v_add_co_ci_u32_e64 v1, null, s15, v1, vcc_lo
	global_store_short v[0:1], v2, off
.LBB111_91:
	s_or_b32 exec_lo, exec_lo, s6
	v_cmp_gt_u32_e32 vcc_lo, 24, v3
	s_and_b32 exec_lo, exec_lo, vcc_lo
	s_cbranch_execz .LBB111_115
; %bb.92:
	s_and_saveexec_b32 s6, s0
	s_cbranch_execz .LBB111_94
; %bb.93:
	v_add_nc_u32_e32 v0, v3, v4
	v_lshl_add_u32 v0, v0, 2, 0
	ds_read_b32 v8, v0 offset:32
	ds_read_b32 v9, v0 offset:1088
.LBB111_94:
	s_or_b32 exec_lo, exec_lo, s6
	s_waitcnt lgkmcnt(1)
	ds_bpermute_b32 v0, v5, v8
	s_waitcnt lgkmcnt(1)
	ds_bpermute_b32 v1, v5, v9
	s_waitcnt lgkmcnt(1)
	v_add_f32_e32 v0, v8, v0
	s_waitcnt lgkmcnt(0)
	v_add_f32_e32 v1, v9, v1
	ds_bpermute_b32 v2, v6, v0
	ds_bpermute_b32 v8, v6, v1
	s_waitcnt lgkmcnt(1)
	v_add_f32_e32 v2, v0, v2
	s_waitcnt lgkmcnt(0)
	v_add_f32_e32 v8, v1, v8
	v_add_nc_u32_e32 v0, 8, v3
	ds_bpermute_b32 v9, v7, v2
	ds_bpermute_b32 v10, v7, v8
	v_add_co_u32 v0, s6, s2, v0
	v_add_co_ci_u32_e64 v1, null, s3, 0, s6
	v_cmp_gt_i64_e32 vcc_lo, s[10:11], v[0:1]
	s_and_b32 s7, s1, vcc_lo
	s_waitcnt lgkmcnt(1)
	v_add_f32_e32 v0, v2, v9
	s_waitcnt lgkmcnt(0)
	v_add_f32_e32 v1, v8, v10
	s_and_saveexec_b32 s6, s7
	s_cbranch_execz .LBB111_99
; %bb.95:
	s_andn2_b32 vcc_lo, exec_lo, s5
	s_cbranch_vccnz .LBB111_97
; %bb.96:
	v_add_co_u32 v8, s7, s2, v3
	v_add_co_ci_u32_e64 v9, null, s3, 0, s7
	v_bfe_u32 v2, v0, 16, 1
	v_cmp_o_f32_e32 vcc_lo, v0, v0
	v_mov_b32_e32 v10, 0x7fc0
	v_lshlrev_b64 v[8:9], 1, v[8:9]
	v_add3_u32 v2, v0, v2, 0x7fff
	v_cndmask_b32_sdwa v2, v10, v2, vcc_lo dst_sel:DWORD dst_unused:UNUSED_PAD src0_sel:DWORD src1_sel:WORD_1
	v_add_co_u32 v8, vcc_lo, s12, v8
	v_add_co_ci_u32_e64 v9, null, s13, v9, vcc_lo
	global_store_short v[8:9], v2, off offset:16
.LBB111_97:
	s_andn2_b32 vcc_lo, exec_lo, s4
	s_cbranch_vccnz .LBB111_99
; %bb.98:
	v_add_co_u32 v8, s7, s2, v3
	v_add_co_ci_u32_e64 v9, null, s3, 0, s7
	v_bfe_u32 v2, v1, 16, 1
	v_cmp_o_f32_e32 vcc_lo, v1, v1
	v_mov_b32_e32 v10, 0x7fc0
	v_lshlrev_b64 v[8:9], 1, v[8:9]
	v_add3_u32 v2, v1, v2, 0x7fff
	v_cndmask_b32_sdwa v2, v10, v2, vcc_lo dst_sel:DWORD dst_unused:UNUSED_PAD src0_sel:DWORD src1_sel:WORD_1
	v_add_co_u32 v8, vcc_lo, s14, v8
	v_add_co_ci_u32_e64 v9, null, s15, v9, vcc_lo
	global_store_short v[8:9], v2, off offset:16
.LBB111_99:
	s_or_b32 exec_lo, exec_lo, s6
	v_cmp_gt_u32_e32 vcc_lo, 16, v3
	s_and_b32 exec_lo, exec_lo, vcc_lo
	s_cbranch_execz .LBB111_115
; %bb.100:
	s_and_saveexec_b32 s6, s0
	s_cbranch_execz .LBB111_102
; %bb.101:
	v_add_nc_u32_e32 v0, v3, v4
	v_lshl_add_u32 v1, v0, 2, 0
	ds_read_b32 v0, v1 offset:64
	ds_read_b32 v1, v1 offset:1120
.LBB111_102:
	s_or_b32 exec_lo, exec_lo, s6
	s_waitcnt lgkmcnt(1)
	ds_bpermute_b32 v2, v5, v0
	s_waitcnt lgkmcnt(1)
	ds_bpermute_b32 v8, v5, v1
	s_waitcnt lgkmcnt(1)
	v_add_f32_e32 v0, v0, v2
	s_waitcnt lgkmcnt(0)
	v_add_f32_e32 v1, v1, v8
	ds_bpermute_b32 v2, v6, v0
	ds_bpermute_b32 v8, v6, v1
	s_waitcnt lgkmcnt(1)
	v_add_f32_e32 v2, v0, v2
	s_waitcnt lgkmcnt(0)
	v_add_f32_e32 v8, v1, v8
	v_add_nc_u32_e32 v0, 16, v3
	v_mov_b32_e32 v1, s3
	ds_bpermute_b32 v9, v7, v2
	ds_bpermute_b32 v10, v7, v8
	v_or_b32_e32 v0, s2, v0
	v_cmp_gt_i64_e32 vcc_lo, s[10:11], v[0:1]
	s_and_b32 s7, s1, vcc_lo
	s_waitcnt lgkmcnt(1)
	v_add_f32_e32 v0, v2, v9
	s_waitcnt lgkmcnt(0)
	v_add_f32_e32 v1, v8, v10
	s_and_saveexec_b32 s6, s7
	s_cbranch_execz .LBB111_107
; %bb.103:
	s_andn2_b32 vcc_lo, exec_lo, s5
	s_cbranch_vccnz .LBB111_105
; %bb.104:
	v_add_co_u32 v8, s7, s2, v3
	v_add_co_ci_u32_e64 v9, null, s3, 0, s7
	v_bfe_u32 v2, v0, 16, 1
	v_cmp_o_f32_e32 vcc_lo, v0, v0
	v_mov_b32_e32 v10, 0x7fc0
	v_lshlrev_b64 v[8:9], 1, v[8:9]
	v_add3_u32 v2, v0, v2, 0x7fff
	v_cndmask_b32_sdwa v2, v10, v2, vcc_lo dst_sel:DWORD dst_unused:UNUSED_PAD src0_sel:DWORD src1_sel:WORD_1
	v_add_co_u32 v8, vcc_lo, s12, v8
	v_add_co_ci_u32_e64 v9, null, s13, v9, vcc_lo
	global_store_short v[8:9], v2, off offset:32
.LBB111_105:
	s_andn2_b32 vcc_lo, exec_lo, s4
	s_cbranch_vccnz .LBB111_107
; %bb.106:
	v_add_co_u32 v8, s7, s2, v3
	v_add_co_ci_u32_e64 v9, null, s3, 0, s7
	v_bfe_u32 v2, v1, 16, 1
	v_cmp_o_f32_e32 vcc_lo, v1, v1
	v_mov_b32_e32 v10, 0x7fc0
	v_lshlrev_b64 v[8:9], 1, v[8:9]
	v_add3_u32 v2, v1, v2, 0x7fff
	v_cndmask_b32_sdwa v2, v10, v2, vcc_lo dst_sel:DWORD dst_unused:UNUSED_PAD src0_sel:DWORD src1_sel:WORD_1
	v_add_co_u32 v8, vcc_lo, s14, v8
	v_add_co_ci_u32_e64 v9, null, s15, v9, vcc_lo
	global_store_short v[8:9], v2, off offset:32
.LBB111_107:
	s_or_b32 exec_lo, exec_lo, s6
	v_cmp_gt_u32_e32 vcc_lo, 8, v3
	s_and_b32 exec_lo, exec_lo, vcc_lo
	s_cbranch_execz .LBB111_115
; %bb.108:
	s_and_saveexec_b32 s6, s0
	s_cbranch_execz .LBB111_110
; %bb.109:
	v_add_nc_u32_e32 v0, v3, v4
	v_lshl_add_u32 v1, v0, 2, 0
	ds_read_b32 v0, v1 offset:96
	ds_read_b32 v1, v1 offset:1152
.LBB111_110:
	s_or_b32 exec_lo, exec_lo, s6
	s_waitcnt lgkmcnt(1)
	ds_bpermute_b32 v2, v5, v0
	s_waitcnt lgkmcnt(1)
	ds_bpermute_b32 v4, v5, v1
	v_add_nc_u32_e32 v5, 24, v3
	v_or_b32_e32 v5, s2, v5
	s_waitcnt lgkmcnt(1)
	v_add_f32_e32 v0, v0, v2
	s_waitcnt lgkmcnt(0)
	v_add_f32_e32 v1, v1, v4
	ds_bpermute_b32 v2, v6, v0
	ds_bpermute_b32 v4, v6, v1
	v_mov_b32_e32 v6, s3
	v_cmp_gt_i64_e32 vcc_lo, s[10:11], v[5:6]
	s_and_b32 s0, s1, vcc_lo
	s_waitcnt lgkmcnt(1)
	v_add_f32_e32 v2, v0, v2
	s_waitcnt lgkmcnt(0)
	v_add_f32_e32 v0, v1, v4
	ds_bpermute_b32 v4, v7, v2
	ds_bpermute_b32 v1, v7, v0
	s_and_b32 exec_lo, exec_lo, s0
	s_cbranch_execz .LBB111_115
; %bb.111:
	s_andn2_b32 vcc_lo, exec_lo, s5
	s_cbranch_vccnz .LBB111_113
; %bb.112:
	s_waitcnt lgkmcnt(1)
	v_add_f32_e32 v2, v2, v4
	v_add_co_u32 v4, s0, s2, v3
	v_add_co_ci_u32_e64 v5, null, s3, 0, s0
	v_bfe_u32 v6, v2, 16, 1
	v_cmp_o_f32_e32 vcc_lo, v2, v2
	v_mov_b32_e32 v7, 0x7fc0
	v_lshlrev_b64 v[4:5], 1, v[4:5]
	v_add3_u32 v2, v2, v6, 0x7fff
	v_cndmask_b32_sdwa v2, v7, v2, vcc_lo dst_sel:DWORD dst_unused:UNUSED_PAD src0_sel:DWORD src1_sel:WORD_1
	v_add_co_u32 v4, vcc_lo, s12, v4
	v_add_co_ci_u32_e64 v5, null, s13, v5, vcc_lo
	global_store_short v[4:5], v2, off offset:48
.LBB111_113:
	s_andn2_b32 vcc_lo, exec_lo, s4
	s_cbranch_vccnz .LBB111_115
; %bb.114:
	s_waitcnt lgkmcnt(0)
	v_add_f32_e32 v2, v0, v1
	v_add_co_u32 v0, s0, s2, v3
	v_add_co_ci_u32_e64 v1, null, s3, 0, s0
	v_bfe_u32 v4, v2, 16, 1
	v_cmp_o_f32_e32 vcc_lo, v2, v2
	v_mov_b32_e32 v3, 0x7fc0
	v_lshlrev_b64 v[0:1], 1, v[0:1]
	v_add3_u32 v2, v2, v4, 0x7fff
	v_cndmask_b32_sdwa v2, v3, v2, vcc_lo dst_sel:DWORD dst_unused:UNUSED_PAD src0_sel:DWORD src1_sel:WORD_1
	v_add_co_u32 v0, vcc_lo, s14, v0
	v_add_co_ci_u32_e64 v1, null, s15, v1, vcc_lo
	global_store_short v[0:1], v2, off offset:48
.LBB111_115:
	s_endpgm
	.section	.rodata,"a",@progbits
	.p2align	6, 0x0
	.amdhsa_kernel _ZN2at6native12_GLOBAL__N_135GammaBetaBackwardCUDAKernelTemplateIN3c108BFloat16EfLj32ELj8ELj64ELb0ELb0ELb0EEEvllPKT_S7_PKT0_SA_PS5_SB_
		.amdhsa_group_segment_fixed_size 0
		.amdhsa_private_segment_fixed_size 0
		.amdhsa_kernarg_size 320
		.amdhsa_user_sgpr_count 6
		.amdhsa_user_sgpr_private_segment_buffer 1
		.amdhsa_user_sgpr_dispatch_ptr 0
		.amdhsa_user_sgpr_queue_ptr 0
		.amdhsa_user_sgpr_kernarg_segment_ptr 1
		.amdhsa_user_sgpr_dispatch_id 0
		.amdhsa_user_sgpr_flat_scratch_init 0
		.amdhsa_user_sgpr_private_segment_size 0
		.amdhsa_wavefront_size32 1
		.amdhsa_uses_dynamic_stack 0
		.amdhsa_system_sgpr_private_segment_wavefront_offset 0
		.amdhsa_system_sgpr_workgroup_id_x 1
		.amdhsa_system_sgpr_workgroup_id_y 1
		.amdhsa_system_sgpr_workgroup_id_z 0
		.amdhsa_system_sgpr_workgroup_info 0
		.amdhsa_system_vgpr_workitem_id 1
		.amdhsa_next_free_vgpr 93
		.amdhsa_next_free_sgpr 32
		.amdhsa_reserve_vcc 1
		.amdhsa_reserve_flat_scratch 0
		.amdhsa_float_round_mode_32 0
		.amdhsa_float_round_mode_16_64 0
		.amdhsa_float_denorm_mode_32 3
		.amdhsa_float_denorm_mode_16_64 3
		.amdhsa_dx10_clamp 1
		.amdhsa_ieee_mode 1
		.amdhsa_fp16_overflow 0
		.amdhsa_workgroup_processor_mode 1
		.amdhsa_memory_ordered 1
		.amdhsa_forward_progress 1
		.amdhsa_shared_vgpr_count 0
		.amdhsa_exception_fp_ieee_invalid_op 0
		.amdhsa_exception_fp_denorm_src 0
		.amdhsa_exception_fp_ieee_div_zero 0
		.amdhsa_exception_fp_ieee_overflow 0
		.amdhsa_exception_fp_ieee_underflow 0
		.amdhsa_exception_fp_ieee_inexact 0
		.amdhsa_exception_int_div_zero 0
	.end_amdhsa_kernel
	.section	.text._ZN2at6native12_GLOBAL__N_135GammaBetaBackwardCUDAKernelTemplateIN3c108BFloat16EfLj32ELj8ELj64ELb0ELb0ELb0EEEvllPKT_S7_PKT0_SA_PS5_SB_,"axG",@progbits,_ZN2at6native12_GLOBAL__N_135GammaBetaBackwardCUDAKernelTemplateIN3c108BFloat16EfLj32ELj8ELj64ELb0ELb0ELb0EEEvllPKT_S7_PKT0_SA_PS5_SB_,comdat
.Lfunc_end111:
	.size	_ZN2at6native12_GLOBAL__N_135GammaBetaBackwardCUDAKernelTemplateIN3c108BFloat16EfLj32ELj8ELj64ELb0ELb0ELb0EEEvllPKT_S7_PKT0_SA_PS5_SB_, .Lfunc_end111-_ZN2at6native12_GLOBAL__N_135GammaBetaBackwardCUDAKernelTemplateIN3c108BFloat16EfLj32ELj8ELj64ELb0ELb0ELb0EEEvllPKT_S7_PKT0_SA_PS5_SB_
                                        ; -- End function
	.set _ZN2at6native12_GLOBAL__N_135GammaBetaBackwardCUDAKernelTemplateIN3c108BFloat16EfLj32ELj8ELj64ELb0ELb0ELb0EEEvllPKT_S7_PKT0_SA_PS5_SB_.num_vgpr, 93
	.set _ZN2at6native12_GLOBAL__N_135GammaBetaBackwardCUDAKernelTemplateIN3c108BFloat16EfLj32ELj8ELj64ELb0ELb0ELb0EEEvllPKT_S7_PKT0_SA_PS5_SB_.num_agpr, 0
	.set _ZN2at6native12_GLOBAL__N_135GammaBetaBackwardCUDAKernelTemplateIN3c108BFloat16EfLj32ELj8ELj64ELb0ELb0ELb0EEEvllPKT_S7_PKT0_SA_PS5_SB_.numbered_sgpr, 32
	.set _ZN2at6native12_GLOBAL__N_135GammaBetaBackwardCUDAKernelTemplateIN3c108BFloat16EfLj32ELj8ELj64ELb0ELb0ELb0EEEvllPKT_S7_PKT0_SA_PS5_SB_.num_named_barrier, 0
	.set _ZN2at6native12_GLOBAL__N_135GammaBetaBackwardCUDAKernelTemplateIN3c108BFloat16EfLj32ELj8ELj64ELb0ELb0ELb0EEEvllPKT_S7_PKT0_SA_PS5_SB_.private_seg_size, 0
	.set _ZN2at6native12_GLOBAL__N_135GammaBetaBackwardCUDAKernelTemplateIN3c108BFloat16EfLj32ELj8ELj64ELb0ELb0ELb0EEEvllPKT_S7_PKT0_SA_PS5_SB_.uses_vcc, 1
	.set _ZN2at6native12_GLOBAL__N_135GammaBetaBackwardCUDAKernelTemplateIN3c108BFloat16EfLj32ELj8ELj64ELb0ELb0ELb0EEEvllPKT_S7_PKT0_SA_PS5_SB_.uses_flat_scratch, 0
	.set _ZN2at6native12_GLOBAL__N_135GammaBetaBackwardCUDAKernelTemplateIN3c108BFloat16EfLj32ELj8ELj64ELb0ELb0ELb0EEEvllPKT_S7_PKT0_SA_PS5_SB_.has_dyn_sized_stack, 0
	.set _ZN2at6native12_GLOBAL__N_135GammaBetaBackwardCUDAKernelTemplateIN3c108BFloat16EfLj32ELj8ELj64ELb0ELb0ELb0EEEvllPKT_S7_PKT0_SA_PS5_SB_.has_recursion, 0
	.set _ZN2at6native12_GLOBAL__N_135GammaBetaBackwardCUDAKernelTemplateIN3c108BFloat16EfLj32ELj8ELj64ELb0ELb0ELb0EEEvllPKT_S7_PKT0_SA_PS5_SB_.has_indirect_call, 0
	.section	.AMDGPU.csdata,"",@progbits
; Kernel info:
; codeLenInByte = 9960
; TotalNumSgprs: 34
; NumVgprs: 93
; ScratchSize: 0
; MemoryBound: 0
; FloatMode: 240
; IeeeMode: 1
; LDSByteSize: 0 bytes/workgroup (compile time only)
; SGPRBlocks: 0
; VGPRBlocks: 11
; NumSGPRsForWavesPerEU: 34
; NumVGPRsForWavesPerEU: 93
; Occupancy: 10
; WaveLimiterHint : 0
; COMPUTE_PGM_RSRC2:SCRATCH_EN: 0
; COMPUTE_PGM_RSRC2:USER_SGPR: 6
; COMPUTE_PGM_RSRC2:TRAP_HANDLER: 0
; COMPUTE_PGM_RSRC2:TGID_X_EN: 1
; COMPUTE_PGM_RSRC2:TGID_Y_EN: 1
; COMPUTE_PGM_RSRC2:TGID_Z_EN: 0
; COMPUTE_PGM_RSRC2:TIDIG_COMP_CNT: 1
	.section	.text._ZN2at6native12_GLOBAL__N_135GammaBetaBackwardCUDAKernelTemplateIN3c108BFloat16EfLj32ELj16ELj128ELb0ELb1ELb0EEEvllPKT_S7_PKT0_SA_PS5_SB_,"axG",@progbits,_ZN2at6native12_GLOBAL__N_135GammaBetaBackwardCUDAKernelTemplateIN3c108BFloat16EfLj32ELj16ELj128ELb0ELb1ELb0EEEvllPKT_S7_PKT0_SA_PS5_SB_,comdat
	.globl	_ZN2at6native12_GLOBAL__N_135GammaBetaBackwardCUDAKernelTemplateIN3c108BFloat16EfLj32ELj16ELj128ELb0ELb1ELb0EEEvllPKT_S7_PKT0_SA_PS5_SB_ ; -- Begin function _ZN2at6native12_GLOBAL__N_135GammaBetaBackwardCUDAKernelTemplateIN3c108BFloat16EfLj32ELj16ELj128ELb0ELb1ELb0EEEvllPKT_S7_PKT0_SA_PS5_SB_
	.p2align	8
	.type	_ZN2at6native12_GLOBAL__N_135GammaBetaBackwardCUDAKernelTemplateIN3c108BFloat16EfLj32ELj16ELj128ELb0ELb1ELb0EEEvllPKT_S7_PKT0_SA_PS5_SB_,@function
_ZN2at6native12_GLOBAL__N_135GammaBetaBackwardCUDAKernelTemplateIN3c108BFloat16EfLj32ELj16ELj128ELb0ELb1ELb0EEEvllPKT_S7_PKT0_SA_PS5_SB_: ; @_ZN2at6native12_GLOBAL__N_135GammaBetaBackwardCUDAKernelTemplateIN3c108BFloat16EfLj32ELj16ELj128ELb0ELb1ELb0EEEvllPKT_S7_PKT0_SA_PS5_SB_
; %bb.0:
	s_load_dwordx4 s[20:23], s[4:5], 0x0
	s_lshl_b32 s2, s7, 7
	s_mov_b32 s3, 0
	s_waitcnt lgkmcnt(0)
	v_cmp_gt_i64_e64 s0, s[20:21], s[2:3]
	s_and_b32 vcc_lo, exec_lo, s0
	s_cbranch_vccnz .LBB112_2
; %bb.1:
	s_mov_b32 s0, s3
	s_branch .LBB112_3
.LBB112_2:
	s_mov_b32 s0, -1
.LBB112_3:
	s_load_dwordx4 s[16:19], s[4:5], 0x30
	v_mov_b32_e32 v2, 0
	v_mov_b32_e32 v17, 0
	s_andn2_b32 vcc_lo, exec_lo, s0
	s_cbranch_vccnz .LBB112_10
; %bb.4:
	s_clause 0x2
	s_load_dword s0, s[4:5], 0x4c
	s_load_dword s1, s[4:5], 0x44
	s_load_dwordx8 s[8:15], s[4:5], 0x10
	v_lshlrev_b32_e32 v2, 3, v1
	v_mov_b32_e32 v3, 0
	v_mov_b32_e32 v8, 8
	;; [unrolled: 1-line block ×4, first 2 shown]
	v_add_co_u32 v4, s4, v2, s2
	v_add_co_ci_u32_e64 v5, null, 0, 0, s4
	v_lshl_add_u32 v2, s6, 5, v0
	v_mul_lo_u32 v17, s23, v4
	v_mad_u64_u32 v[6:7], null, s22, v4, 0
	v_mul_lo_u32 v18, s22, v5
	v_mov_b32_e32 v11, 16
	v_mov_b32_e32 v12, 20
	v_mov_b32_e32 v13, 24
	s_waitcnt lgkmcnt(0)
	s_and_b32 s0, s0, 0xffff
	s_lshl_b32 s4, s1, 7
	v_mad_u32_u24 v15, v1, s0, v0
	s_mul_i32 s1, s23, s4
	v_add3_u32 v7, v7, v18, v17
	s_mul_hi_u32 s7, s22, s4
	v_mov_b32_e32 v14, 28
	v_and_b32_e32 v19, 31, v15
	v_lshlrev_b64 v[15:16], 1, v[2:3]
	v_lshlrev_b64 v[17:18], 1, v[6:7]
	v_mov_b32_e32 v2, 0
	s_mov_b32 s5, 0
	v_add_co_u32 v4, vcc_lo, v4, v19
	v_add_co_ci_u32_e64 v5, null, 0, v5, vcc_lo
	v_add_co_u32 v15, vcc_lo, v17, v15
	v_cmp_gt_u32_e64 s0, 8, v19
	v_lshlrev_b64 v[6:7], 2, v[4:5]
	v_add_co_ci_u32_e64 v16, null, v18, v16, vcc_lo
	v_mov_b32_e32 v17, 0
	s_add_i32 s27, s7, s1
	s_mul_i32 s26, s22, s4
	s_lshl_b64 s[24:25], s[4:5], 2
	s_lshl_b64 s[26:27], s[26:27], 1
	;; [unrolled: 1-line block ×3, first 2 shown]
	s_branch .LBB112_7
.LBB112_5:                              ;   in Loop: Header=BB112_7 Depth=1
	s_or_b32 exec_lo, exec_lo, s5
.LBB112_6:                              ;   in Loop: Header=BB112_7 Depth=1
	s_or_b32 exec_lo, exec_lo, s1
	v_add_co_u32 v20, vcc_lo, s8, v15
	v_add_co_ci_u32_e64 v21, null, s9, v16, vcc_lo
	v_add_co_u32 v22, vcc_lo, s10, v15
	v_add_co_ci_u32_e64 v23, null, s11, v16, vcc_lo
	;; [unrolled: 2-line block ×5, first 2 shown]
	global_load_ushort v30, v[20:21], off
	global_load_ushort v31, v[22:23], off
	;; [unrolled: 1-line block ×5, first 2 shown]
	v_add_co_u32 v20, vcc_lo, v26, s22
	v_add_co_ci_u32_e64 v21, null, s23, v27, vcc_lo
	v_add_co_u32 v22, vcc_lo, v28, s22
	v_add_co_ci_u32_e64 v23, null, s23, v29, vcc_lo
	;; [unrolled: 2-line block ×5, first 2 shown]
	global_load_ushort v35, v[20:21], off
	global_load_ushort v36, v[22:23], off
	;; [unrolled: 1-line block ×5, first 2 shown]
	v_add_co_u32 v20, vcc_lo, v26, s22
	v_add_co_ci_u32_e64 v21, null, s23, v27, vcc_lo
	v_add_co_u32 v22, vcc_lo, v28, s22
	v_add_co_ci_u32_e64 v23, null, s23, v29, vcc_lo
	;; [unrolled: 2-line block ×4, first 2 shown]
	global_load_ushort v28, v[20:21], off
	global_load_ushort v29, v[22:23], off
	;; [unrolled: 1-line block ×4, first 2 shown]
	v_add_co_u32 v20, vcc_lo, v26, s22
	v_add_co_ci_u32_e64 v21, null, s23, v27, vcc_lo
	v_add_co_u32 v22, vcc_lo, v24, s22
	v_add_co_ci_u32_e64 v23, null, s23, v25, vcc_lo
	global_load_ushort v20, v[20:21], off
	global_load_ushort v21, v[22:23], off
	s_waitcnt vmcnt(17)
	ds_bpermute_b32 v22, v3, v18
	ds_bpermute_b32 v25, v9, v18
	s_waitcnt vmcnt(16)
	ds_bpermute_b32 v23, v3, v19
	ds_bpermute_b32 v27, v8, v18
	;; [unrolled: 1-line block ×14, first 2 shown]
	s_add_u32 s2, s2, s4
	v_add_co_u32 v6, vcc_lo, v6, s24
	s_addc_u32 s3, s3, 0
	v_add_co_ci_u32_e64 v7, null, s25, v7, vcc_lo
	v_add_co_u32 v4, vcc_lo, v4, s4
	v_cmp_lt_i64_e64 s1, s[2:3], s[20:21]
	v_add_co_ci_u32_e64 v5, null, 0, v5, vcc_lo
	v_add_co_u32 v15, vcc_lo, v15, s26
	v_add_co_ci_u32_e64 v16, null, s27, v16, vcc_lo
	s_and_b32 vcc_lo, exec_lo, s1
	s_waitcnt vmcnt(15)
	v_lshlrev_b32_e32 v30, 16, v30
	s_waitcnt vmcnt(14)
	v_lshlrev_b32_e32 v31, 16, v31
	;; [unrolled: 2-line block ×3, first 2 shown]
	v_add_f32_e32 v17, v17, v30
	s_waitcnt lgkmcnt(15)
	v_sub_f32_e32 v22, v31, v22
	v_lshlrev_b32_e32 v31, 16, v32
	s_waitcnt lgkmcnt(14)
	v_sub_f32_e32 v25, v33, v25
	v_mul_f32_e32 v22, v22, v30
	s_waitcnt vmcnt(11)
	v_lshlrev_b32_e32 v30, 16, v34
	v_add_f32_e32 v17, v17, v31
	s_waitcnt lgkmcnt(13)
	v_fmac_f32_e32 v2, v22, v23
	v_mul_f32_e32 v22, v25, v31
	v_add_f32_e32 v17, v17, v30
	s_waitcnt vmcnt(10)
	v_lshlrev_b32_e32 v32, 16, v35
	s_waitcnt lgkmcnt(11)
	v_fmac_f32_e32 v2, v22, v24
	s_waitcnt vmcnt(8)
	v_lshlrev_b32_e32 v25, 16, v37
	s_waitcnt vmcnt(6)
	v_lshlrev_b32_e32 v24, 16, v39
	v_sub_f32_e32 v23, v32, v27
	v_lshlrev_b32_e32 v27, 16, v36
	v_mul_f32_e32 v22, v23, v30
	s_waitcnt lgkmcnt(10)
	v_sub_f32_e32 v23, v25, v43
	v_lshlrev_b32_e32 v25, 16, v38
	v_add_f32_e32 v17, v17, v27
	s_waitcnt lgkmcnt(9)
	v_fmac_f32_e32 v2, v22, v26
	v_mul_f32_e32 v22, v23, v27
	s_waitcnt lgkmcnt(8)
	v_sub_f32_e32 v23, v24, v45
	s_waitcnt vmcnt(5)
	v_lshlrev_b32_e32 v26, 16, v28
	s_waitcnt vmcnt(4)
	v_lshlrev_b32_e32 v24, 16, v29
	v_add_f32_e32 v17, v17, v25
	s_waitcnt lgkmcnt(7)
	v_fmac_f32_e32 v2, v22, v42
	v_mul_f32_e32 v22, v23, v25
	s_waitcnt vmcnt(3)
	v_lshlrev_b32_e32 v25, 16, v40
	s_waitcnt lgkmcnt(6)
	v_sub_f32_e32 v23, v24, v47
	s_waitcnt vmcnt(2)
	v_lshlrev_b32_e32 v24, 16, v41
	v_add_f32_e32 v17, v17, v26
	s_waitcnt lgkmcnt(5)
	v_fmac_f32_e32 v2, v22, v44
	v_mul_f32_e32 v22, v23, v26
	s_waitcnt lgkmcnt(4)
	v_sub_f32_e32 v23, v24, v49
	s_waitcnt vmcnt(1)
	v_lshlrev_b32_e32 v20, 16, v20
	s_waitcnt vmcnt(0)
	v_lshlrev_b32_e32 v21, 16, v21
	v_add_f32_e32 v17, v17, v25
	s_waitcnt lgkmcnt(3)
	v_fmac_f32_e32 v2, v22, v46
	v_mul_f32_e32 v22, v23, v25
	s_waitcnt lgkmcnt(2)
	v_sub_f32_e32 v18, v20, v18
	v_add_f32_e32 v17, v17, v21
	s_waitcnt lgkmcnt(1)
	v_fmac_f32_e32 v2, v22, v48
	v_mul_f32_e32 v18, v18, v21
	s_waitcnt lgkmcnt(0)
	v_fmac_f32_e32 v2, v18, v19
	s_cbranch_vccz .LBB112_10
.LBB112_7:                              ; =>This Inner Loop Header: Depth=1
	v_mov_b32_e32 v19, 0
	v_mov_b32_e32 v18, 0
	s_and_saveexec_b32 s1, s0
	s_cbranch_execz .LBB112_6
; %bb.8:                                ;   in Loop: Header=BB112_7 Depth=1
	v_mov_b32_e32 v18, 0
	v_mov_b32_e32 v19, 0
	s_mov_b32 s5, exec_lo
	v_cmpx_gt_i64_e64 s[20:21], v[4:5]
	s_cbranch_execz .LBB112_5
; %bb.9:                                ;   in Loop: Header=BB112_7 Depth=1
	v_add_co_u32 v18, vcc_lo, s12, v6
	v_add_co_ci_u32_e64 v19, null, s13, v7, vcc_lo
	v_add_co_u32 v20, vcc_lo, s14, v6
	v_add_co_ci_u32_e64 v21, null, s15, v7, vcc_lo
	global_load_dword v18, v[18:19], off
	global_load_dword v19, v[20:21], off
	s_branch .LBB112_5
.LBB112_10:
	v_mad_u32_u24 v3, v1, 33, v0
	v_lshrrev_b32_e32 v4, 5, v0
	s_mov_b32 s0, exec_lo
	v_lshl_add_u32 v5, v3, 2, 0
	v_add_nc_u32_e32 v3, v4, v1
	ds_write_b32 v5, v2
	ds_write_b32 v5, v17 offset:2112
	s_waitcnt lgkmcnt(0)
	s_barrier
	buffer_gl0_inv
	v_cmpx_gt_u32_e32 32, v3
	s_cbranch_execz .LBB112_26
; %bb.11:
	v_and_b32_e32 v1, 31, v0
                                        ; implicit-def: $vgpr6
	v_cmp_gt_u32_e64 s0, 16, v1
	v_mul_u32_u24_e32 v2, 33, v1
                                        ; implicit-def: $vgpr1
	s_and_saveexec_b32 s1, s0
	s_cbranch_execz .LBB112_13
; %bb.12:
	v_add_nc_u32_e32 v1, v3, v2
	v_lshl_add_u32 v1, v1, 2, 0
	ds_read_b32 v6, v1
	ds_read_b32 v1, v1 offset:2112
.LBB112_13:
	s_or_b32 exec_lo, exec_lo, s1
	v_mbcnt_lo_u32_b32 v7, -1, 0
	s_mov_b32 s7, 0
	v_cmp_eq_u32_e64 s1, 0, v0
	s_lshl_b64 s[2:3], s[6:7], 5
	s_cmp_lg_u64 s[16:17], 0
	v_xor_b32_e32 v4, 8, v7
	v_xor_b32_e32 v5, 4, v7
	;; [unrolled: 1-line block ×3, first 2 shown]
	s_cselect_b32 s5, -1, 0
	s_cmp_lg_u64 s[18:19], 0
	v_cmp_gt_i32_e32 vcc_lo, 32, v4
	s_cselect_b32 s4, -1, 0
	v_cndmask_b32_e32 v4, v7, v4, vcc_lo
	v_cmp_gt_i32_e32 vcc_lo, 32, v5
	v_lshlrev_b32_e32 v4, 2, v4
	v_cndmask_b32_e32 v5, v7, v5, vcc_lo
	s_waitcnt lgkmcnt(1)
	ds_bpermute_b32 v8, v4, v6
	s_waitcnt lgkmcnt(1)
	ds_bpermute_b32 v9, v4, v1
	v_lshlrev_b32_e32 v5, 2, v5
	s_waitcnt lgkmcnt(1)
	v_add_f32_e32 v8, v6, v8
	s_waitcnt lgkmcnt(0)
	v_add_f32_e32 v1, v1, v9
	v_xor_b32_e32 v6, 2, v7
	ds_bpermute_b32 v9, v5, v8
	ds_bpermute_b32 v10, v5, v1
	v_cmp_gt_i32_e32 vcc_lo, 32, v6
	v_cndmask_b32_e32 v6, v7, v6, vcc_lo
	v_cmp_gt_i32_e32 vcc_lo, 32, v11
	v_lshlrev_b32_e32 v6, 2, v6
	v_cndmask_b32_e32 v7, v7, v11, vcc_lo
	v_lshlrev_b32_e32 v7, 2, v7
	s_waitcnt lgkmcnt(1)
	v_add_f32_e32 v8, v8, v9
	s_waitcnt lgkmcnt(0)
	v_add_f32_e32 v1, v1, v10
	ds_bpermute_b32 v9, v6, v8
	ds_bpermute_b32 v10, v6, v1
	s_waitcnt lgkmcnt(1)
	v_add_f32_e32 v8, v8, v9
	s_waitcnt lgkmcnt(0)
	v_add_f32_e32 v1, v1, v10
	ds_bpermute_b32 v9, v7, v8
	ds_bpermute_b32 v10, v7, v1
	s_waitcnt lgkmcnt(1)
	v_add_f32_e32 v8, v8, v9
	s_waitcnt lgkmcnt(0)
	v_add_f32_e32 v9, v1, v10
	s_and_saveexec_b32 s6, s1
	s_cbranch_execz .LBB112_18
; %bb.14:
	v_mov_b32_e32 v1, s3
	v_or_b32_e32 v0, s2, v3
	s_andn2_b32 vcc_lo, exec_lo, s5
	v_lshlrev_b64 v[0:1], 1, v[0:1]
	s_cbranch_vccnz .LBB112_16
; %bb.15:
	v_bfe_u32 v10, v8, 16, 1
	v_cmp_o_f32_e32 vcc_lo, v8, v8
	v_mov_b32_e32 v11, 0x7fc0
	v_add3_u32 v10, v8, v10, 0x7fff
	v_cndmask_b32_sdwa v12, v11, v10, vcc_lo dst_sel:DWORD dst_unused:UNUSED_PAD src0_sel:DWORD src1_sel:WORD_1
	v_add_co_u32 v10, vcc_lo, s16, v0
	v_add_co_ci_u32_e64 v11, null, s17, v1, vcc_lo
	global_store_short v[10:11], v12, off
.LBB112_16:
	s_andn2_b32 vcc_lo, exec_lo, s4
	s_cbranch_vccnz .LBB112_18
; %bb.17:
	v_bfe_u32 v10, v9, 16, 1
	v_cmp_o_f32_e32 vcc_lo, v9, v9
	v_mov_b32_e32 v11, 0x7fc0
	v_add3_u32 v10, v9, v10, 0x7fff
	v_cndmask_b32_sdwa v10, v11, v10, vcc_lo dst_sel:DWORD dst_unused:UNUSED_PAD src0_sel:DWORD src1_sel:WORD_1
	v_add_co_u32 v0, vcc_lo, s18, v0
	v_add_co_ci_u32_e64 v1, null, s19, v1, vcc_lo
	global_store_short v[0:1], v10, off
.LBB112_18:
	s_or_b32 exec_lo, exec_lo, s6
	v_cmp_gt_u32_e32 vcc_lo, 16, v3
	s_and_b32 exec_lo, exec_lo, vcc_lo
	s_cbranch_execz .LBB112_26
; %bb.19:
	s_and_saveexec_b32 s6, s0
	s_cbranch_execz .LBB112_21
; %bb.20:
	v_add_nc_u32_e32 v0, v3, v2
	v_lshl_add_u32 v0, v0, 2, 0
	ds_read_b32 v8, v0 offset:64
	ds_read_b32 v9, v0 offset:2176
.LBB112_21:
	s_or_b32 exec_lo, exec_lo, s6
	s_waitcnt lgkmcnt(1)
	ds_bpermute_b32 v0, v4, v8
	s_waitcnt lgkmcnt(1)
	ds_bpermute_b32 v1, v4, v9
	s_waitcnt lgkmcnt(1)
	v_add_f32_e32 v0, v8, v0
	s_waitcnt lgkmcnt(0)
	v_add_f32_e32 v1, v9, v1
	ds_bpermute_b32 v2, v5, v0
	ds_bpermute_b32 v4, v5, v1
	s_waitcnt lgkmcnt(1)
	v_add_f32_e32 v0, v0, v2
	s_waitcnt lgkmcnt(0)
	v_add_f32_e32 v1, v1, v4
	ds_bpermute_b32 v2, v6, v0
	;; [unrolled: 6-line block ×3, first 2 shown]
	ds_bpermute_b32 v1, v7, v0
	s_and_b32 exec_lo, exec_lo, s1
	s_cbranch_execz .LBB112_26
; %bb.22:
	s_andn2_b32 vcc_lo, exec_lo, s5
	s_cbranch_vccnz .LBB112_24
; %bb.23:
	s_waitcnt lgkmcnt(1)
	v_add_f32_e32 v2, v2, v4
	v_add_co_u32 v4, s0, s2, v3
	v_add_co_ci_u32_e64 v5, null, s3, 0, s0
	v_bfe_u32 v6, v2, 16, 1
	v_cmp_o_f32_e32 vcc_lo, v2, v2
	v_mov_b32_e32 v7, 0x7fc0
	v_lshlrev_b64 v[4:5], 1, v[4:5]
	v_add3_u32 v2, v2, v6, 0x7fff
	v_cndmask_b32_sdwa v2, v7, v2, vcc_lo dst_sel:DWORD dst_unused:UNUSED_PAD src0_sel:DWORD src1_sel:WORD_1
	v_add_co_u32 v4, vcc_lo, s16, v4
	v_add_co_ci_u32_e64 v5, null, s17, v5, vcc_lo
	global_store_short v[4:5], v2, off offset:32
.LBB112_24:
	s_andn2_b32 vcc_lo, exec_lo, s4
	s_cbranch_vccnz .LBB112_26
; %bb.25:
	s_waitcnt lgkmcnt(0)
	v_add_f32_e32 v2, v0, v1
	v_add_co_u32 v0, s0, s2, v3
	v_add_co_ci_u32_e64 v1, null, s3, 0, s0
	v_bfe_u32 v4, v2, 16, 1
	v_cmp_o_f32_e32 vcc_lo, v2, v2
	v_mov_b32_e32 v3, 0x7fc0
	v_lshlrev_b64 v[0:1], 1, v[0:1]
	v_add3_u32 v2, v2, v4, 0x7fff
	v_cndmask_b32_sdwa v2, v3, v2, vcc_lo dst_sel:DWORD dst_unused:UNUSED_PAD src0_sel:DWORD src1_sel:WORD_1
	v_add_co_u32 v0, vcc_lo, s18, v0
	v_add_co_ci_u32_e64 v1, null, s19, v1, vcc_lo
	global_store_short v[0:1], v2, off offset:32
.LBB112_26:
	s_endpgm
	.section	.rodata,"a",@progbits
	.p2align	6, 0x0
	.amdhsa_kernel _ZN2at6native12_GLOBAL__N_135GammaBetaBackwardCUDAKernelTemplateIN3c108BFloat16EfLj32ELj16ELj128ELb0ELb1ELb0EEEvllPKT_S7_PKT0_SA_PS5_SB_
		.amdhsa_group_segment_fixed_size 0
		.amdhsa_private_segment_fixed_size 0
		.amdhsa_kernarg_size 320
		.amdhsa_user_sgpr_count 6
		.amdhsa_user_sgpr_private_segment_buffer 1
		.amdhsa_user_sgpr_dispatch_ptr 0
		.amdhsa_user_sgpr_queue_ptr 0
		.amdhsa_user_sgpr_kernarg_segment_ptr 1
		.amdhsa_user_sgpr_dispatch_id 0
		.amdhsa_user_sgpr_flat_scratch_init 0
		.amdhsa_user_sgpr_private_segment_size 0
		.amdhsa_wavefront_size32 1
		.amdhsa_uses_dynamic_stack 0
		.amdhsa_system_sgpr_private_segment_wavefront_offset 0
		.amdhsa_system_sgpr_workgroup_id_x 1
		.amdhsa_system_sgpr_workgroup_id_y 1
		.amdhsa_system_sgpr_workgroup_id_z 0
		.amdhsa_system_sgpr_workgroup_info 0
		.amdhsa_system_vgpr_workitem_id 1
		.amdhsa_next_free_vgpr 50
		.amdhsa_next_free_sgpr 28
		.amdhsa_reserve_vcc 1
		.amdhsa_reserve_flat_scratch 0
		.amdhsa_float_round_mode_32 0
		.amdhsa_float_round_mode_16_64 0
		.amdhsa_float_denorm_mode_32 3
		.amdhsa_float_denorm_mode_16_64 3
		.amdhsa_dx10_clamp 1
		.amdhsa_ieee_mode 1
		.amdhsa_fp16_overflow 0
		.amdhsa_workgroup_processor_mode 1
		.amdhsa_memory_ordered 1
		.amdhsa_forward_progress 1
		.amdhsa_shared_vgpr_count 0
		.amdhsa_exception_fp_ieee_invalid_op 0
		.amdhsa_exception_fp_denorm_src 0
		.amdhsa_exception_fp_ieee_div_zero 0
		.amdhsa_exception_fp_ieee_overflow 0
		.amdhsa_exception_fp_ieee_underflow 0
		.amdhsa_exception_fp_ieee_inexact 0
		.amdhsa_exception_int_div_zero 0
	.end_amdhsa_kernel
	.section	.text._ZN2at6native12_GLOBAL__N_135GammaBetaBackwardCUDAKernelTemplateIN3c108BFloat16EfLj32ELj16ELj128ELb0ELb1ELb0EEEvllPKT_S7_PKT0_SA_PS5_SB_,"axG",@progbits,_ZN2at6native12_GLOBAL__N_135GammaBetaBackwardCUDAKernelTemplateIN3c108BFloat16EfLj32ELj16ELj128ELb0ELb1ELb0EEEvllPKT_S7_PKT0_SA_PS5_SB_,comdat
.Lfunc_end112:
	.size	_ZN2at6native12_GLOBAL__N_135GammaBetaBackwardCUDAKernelTemplateIN3c108BFloat16EfLj32ELj16ELj128ELb0ELb1ELb0EEEvllPKT_S7_PKT0_SA_PS5_SB_, .Lfunc_end112-_ZN2at6native12_GLOBAL__N_135GammaBetaBackwardCUDAKernelTemplateIN3c108BFloat16EfLj32ELj16ELj128ELb0ELb1ELb0EEEvllPKT_S7_PKT0_SA_PS5_SB_
                                        ; -- End function
	.set _ZN2at6native12_GLOBAL__N_135GammaBetaBackwardCUDAKernelTemplateIN3c108BFloat16EfLj32ELj16ELj128ELb0ELb1ELb0EEEvllPKT_S7_PKT0_SA_PS5_SB_.num_vgpr, 50
	.set _ZN2at6native12_GLOBAL__N_135GammaBetaBackwardCUDAKernelTemplateIN3c108BFloat16EfLj32ELj16ELj128ELb0ELb1ELb0EEEvllPKT_S7_PKT0_SA_PS5_SB_.num_agpr, 0
	.set _ZN2at6native12_GLOBAL__N_135GammaBetaBackwardCUDAKernelTemplateIN3c108BFloat16EfLj32ELj16ELj128ELb0ELb1ELb0EEEvllPKT_S7_PKT0_SA_PS5_SB_.numbered_sgpr, 28
	.set _ZN2at6native12_GLOBAL__N_135GammaBetaBackwardCUDAKernelTemplateIN3c108BFloat16EfLj32ELj16ELj128ELb0ELb1ELb0EEEvllPKT_S7_PKT0_SA_PS5_SB_.num_named_barrier, 0
	.set _ZN2at6native12_GLOBAL__N_135GammaBetaBackwardCUDAKernelTemplateIN3c108BFloat16EfLj32ELj16ELj128ELb0ELb1ELb0EEEvllPKT_S7_PKT0_SA_PS5_SB_.private_seg_size, 0
	.set _ZN2at6native12_GLOBAL__N_135GammaBetaBackwardCUDAKernelTemplateIN3c108BFloat16EfLj32ELj16ELj128ELb0ELb1ELb0EEEvllPKT_S7_PKT0_SA_PS5_SB_.uses_vcc, 1
	.set _ZN2at6native12_GLOBAL__N_135GammaBetaBackwardCUDAKernelTemplateIN3c108BFloat16EfLj32ELj16ELj128ELb0ELb1ELb0EEEvllPKT_S7_PKT0_SA_PS5_SB_.uses_flat_scratch, 0
	.set _ZN2at6native12_GLOBAL__N_135GammaBetaBackwardCUDAKernelTemplateIN3c108BFloat16EfLj32ELj16ELj128ELb0ELb1ELb0EEEvllPKT_S7_PKT0_SA_PS5_SB_.has_dyn_sized_stack, 0
	.set _ZN2at6native12_GLOBAL__N_135GammaBetaBackwardCUDAKernelTemplateIN3c108BFloat16EfLj32ELj16ELj128ELb0ELb1ELb0EEEvllPKT_S7_PKT0_SA_PS5_SB_.has_recursion, 0
	.set _ZN2at6native12_GLOBAL__N_135GammaBetaBackwardCUDAKernelTemplateIN3c108BFloat16EfLj32ELj16ELj128ELb0ELb1ELb0EEEvllPKT_S7_PKT0_SA_PS5_SB_.has_indirect_call, 0
	.section	.AMDGPU.csdata,"",@progbits
; Kernel info:
; codeLenInByte = 2252
; TotalNumSgprs: 30
; NumVgprs: 50
; ScratchSize: 0
; MemoryBound: 0
; FloatMode: 240
; IeeeMode: 1
; LDSByteSize: 0 bytes/workgroup (compile time only)
; SGPRBlocks: 0
; VGPRBlocks: 6
; NumSGPRsForWavesPerEU: 30
; NumVGPRsForWavesPerEU: 50
; Occupancy: 16
; WaveLimiterHint : 0
; COMPUTE_PGM_RSRC2:SCRATCH_EN: 0
; COMPUTE_PGM_RSRC2:USER_SGPR: 6
; COMPUTE_PGM_RSRC2:TRAP_HANDLER: 0
; COMPUTE_PGM_RSRC2:TGID_X_EN: 1
; COMPUTE_PGM_RSRC2:TGID_Y_EN: 1
; COMPUTE_PGM_RSRC2:TGID_Z_EN: 0
; COMPUTE_PGM_RSRC2:TIDIG_COMP_CNT: 1
	.section	.text._ZN2at6native12_GLOBAL__N_135GammaBetaBackwardCUDAKernelTemplateIN3c108BFloat16EfLj32ELj16ELj128ELb0ELb0ELb0EEEvllPKT_S7_PKT0_SA_PS5_SB_,"axG",@progbits,_ZN2at6native12_GLOBAL__N_135GammaBetaBackwardCUDAKernelTemplateIN3c108BFloat16EfLj32ELj16ELj128ELb0ELb0ELb0EEEvllPKT_S7_PKT0_SA_PS5_SB_,comdat
	.globl	_ZN2at6native12_GLOBAL__N_135GammaBetaBackwardCUDAKernelTemplateIN3c108BFloat16EfLj32ELj16ELj128ELb0ELb0ELb0EEEvllPKT_S7_PKT0_SA_PS5_SB_ ; -- Begin function _ZN2at6native12_GLOBAL__N_135GammaBetaBackwardCUDAKernelTemplateIN3c108BFloat16EfLj32ELj16ELj128ELb0ELb0ELb0EEEvllPKT_S7_PKT0_SA_PS5_SB_
	.p2align	8
	.type	_ZN2at6native12_GLOBAL__N_135GammaBetaBackwardCUDAKernelTemplateIN3c108BFloat16EfLj32ELj16ELj128ELb0ELb0ELb0EEEvllPKT_S7_PKT0_SA_PS5_SB_,@function
_ZN2at6native12_GLOBAL__N_135GammaBetaBackwardCUDAKernelTemplateIN3c108BFloat16EfLj32ELj16ELj128ELb0ELb0ELb0EEEvllPKT_S7_PKT0_SA_PS5_SB_: ; @_ZN2at6native12_GLOBAL__N_135GammaBetaBackwardCUDAKernelTemplateIN3c108BFloat16EfLj32ELj16ELj128ELb0ELb0ELb0EEEvllPKT_S7_PKT0_SA_PS5_SB_
; %bb.0:
	s_clause 0x1
	s_load_dwordx8 s[8:15], s[4:5], 0x0
	s_load_dwordx4 s[16:19], s[4:5], 0x20
	s_lshl_b32 s28, s6, 5
	s_mov_b32 s3, 0
	s_or_b32 s2, s28, 31
	s_waitcnt lgkmcnt(0)
	v_cmp_le_i64_e64 s0, s[10:11], s[2:3]
	s_lshl_b32 s2, s7, 7
	v_cmp_gt_i64_e64 s7, s[8:9], s[2:3]
	s_and_b32 vcc_lo, exec_lo, s0
	v_cndmask_b32_e64 v2, 0, 1, s7
	v_cmp_ne_u32_e64 s0, 1, v2
	s_cbranch_vccz .LBB113_49
; %bb.1:
	v_mov_b32_e32 v11, 0
	v_mov_b32_e32 v62, 0
	s_and_b32 vcc_lo, exec_lo, s0
	s_cbranch_vccnz .LBB113_50
; %bb.2:
	v_lshlrev_b32_e32 v21, 3, v1
	v_mov_b32_e32 v2, 0
	v_add_nc_u32_e32 v5, s28, v0
	s_load_dword s1, s[4:5], 0x44
	s_add_u32 s20, s4, 64
	v_add_co_u32 v11, s0, v21, s2
	v_add_co_ci_u32_e64 v12, null, 0, 0, s0
	v_mov_b32_e32 v6, v2
	v_mul_lo_u32 v7, s11, v11
	v_mad_u64_u32 v[3:4], null, s10, v11, 0
	v_mul_lo_u32 v8, s10, v12
	v_cmp_gt_i64_e64 s0, s[10:11], v[5:6]
	v_lshlrev_b64 v[19:20], 1, v[5:6]
	s_addc_u32 s21, s5, 0
	v_mov_b32_e32 v62, 0
	v_mov_b32_e32 v54, 0
	s_mov_b64 s[26:27], s[2:3]
	v_add3_u32 v4, v4, v8, v7
	v_add_co_u32 v7, vcc_lo, v11, 7
	v_add_co_ci_u32_e64 v8, null, 0, v12, vcc_lo
	v_lshlrev_b64 v[5:6], 1, v[3:4]
	v_mul_lo_u32 v13, s11, v7
	s_waitcnt lgkmcnt(0)
	s_lshl_b32 s29, s1, 7
	v_mul_lo_u32 v14, s10, v8
	v_mad_u64_u32 v[7:8], null, s10, v7, 0
	v_add_co_u32 v22, vcc_lo, s12, v5
	v_add_co_ci_u32_e64 v23, null, s13, v6, vcc_lo
	v_add_co_u32 v9, vcc_lo, v11, 6
	v_add_co_ci_u32_e64 v10, null, 0, v12, vcc_lo
	v_add_co_u32 v24, vcc_lo, s14, v5
	v_mul_lo_u32 v15, s11, v9
	v_mul_lo_u32 v16, s10, v10
	v_mad_u64_u32 v[9:10], null, s10, v9, 0
	v_add3_u32 v8, v8, v14, v13
	v_add_co_ci_u32_e64 v25, null, s15, v6, vcc_lo
	v_add_co_u32 v13, vcc_lo, v11, 5
	v_add_co_ci_u32_e64 v14, null, 0, v12, vcc_lo
	v_add3_u32 v10, v10, v16, v15
	v_lshlrev_b64 v[5:6], 1, v[7:8]
	v_mul_lo_u32 v15, s11, v13
	v_mul_lo_u32 v14, s10, v14
	s_mul_i32 s1, s11, s29
	v_lshlrev_b64 v[7:8], 1, v[9:10]
	v_mad_u64_u32 v[9:10], null, s10, v13, 0
	v_add_co_u32 v26, vcc_lo, s12, v5
	v_add_co_ci_u32_e64 v27, null, s13, v6, vcc_lo
	v_add_co_u32 v28, vcc_lo, s14, v5
	v_add_co_ci_u32_e64 v29, null, s15, v6, vcc_lo
	v_add_co_u32 v30, vcc_lo, s12, v7
	v_add3_u32 v10, v10, v14, v15
	s_mul_hi_u32 s22, s10, s29
	v_add_co_ci_u32_e64 v31, null, s13, v8, vcc_lo
	v_add_co_u32 v13, vcc_lo, v11, 4
	s_add_i32 s23, s22, s1
	v_add_co_u32 v32, s1, s14, v7
	v_add_co_ci_u32_e64 v7, null, 0, v12, vcc_lo
	v_lshlrev_b64 v[5:6], 1, v[9:10]
	v_add_co_u32 v9, vcc_lo, v11, 3
	v_add_co_ci_u32_e64 v10, null, 0, v12, vcc_lo
	v_add_co_ci_u32_e64 v33, null, s15, v8, s1
	v_mul_lo_u32 v14, s11, v13
	v_mul_lo_u32 v15, s10, v7
	v_mad_u64_u32 v[7:8], null, s10, v13, 0
	v_mul_lo_u32 v13, s11, v9
	v_mul_lo_u32 v16, s10, v10
	v_mad_u64_u32 v[9:10], null, s10, v9, 0
	v_add_co_u32 v34, vcc_lo, s12, v5
	v_add_co_ci_u32_e64 v35, null, s13, v6, vcc_lo
	v_add3_u32 v8, v8, v15, v14
	v_add_co_u32 v36, vcc_lo, s14, v5
	v_add_co_ci_u32_e64 v37, null, s15, v6, vcc_lo
	v_add_co_u32 v11, vcc_lo, v11, 2
	v_add3_u32 v10, v10, v16, v13
	v_add_co_ci_u32_e64 v12, null, 0, v12, vcc_lo
	v_lshlrev_b64 v[5:6], 1, v[7:8]
	v_mul_lo_u32 v13, s11, v11
	v_lshlrev_b64 v[7:8], 1, v[9:10]
	v_mul_lo_u32 v12, s10, v12
	v_mad_u64_u32 v[9:10], null, s10, v11, 0
	v_add_co_u32 v38, vcc_lo, s12, v5
	v_add_co_ci_u32_e64 v39, null, s13, v6, vcc_lo
	v_add_co_u32 v40, vcc_lo, s14, v5
	v_add_co_ci_u32_e64 v41, null, s15, v6, vcc_lo
	;; [unrolled: 2-line block ×3, first 2 shown]
	v_add3_u32 v10, v10, v12, v13
	v_add_co_u32 v44, vcc_lo, s14, v7
	v_add_co_ci_u32_e64 v45, null, s15, v8, vcc_lo
	v_add_co_u32 v3, vcc_lo, v3, s10
	v_add_co_ci_u32_e64 v4, null, s11, v4, vcc_lo
	v_lshlrev_b64 v[5:6], 1, v[9:10]
	s_mul_i32 s22, s10, s29
	v_lshlrev_b64 v[3:4], 1, v[3:4]
	s_lshl_b64 s[22:23], s[22:23], 1
	s_add_u32 s24, s2, 0x7f
	v_add_co_u32 v46, vcc_lo, s12, v5
	v_add_co_ci_u32_e64 v47, null, s13, v6, vcc_lo
	v_add_co_u32 v48, vcc_lo, s14, v5
	v_add_co_ci_u32_e64 v49, null, s15, v6, vcc_lo
	;; [unrolled: 2-line block ×4, first 2 shown]
	s_addc_u32 s25, 0, 0
.LBB113_3:                              ; =>This Inner Loop Header: Depth=1
	v_cmp_ge_i64_e64 s1, s[24:25], s[8:9]
	v_add_co_u32 v55, s30, v21, s24
	v_add_co_ci_u32_e64 v56, null, 0, s25, s30
                                        ; implicit-def: $vgpr11_vgpr12_vgpr13_vgpr14_vgpr15_vgpr16_vgpr17_vgpr18
                                        ; implicit-def: $vgpr3_vgpr4_vgpr5_vgpr6_vgpr7_vgpr8_vgpr9_vgpr10
                                        ; implicit-def: $vgpr58
                                        ; implicit-def: $vgpr3
	s_and_b32 vcc_lo, exec_lo, s1
	s_mov_b32 s1, -1
                                        ; implicit-def: $vgpr11
                                        ; implicit-def: $vgpr4
	s_cbranch_vccz .LBB113_25
; %bb.4:                                ;   in Loop: Header=BB113_3 Depth=1
	s_load_dword s1, s[20:21], 0xc
	v_mov_b32_e32 v58, 0
	v_mov_b32_e32 v57, 0
	s_waitcnt lgkmcnt(0)
	s_and_b32 s1, s1, 0xffff
	v_mad_u32_u24 v3, v1, s1, v0
	s_mov_b32 s1, exec_lo
	v_and_b32_e32 v3, 31, v3
	v_cmpx_gt_u32_e32 8, v3
	s_cbranch_execz .LBB113_8
; %bb.5:                                ;   in Loop: Header=BB113_3 Depth=1
	v_add_co_u32 v3, vcc_lo, v55, v3
	v_add_co_ci_u32_e64 v4, null, 0, v56, vcc_lo
	v_mov_b32_e32 v57, 0
	v_add_co_u32 v3, vcc_lo, 0xffffff81, v3
	v_add_co_ci_u32_e64 v4, null, -1, v4, vcc_lo
	v_mov_b32_e32 v58, 0
	s_mov_b32 s30, exec_lo
	v_cmpx_gt_i64_e64 s[8:9], v[3:4]
	s_cbranch_execz .LBB113_7
; %bb.6:                                ;   in Loop: Header=BB113_3 Depth=1
	v_lshlrev_b64 v[3:4], 2, v[3:4]
	v_add_co_u32 v5, vcc_lo, s16, v3
	v_add_co_ci_u32_e64 v6, null, s17, v4, vcc_lo
	v_add_co_u32 v3, vcc_lo, s18, v3
	v_add_co_ci_u32_e64 v4, null, s19, v4, vcc_lo
	global_load_dword v57, v[5:6], off
	global_load_dword v58, v[3:4], off
.LBB113_7:                              ;   in Loop: Header=BB113_3 Depth=1
	s_or_b32 exec_lo, exec_lo, s30
.LBB113_8:                              ;   in Loop: Header=BB113_3 Depth=1
	s_or_b32 exec_lo, exec_lo, s1
	v_add_co_u32 v10, vcc_lo, 0xffffff81, v55
	v_add_co_ci_u32_e64 v11, null, -1, v56, vcc_lo
	v_mov_b32_e32 v9, v2
	v_mov_b32_e32 v3, v2
	;; [unrolled: 1-line block ×7, first 2 shown]
	v_cmp_gt_i64_e32 vcc_lo, s[8:9], v[10:11]
	v_mov_b32_e32 v18, v9
	v_mov_b32_e32 v15, v6
	;; [unrolled: 1-line block ×16, first 2 shown]
	s_and_b32 s30, s0, vcc_lo
	s_and_saveexec_b32 s1, s30
	s_cbranch_execz .LBB113_10
; %bb.9:                                ;   in Loop: Header=BB113_3 Depth=1
	v_add_co_u32 v3, vcc_lo, v22, v19
	v_add_co_ci_u32_e64 v4, null, v23, v20, vcc_lo
	v_add_co_u32 v5, vcc_lo, v24, v19
	v_add_co_ci_u32_e64 v6, null, v25, v20, vcc_lo
	global_load_ushort v3, v[3:4], off
	global_load_ushort v11, v[5:6], off
	v_mov_b32_e32 v4, v2
	v_mov_b32_e32 v5, v2
	;; [unrolled: 1-line block ×14, first 2 shown]
	s_waitcnt vmcnt(1)
	v_lshlrev_b32_e32 v3, 16, v3
	s_waitcnt vmcnt(0)
	v_lshlrev_b32_e32 v11, 16, v11
.LBB113_10:                             ;   in Loop: Header=BB113_3 Depth=1
	s_or_b32 exec_lo, exec_lo, s1
	v_add_co_u32 v59, vcc_lo, 0xffffff82, v55
	v_add_co_ci_u32_e64 v60, null, -1, v56, vcc_lo
	v_cmp_gt_i64_e32 vcc_lo, s[8:9], v[59:60]
	s_and_b32 s30, s0, vcc_lo
	s_and_saveexec_b32 s1, s30
	s_cbranch_execz .LBB113_12
; %bb.11:                               ;   in Loop: Header=BB113_3 Depth=1
	v_add_co_u32 v59, vcc_lo, v50, v19
	v_add_co_ci_u32_e64 v60, null, v51, v20, vcc_lo
	v_add_co_u32 v63, vcc_lo, v52, v19
	v_add_co_ci_u32_e64 v64, null, v53, v20, vcc_lo
	global_load_ushort v4, v[59:60], off
	global_load_ushort v12, v[63:64], off
	s_waitcnt vmcnt(1)
	v_lshlrev_b32_e32 v4, 16, v4
	s_waitcnt vmcnt(0)
	v_lshlrev_b32_e32 v12, 16, v12
.LBB113_12:                             ;   in Loop: Header=BB113_3 Depth=1
	s_or_b32 exec_lo, exec_lo, s1
	v_add_co_u32 v59, vcc_lo, 0xffffff83, v55
	v_add_co_ci_u32_e64 v60, null, -1, v56, vcc_lo
	v_cmp_gt_i64_e32 vcc_lo, s[8:9], v[59:60]
	s_and_b32 s30, s0, vcc_lo
	s_and_saveexec_b32 s1, s30
	s_cbranch_execz .LBB113_14
; %bb.13:                               ;   in Loop: Header=BB113_3 Depth=1
	v_add_co_u32 v59, vcc_lo, v46, v19
	v_add_co_ci_u32_e64 v60, null, v47, v20, vcc_lo
	v_add_co_u32 v63, vcc_lo, v48, v19
	v_add_co_ci_u32_e64 v64, null, v49, v20, vcc_lo
	global_load_ushort v5, v[59:60], off
	global_load_ushort v13, v[63:64], off
	s_waitcnt vmcnt(1)
	v_lshlrev_b32_e32 v5, 16, v5
	s_waitcnt vmcnt(0)
	v_lshlrev_b32_e32 v13, 16, v13
.LBB113_14:                             ;   in Loop: Header=BB113_3 Depth=1
	;; [unrolled: 19-line block ×7, first 2 shown]
	s_or_b32 exec_lo, exec_lo, s1
	s_waitcnt vmcnt(1)
	ds_bpermute_b32 v59, v2, v57
	ds_bpermute_b32 v60, v2, v57 offset:4
	ds_bpermute_b32 v61, v2, v57 offset:8
	s_waitcnt vmcnt(0)
	ds_bpermute_b32 v63, v2, v58
	ds_bpermute_b32 v64, v2, v57 offset:12
	ds_bpermute_b32 v65, v2, v58 offset:4
	ds_bpermute_b32 v66, v2, v57 offset:16
	ds_bpermute_b32 v67, v2, v58 offset:8
	ds_bpermute_b32 v68, v2, v58 offset:12
	ds_bpermute_b32 v69, v2, v57 offset:20
	ds_bpermute_b32 v70, v2, v57 offset:24
	s_mov_b32 s1, 0
	s_waitcnt lgkmcnt(10)
	v_sub_f32_e32 v11, v11, v59
	v_add_f32_e32 v59, v62, v3
	s_waitcnt lgkmcnt(9)
	v_sub_f32_e32 v12, v12, v60
	ds_bpermute_b32 v60, v2, v58 offset:16
	s_waitcnt lgkmcnt(9)
	v_sub_f32_e32 v13, v13, v61
	v_mul_f32_e32 v3, v3, v11
	ds_bpermute_b32 v61, v2, v58 offset:20
	v_mul_f32_e32 v12, v4, v12
	v_add_f32_e32 v4, v4, v59
	v_mul_f32_e32 v13, v5, v13
	s_waitcnt lgkmcnt(9)
	v_fma_f32 v11, v3, v63, v54
	s_waitcnt lgkmcnt(8)
	v_sub_f32_e32 v3, v14, v64
	ds_bpermute_b32 v63, v2, v58 offset:24
	v_add_f32_e32 v4, v5, v4
	ds_bpermute_b32 v58, v2, v58 offset:28
	s_waitcnt lgkmcnt(9)
	v_fmac_f32_e32 v11, v12, v65
	s_waitcnt lgkmcnt(8)
	v_sub_f32_e32 v12, v15, v66
	v_mul_f32_e32 v14, v6, v3
	ds_bpermute_b32 v3, v2, v57 offset:28
	s_waitcnt lgkmcnt(6)
	v_sub_f32_e32 v5, v16, v69
	v_fmac_f32_e32 v11, v13, v67
	v_mul_f32_e32 v12, v7, v12
	v_add_f32_e32 v4, v6, v4
	s_waitcnt lgkmcnt(5)
	v_sub_f32_e32 v6, v17, v70
	v_mul_f32_e32 v5, v8, v5
	v_fmac_f32_e32 v11, v14, v68
	v_add_f32_e32 v4, v7, v4
	v_mul_f32_e32 v6, v9, v6
	s_waitcnt lgkmcnt(4)
	v_fmac_f32_e32 v11, v12, v60
	v_add_f32_e32 v4, v8, v4
	s_waitcnt lgkmcnt(3)
	v_fmac_f32_e32 v11, v5, v61
	v_add_f32_e32 v4, v9, v4
	s_waitcnt lgkmcnt(2)
	v_fmac_f32_e32 v11, v6, v63
.LBB113_25:                             ;   in Loop: Header=BB113_3 Depth=1
	s_and_b32 vcc_lo, exec_lo, s1
	s_cbranch_vccz .LBB113_40
; %bb.26:                               ;   in Loop: Header=BB113_3 Depth=1
	s_load_dword s1, s[20:21], 0x0
	s_waitcnt lgkmcnt(0)
	v_mov_b32_e32 v58, 0
	v_mov_b32_e32 v57, 0
	s_cmp_lt_u32 s6, s1
	s_cselect_b32 s1, 12, 18
	s_add_u32 s30, s20, s1
	s_addc_u32 s31, s21, 0
	s_mov_b32 s1, exec_lo
	global_load_ushort v3, v2, s[30:31]
	s_waitcnt vmcnt(0)
	v_mad_u32_u24 v3, v1, v3, v0
	v_and_b32_e32 v3, 31, v3
	v_cmpx_gt_u32_e32 8, v3
	s_cbranch_execz .LBB113_30
; %bb.27:                               ;   in Loop: Header=BB113_3 Depth=1
	v_add_co_u32 v3, vcc_lo, v55, v3
	v_add_co_ci_u32_e64 v4, null, 0, v56, vcc_lo
	v_mov_b32_e32 v57, 0
	v_add_co_u32 v3, vcc_lo, 0xffffff81, v3
	v_add_co_ci_u32_e64 v4, null, -1, v4, vcc_lo
	v_mov_b32_e32 v58, 0
	s_mov_b32 s30, exec_lo
	v_cmpx_gt_i64_e64 s[8:9], v[3:4]
	s_cbranch_execz .LBB113_29
; %bb.28:                               ;   in Loop: Header=BB113_3 Depth=1
	v_lshlrev_b64 v[3:4], 2, v[3:4]
	v_add_co_u32 v5, vcc_lo, s16, v3
	v_add_co_ci_u32_e64 v6, null, s17, v4, vcc_lo
	v_add_co_u32 v3, vcc_lo, s18, v3
	v_add_co_ci_u32_e64 v4, null, s19, v4, vcc_lo
	global_load_dword v57, v[5:6], off
	global_load_dword v58, v[3:4], off
.LBB113_29:                             ;   in Loop: Header=BB113_3 Depth=1
	s_or_b32 exec_lo, exec_lo, s30
.LBB113_30:                             ;   in Loop: Header=BB113_3 Depth=1
	s_or_b32 exec_lo, exec_lo, s1
	v_mov_b32_e32 v9, v2
	v_mov_b32_e32 v3, v2
	;; [unrolled: 1-line block ×23, first 2 shown]
	s_and_saveexec_b32 s1, s0
	s_cbranch_execnz .LBB113_42
; %bb.31:                               ;   in Loop: Header=BB113_3 Depth=1
	s_or_b32 exec_lo, exec_lo, s1
	s_and_saveexec_b32 s1, s0
	s_cbranch_execnz .LBB113_43
.LBB113_32:                             ;   in Loop: Header=BB113_3 Depth=1
	s_or_b32 exec_lo, exec_lo, s1
	s_and_saveexec_b32 s1, s0
	s_cbranch_execnz .LBB113_44
.LBB113_33:                             ;   in Loop: Header=BB113_3 Depth=1
	s_or_b32 exec_lo, exec_lo, s1
	s_and_saveexec_b32 s1, s0
	s_cbranch_execnz .LBB113_45
.LBB113_34:                             ;   in Loop: Header=BB113_3 Depth=1
	s_or_b32 exec_lo, exec_lo, s1
	s_and_saveexec_b32 s1, s0
	s_cbranch_execnz .LBB113_46
.LBB113_35:                             ;   in Loop: Header=BB113_3 Depth=1
	s_or_b32 exec_lo, exec_lo, s1
	s_and_saveexec_b32 s1, s0
	s_cbranch_execnz .LBB113_47
.LBB113_36:                             ;   in Loop: Header=BB113_3 Depth=1
	s_or_b32 exec_lo, exec_lo, s1
	s_and_saveexec_b32 s1, s0
	s_cbranch_execnz .LBB113_48
.LBB113_37:                             ;   in Loop: Header=BB113_3 Depth=1
	s_or_b32 exec_lo, exec_lo, s1
	s_and_saveexec_b32 s1, s0
	s_cbranch_execz .LBB113_39
.LBB113_38:                             ;   in Loop: Header=BB113_3 Depth=1
	v_add_co_u32 v55, vcc_lo, v26, v19
	v_add_co_ci_u32_e64 v56, null, v27, v20, vcc_lo
	v_add_co_u32 v59, vcc_lo, v28, v19
	v_add_co_ci_u32_e64 v60, null, v29, v20, vcc_lo
	global_load_ushort v10, v[55:56], off
	global_load_ushort v18, v[59:60], off
	s_waitcnt vmcnt(1)
	v_lshlrev_b32_e32 v10, 16, v10
	s_waitcnt vmcnt(0)
	v_lshlrev_b32_e32 v18, 16, v18
.LBB113_39:                             ;   in Loop: Header=BB113_3 Depth=1
	s_or_b32 exec_lo, exec_lo, s1
	s_waitcnt vmcnt(1)
	ds_bpermute_b32 v55, v2, v57
	ds_bpermute_b32 v56, v2, v57 offset:4
	ds_bpermute_b32 v59, v2, v57 offset:8
	s_waitcnt vmcnt(0)
	ds_bpermute_b32 v60, v2, v58
	ds_bpermute_b32 v61, v2, v57 offset:12
	ds_bpermute_b32 v63, v2, v58 offset:4
	;; [unrolled: 1-line block ×5, first 2 shown]
	s_waitcnt lgkmcnt(8)
	v_sub_f32_e32 v11, v11, v55
	ds_bpermute_b32 v55, v2, v58 offset:12
	s_waitcnt lgkmcnt(8)
	v_sub_f32_e32 v12, v12, v56
	ds_bpermute_b32 v56, v2, v58 offset:16
	s_waitcnt lgkmcnt(8)
	v_sub_f32_e32 v13, v13, v59
	v_mul_f32_e32 v11, v3, v11
	v_add_f32_e32 v3, v62, v3
	v_mul_f32_e32 v12, v4, v12
	ds_bpermute_b32 v59, v2, v58 offset:20
	s_waitcnt lgkmcnt(7)
	v_sub_f32_e32 v14, v14, v61
	v_fmac_f32_e32 v54, v11, v60
	ds_bpermute_b32 v11, v2, v57 offset:24
	v_mul_f32_e32 v13, v5, v13
	v_add_f32_e32 v3, v4, v3
	s_waitcnt lgkmcnt(6)
	v_sub_f32_e32 v4, v15, v64
	v_fmac_f32_e32 v54, v12, v63
	v_mul_f32_e32 v12, v6, v14
	s_waitcnt lgkmcnt(4)
	v_sub_f32_e32 v14, v16, v66
	v_add_f32_e32 v5, v5, v3
	v_mul_f32_e32 v4, v7, v4
	v_fmac_f32_e32 v54, v13, v65
	ds_bpermute_b32 v13, v2, v58 offset:24
	ds_bpermute_b32 v58, v2, v58 offset:28
	;; [unrolled: 1-line block ×3, first 2 shown]
	v_add_f32_e32 v5, v6, v5
	s_waitcnt lgkmcnt(6)
	v_fmac_f32_e32 v54, v12, v55
	v_mul_f32_e32 v6, v8, v14
	v_add_f32_e32 v5, v7, v5
	s_waitcnt lgkmcnt(5)
	v_fmac_f32_e32 v54, v4, v56
	s_waitcnt lgkmcnt(3)
	v_sub_f32_e32 v4, v17, v11
	v_add_f32_e32 v5, v8, v5
	v_fmac_f32_e32 v54, v6, v59
	v_mul_f32_e32 v4, v9, v4
	s_waitcnt lgkmcnt(2)
	v_fmac_f32_e32 v54, v4, v13
	v_add_f32_e32 v4, v9, v5
	v_mov_b32_e32 v11, v54
.LBB113_40:                             ;   in Loop: Header=BB113_3 Depth=1
	v_add_co_u32 v22, vcc_lo, v22, s22
	v_add_co_ci_u32_e64 v23, null, s23, v23, vcc_lo
	v_add_co_u32 v24, vcc_lo, v24, s22
	v_add_co_ci_u32_e64 v25, null, s23, v25, vcc_lo
	;; [unrolled: 2-line block ×10, first 2 shown]
	v_add_co_u32 v42, vcc_lo, v42, s22
	s_waitcnt lgkmcnt(0)
	v_sub_f32_e32 v3, v18, v3
	v_add_co_ci_u32_e64 v43, null, s23, v43, vcc_lo
	v_add_co_u32 v44, vcc_lo, v44, s22
	v_add_co_ci_u32_e64 v45, null, s23, v45, vcc_lo
	v_add_co_u32 v46, vcc_lo, v46, s22
	s_add_u32 s26, s26, s29
	v_add_co_ci_u32_e64 v47, null, s23, v47, vcc_lo
	v_add_co_u32 v48, vcc_lo, v48, s22
	v_mul_f32_e32 v3, v10, v3
	s_addc_u32 s27, s27, 0
	v_add_co_ci_u32_e64 v49, null, s23, v49, vcc_lo
	v_add_co_u32 v50, vcc_lo, v50, s22
	v_cmp_lt_i64_e64 s1, s[26:27], s[8:9]
	v_add_co_ci_u32_e64 v51, null, s23, v51, vcc_lo
	v_add_co_u32 v52, vcc_lo, v52, s22
	v_add_f32_e32 v62, v4, v10
	v_fmac_f32_e32 v11, v3, v58
	v_add_co_ci_u32_e64 v53, null, s23, v53, vcc_lo
	s_add_u32 s24, s24, s29
	s_addc_u32 s25, s25, 0
	s_and_b32 vcc_lo, exec_lo, s1
	s_cbranch_vccz .LBB113_50
; %bb.41:                               ;   in Loop: Header=BB113_3 Depth=1
	v_mov_b32_e32 v54, v11
	s_branch .LBB113_3
.LBB113_42:                             ;   in Loop: Header=BB113_3 Depth=1
	v_add_co_u32 v3, vcc_lo, v22, v19
	v_add_co_ci_u32_e64 v4, null, v23, v20, vcc_lo
	v_add_co_u32 v5, vcc_lo, v24, v19
	v_add_co_ci_u32_e64 v6, null, v25, v20, vcc_lo
	global_load_ushort v3, v[3:4], off
	global_load_ushort v11, v[5:6], off
	v_mov_b32_e32 v4, v2
	v_mov_b32_e32 v5, v2
	;; [unrolled: 1-line block ×14, first 2 shown]
	s_waitcnt vmcnt(1)
	v_lshlrev_b32_e32 v3, 16, v3
	s_waitcnt vmcnt(0)
	v_lshlrev_b32_e32 v11, 16, v11
	s_or_b32 exec_lo, exec_lo, s1
	s_and_saveexec_b32 s1, s0
	s_cbranch_execz .LBB113_32
.LBB113_43:                             ;   in Loop: Header=BB113_3 Depth=1
	v_add_co_u32 v55, vcc_lo, v50, v19
	v_add_co_ci_u32_e64 v56, null, v51, v20, vcc_lo
	v_add_co_u32 v59, vcc_lo, v52, v19
	v_add_co_ci_u32_e64 v60, null, v53, v20, vcc_lo
	global_load_ushort v4, v[55:56], off
	global_load_ushort v12, v[59:60], off
	s_waitcnt vmcnt(1)
	v_lshlrev_b32_e32 v4, 16, v4
	s_waitcnt vmcnt(0)
	v_lshlrev_b32_e32 v12, 16, v12
	s_or_b32 exec_lo, exec_lo, s1
	s_and_saveexec_b32 s1, s0
	s_cbranch_execz .LBB113_33
.LBB113_44:                             ;   in Loop: Header=BB113_3 Depth=1
	v_add_co_u32 v55, vcc_lo, v46, v19
	v_add_co_ci_u32_e64 v56, null, v47, v20, vcc_lo
	v_add_co_u32 v59, vcc_lo, v48, v19
	v_add_co_ci_u32_e64 v60, null, v49, v20, vcc_lo
	global_load_ushort v5, v[55:56], off
	global_load_ushort v13, v[59:60], off
	s_waitcnt vmcnt(1)
	v_lshlrev_b32_e32 v5, 16, v5
	s_waitcnt vmcnt(0)
	v_lshlrev_b32_e32 v13, 16, v13
	s_or_b32 exec_lo, exec_lo, s1
	s_and_saveexec_b32 s1, s0
	s_cbranch_execz .LBB113_34
.LBB113_45:                             ;   in Loop: Header=BB113_3 Depth=1
	v_add_co_u32 v55, vcc_lo, v42, v19
	v_add_co_ci_u32_e64 v56, null, v43, v20, vcc_lo
	v_add_co_u32 v59, vcc_lo, v44, v19
	v_add_co_ci_u32_e64 v60, null, v45, v20, vcc_lo
	global_load_ushort v6, v[55:56], off
	global_load_ushort v14, v[59:60], off
	s_waitcnt vmcnt(1)
	v_lshlrev_b32_e32 v6, 16, v6
	s_waitcnt vmcnt(0)
	v_lshlrev_b32_e32 v14, 16, v14
	s_or_b32 exec_lo, exec_lo, s1
	s_and_saveexec_b32 s1, s0
	s_cbranch_execz .LBB113_35
.LBB113_46:                             ;   in Loop: Header=BB113_3 Depth=1
	v_add_co_u32 v55, vcc_lo, v38, v19
	v_add_co_ci_u32_e64 v56, null, v39, v20, vcc_lo
	v_add_co_u32 v59, vcc_lo, v40, v19
	v_add_co_ci_u32_e64 v60, null, v41, v20, vcc_lo
	global_load_ushort v7, v[55:56], off
	global_load_ushort v15, v[59:60], off
	s_waitcnt vmcnt(1)
	v_lshlrev_b32_e32 v7, 16, v7
	s_waitcnt vmcnt(0)
	v_lshlrev_b32_e32 v15, 16, v15
	s_or_b32 exec_lo, exec_lo, s1
	s_and_saveexec_b32 s1, s0
	s_cbranch_execz .LBB113_36
.LBB113_47:                             ;   in Loop: Header=BB113_3 Depth=1
	v_add_co_u32 v55, vcc_lo, v34, v19
	v_add_co_ci_u32_e64 v56, null, v35, v20, vcc_lo
	v_add_co_u32 v59, vcc_lo, v36, v19
	v_add_co_ci_u32_e64 v60, null, v37, v20, vcc_lo
	global_load_ushort v8, v[55:56], off
	global_load_ushort v16, v[59:60], off
	s_waitcnt vmcnt(1)
	v_lshlrev_b32_e32 v8, 16, v8
	s_waitcnt vmcnt(0)
	v_lshlrev_b32_e32 v16, 16, v16
	s_or_b32 exec_lo, exec_lo, s1
	s_and_saveexec_b32 s1, s0
	s_cbranch_execz .LBB113_37
.LBB113_48:                             ;   in Loop: Header=BB113_3 Depth=1
	v_add_co_u32 v55, vcc_lo, v30, v19
	v_add_co_ci_u32_e64 v56, null, v31, v20, vcc_lo
	v_add_co_u32 v59, vcc_lo, v32, v19
	v_add_co_ci_u32_e64 v60, null, v33, v20, vcc_lo
	global_load_ushort v9, v[55:56], off
	global_load_ushort v17, v[59:60], off
	s_waitcnt vmcnt(1)
	v_lshlrev_b32_e32 v9, 16, v9
	s_waitcnt vmcnt(0)
	v_lshlrev_b32_e32 v17, 16, v17
	s_or_b32 exec_lo, exec_lo, s1
	s_and_saveexec_b32 s1, s0
	s_cbranch_execnz .LBB113_38
	s_branch .LBB113_39
.LBB113_49:
                                        ; implicit-def: $vgpr11
                                        ; implicit-def: $vgpr62
	s_branch .LBB113_51
.LBB113_50:
	s_cbranch_execnz .LBB113_83
.LBB113_51:
	v_mov_b32_e32 v11, 0
	v_mov_b32_e32 v62, 0
	s_andn2_b32 vcc_lo, exec_lo, s7
	s_cbranch_vccnz .LBB113_83
; %bb.52:
	s_load_dword s0, s[4:5], 0x44
	v_lshlrev_b32_e32 v49, 3, v1
	s_add_u32 s20, s4, 64
	s_addc_u32 s21, s5, 0
	v_lshlrev_b32_e32 v6, 4, v1
	v_mov_b32_e32 v84, 0
	v_add_co_u32 v10, s1, v49, s2
	v_add_co_ci_u32_e64 v11, null, 0, 0, s1
	v_mov_b32_e32 v83, 0
	v_mul_lo_u32 v4, s11, v10
	v_mad_u64_u32 v[2:3], null, s10, v10, 0
	v_mul_lo_u32 v5, s10, v11
	s_waitcnt lgkmcnt(0)
	s_lshl_b32 s1, s0, 7
	v_add3_u32 v3, v3, v5, v4
	s_mul_i32 s0, s11, s1
	s_mul_hi_u32 s7, s10, s1
	s_mul_i32 s22, s10, s1
	s_add_i32 s23, s7, s0
	v_lshlrev_b64 v[4:5], 1, v[2:3]
	s_lshl_b64 s[22:23], s[22:23], 1
	s_add_u32 s24, s2, 0x7f
	s_addc_u32 s25, 0, 0
	s_lshl_b64 s[26:27], s[2:3], 1
	v_add_co_u32 v6, s0, v6, s26
	v_add_co_ci_u32_e64 v7, null, 0, s27, s0
	v_add_co_u32 v8, vcc_lo, v6, 2
	v_add_co_ci_u32_e64 v9, null, 0, v7, vcc_lo
	v_add_co_u32 v50, vcc_lo, s12, v4
	v_add_co_ci_u32_e64 v51, null, s13, v5, vcc_lo
	;; [unrolled: 2-line block ×6, first 2 shown]
	v_add_co_u32 v41, vcc_lo, v6, 10
	v_mad_u64_u32 v[21:22], null, s10, v4, s[12:13]
	v_mul_lo_u32 v5, s10, v5
	v_mul_lo_u32 v15, s11, v4
	v_mad_u64_u32 v[35:36], null, s10, v4, s[14:15]
	v_add_co_ci_u32_e64 v29, null, 0, v7, vcc_lo
	v_add_co_u32 v43, vcc_lo, v6, 12
	v_add_co_ci_u32_e64 v31, null, 0, v7, vcc_lo
	v_add_co_u32 v6, vcc_lo, v6, 14
	v_mad_u64_u32 v[19:20], null, s10, v8, s[12:13]
	v_mul_lo_u32 v9, s10, v9
	v_mul_lo_u32 v12, s11, v8
	v_mad_u64_u32 v[33:34], null, s10, v8, s[14:15]
	v_add_co_ci_u32_e64 v7, null, 0, v7, vcc_lo
	v_add_co_u32 v4, vcc_lo, v10, 7
	v_add3_u32 v22, v15, v22, v5
	v_add3_u32 v36, v15, v36, v5
	v_add_co_ci_u32_e64 v5, null, 0, v11, vcc_lo
	v_mul_lo_u32 v57, s10, v7
	v_add_co_u32 v7, vcc_lo, v10, 6
	v_add3_u32 v20, v12, v20, v9
	v_add3_u32 v34, v12, v34, v9
	v_add_co_ci_u32_e64 v12, null, 0, v11, vcc_lo
	v_mul_lo_u32 v8, s11, v4
	v_mul_lo_u32 v9, s10, v5
	v_mad_u64_u32 v[4:5], null, s10, v4, 0
	v_mad_u64_u32 v[23:24], null, s10, v13, s[12:13]
	v_mul_lo_u32 v17, s11, v13
	v_mul_lo_u32 v55, s10, v31
	v_mad_u64_u32 v[31:32], null, s10, v6, s[12:13]
	v_mul_lo_u32 v58, s11, v6
	v_mad_u64_u32 v[37:38], null, s10, v13, s[14:15]
	v_mad_u64_u32 v[45:46], null, s10, v6, s[14:15]
	v_mul_lo_u32 v13, s11, v7
	v_mul_lo_u32 v12, s10, v12
	v_mad_u64_u32 v[6:7], null, s10, v7, 0
	v_add3_u32 v5, v5, v9, v8
	v_add_co_u32 v8, vcc_lo, v10, 5
	v_mad_u64_u32 v[27:28], null, s10, v41, s[12:13]
	v_mul_lo_u32 v48, s10, v29
	v_mul_lo_u32 v54, s11, v41
	v_mad_u64_u32 v[41:42], null, s10, v41, s[14:15]
	v_add3_u32 v7, v7, v12, v13
	v_add_co_ci_u32_e64 v9, null, 0, v11, vcc_lo
	v_mad_u64_u32 v[29:30], null, s10, v43, s[12:13]
	v_mul_lo_u32 v56, s11, v43
	v_mad_u64_u32 v[43:44], null, s10, v43, s[14:15]
	v_lshlrev_b64 v[4:5], 1, v[4:5]
	v_lshlrev_b64 v[6:7], 1, v[6:7]
	v_mul_lo_u32 v12, s11, v8
	v_mul_lo_u32 v13, s10, v9
	v_mad_u64_u32 v[8:9], null, s10, v8, 0
	v_add3_u32 v28, v54, v28, v48
	v_add3_u32 v42, v54, v42, v48
	v_add_co_u32 v54, vcc_lo, s12, v4
	v_add3_u32 v30, v56, v30, v55
	v_add3_u32 v44, v56, v44, v55
	v_add_co_ci_u32_e64 v55, null, s13, v5, vcc_lo
	v_add_co_u32 v56, vcc_lo, s14, v4
	v_add3_u32 v32, v58, v32, v57
	v_add3_u32 v46, v58, v46, v57
	v_add_co_ci_u32_e64 v57, null, s15, v5, vcc_lo
	v_add_co_u32 v58, vcc_lo, s12, v6
	v_add_co_ci_u32_e64 v59, null, s13, v7, vcc_lo
	v_add3_u32 v9, v9, v13, v12
	v_add_co_u32 v12, vcc_lo, v10, 4
	v_add_co_ci_u32_e64 v13, null, 0, v11, vcc_lo
	v_add_co_u32 v60, vcc_lo, s14, v6
	v_add_co_ci_u32_e64 v61, null, s15, v7, vcc_lo
	v_lshlrev_b64 v[4:5], 1, v[8:9]
	v_mul_lo_u32 v8, s11, v12
	v_mul_lo_u32 v9, s10, v13
	v_mad_u64_u32 v[6:7], null, s10, v12, 0
	v_mul_lo_u32 v14, s10, v14
	v_add_co_u32 v12, vcc_lo, v10, 3
	v_add_co_ci_u32_e64 v13, null, 0, v11, vcc_lo
	v_add_co_u32 v63, vcc_lo, s12, v4
	v_add_co_ci_u32_e64 v64, null, s13, v5, vcc_lo
	v_add3_u32 v7, v7, v9, v8
	v_add_co_u32 v10, vcc_lo, v10, 2
	v_add3_u32 v24, v17, v24, v14
	v_add3_u32 v38, v17, v38, v14
	v_mul_lo_u32 v14, s11, v12
	v_mul_lo_u32 v13, s10, v13
	v_mad_u64_u32 v[8:9], null, s10, v12, 0
	v_add_co_ci_u32_e64 v11, null, 0, v11, vcc_lo
	v_add_co_u32 v65, vcc_lo, s14, v4
	v_add_co_ci_u32_e64 v66, null, s15, v5, vcc_lo
	v_lshlrev_b64 v[4:5], 1, v[6:7]
	v_mul_lo_u32 v12, s11, v10
	v_mul_lo_u32 v11, s10, v11
	v_mad_u64_u32 v[6:7], null, s10, v10, 0
	v_add3_u32 v9, v9, v13, v14
	v_add_co_u32 v67, vcc_lo, s12, v4
	v_add_co_ci_u32_e64 v68, null, s13, v5, vcc_lo
	v_add_co_u32 v69, vcc_lo, s14, v4
	v_add_co_ci_u32_e64 v70, null, s15, v5, vcc_lo
	v_lshlrev_b64 v[4:5], 1, v[8:9]
	v_add3_u32 v7, v7, v11, v12
	v_add_co_u32 v2, vcc_lo, v2, s10
	v_add_co_ci_u32_e64 v3, null, s11, v3, vcc_lo
	v_lshlrev_b64 v[6:7], 1, v[6:7]
	v_add_co_u32 v71, vcc_lo, s12, v4
	v_add_co_ci_u32_e64 v72, null, s13, v5, vcc_lo
	v_add_co_u32 v73, vcc_lo, s14, v4
	v_lshlrev_b64 v[3:4], 1, v[2:3]
	v_mov_b32_e32 v2, 0
	v_mad_u64_u32 v[25:26], null, s10, v16, s[12:13]
	v_mul_lo_u32 v18, s10, v18
	v_mul_lo_u32 v47, s11, v16
	v_mad_u64_u32 v[39:40], null, s10, v16, s[14:15]
	v_add_co_ci_u32_e64 v74, null, s15, v5, vcc_lo
	v_add_co_u32 v75, vcc_lo, s12, v6
	v_add_co_ci_u32_e64 v76, null, s13, v7, vcc_lo
	v_add_co_u32 v77, vcc_lo, s14, v6
	v_add_nc_u32_e32 v5, s28, v0
	v_mov_b32_e32 v6, v2
	v_add_co_ci_u32_e64 v78, null, s15, v7, vcc_lo
	v_add_co_u32 v79, vcc_lo, s12, v3
	v_add_co_ci_u32_e64 v80, null, s13, v4, vcc_lo
	v_add_co_u32 v81, vcc_lo, s14, v3
	v_add3_u32 v26, v47, v26, v18
	v_add3_u32 v40, v47, v40, v18
	v_lshlrev_b64 v[47:48], 1, v[5:6]
	v_add_co_ci_u32_e64 v82, null, s15, v4, vcc_lo
.LBB113_53:                             ; =>This Inner Loop Header: Depth=1
	v_cmp_ge_i64_e64 s0, s[24:25], s[8:9]
	v_add_co_u32 v85, s7, v49, s24
	v_add_co_ci_u32_e64 v86, null, 0, s25, s7
                                        ; implicit-def: $vgpr62
                                        ; implicit-def: $vgpr11
	s_and_b32 vcc_lo, exec_lo, s0
	s_mov_b32 s0, -1
	s_cbranch_vccz .LBB113_75
; %bb.54:                               ;   in Loop: Header=BB113_53 Depth=1
	s_load_dword s0, s[20:21], 0xc
	v_mov_b32_e32 v87, 0
	v_mov_b32_e32 v62, 0
	s_waitcnt lgkmcnt(0)
	s_and_b32 s0, s0, 0xffff
	v_mad_u32_u24 v3, v1, s0, v0
	s_mov_b32 s0, exec_lo
	v_and_b32_e32 v3, 31, v3
	v_cmpx_gt_u32_e32 8, v3
	s_cbranch_execz .LBB113_58
; %bb.55:                               ;   in Loop: Header=BB113_53 Depth=1
	v_add_co_u32 v3, vcc_lo, v85, v3
	v_add_co_ci_u32_e64 v4, null, 0, v86, vcc_lo
	v_mov_b32_e32 v62, 0
	v_add_co_u32 v3, vcc_lo, 0xffffff81, v3
	v_add_co_ci_u32_e64 v4, null, -1, v4, vcc_lo
	v_mov_b32_e32 v87, 0
	s_mov_b32 s7, exec_lo
	v_cmpx_gt_i64_e64 s[8:9], v[3:4]
	s_cbranch_execz .LBB113_57
; %bb.56:                               ;   in Loop: Header=BB113_53 Depth=1
	v_lshlrev_b64 v[3:4], 2, v[3:4]
	v_add_co_u32 v5, vcc_lo, s16, v3
	v_add_co_ci_u32_e64 v6, null, s17, v4, vcc_lo
	v_add_co_u32 v3, vcc_lo, s18, v3
	v_add_co_ci_u32_e64 v4, null, s19, v4, vcc_lo
	global_load_dword v62, v[5:6], off
	global_load_dword v87, v[3:4], off
.LBB113_57:                             ;   in Loop: Header=BB113_53 Depth=1
	s_or_b32 exec_lo, exec_lo, s7
.LBB113_58:                             ;   in Loop: Header=BB113_53 Depth=1
	s_or_b32 exec_lo, exec_lo, s0
	v_add_co_u32 v10, vcc_lo, 0xffffff81, v85
	v_add_co_ci_u32_e64 v11, null, -1, v86, vcc_lo
	v_mov_b32_e32 v9, v2
	v_mov_b32_e32 v3, v2
	;; [unrolled: 1-line block ×7, first 2 shown]
	v_cmp_gt_i64_e32 vcc_lo, s[8:9], v[10:11]
	v_mov_b32_e32 v18, v9
	v_mov_b32_e32 v15, v6
	;; [unrolled: 1-line block ×16, first 2 shown]
	s_and_saveexec_b32 s0, vcc_lo
	s_cbranch_execz .LBB113_60
; %bb.59:                               ;   in Loop: Header=BB113_53 Depth=1
	v_add_co_u32 v3, vcc_lo, v50, v47
	v_add_co_ci_u32_e64 v4, null, v51, v48, vcc_lo
	v_add_co_u32 v5, vcc_lo, v52, v47
	v_add_co_ci_u32_e64 v6, null, v53, v48, vcc_lo
	global_load_ushort v3, v[3:4], off
	global_load_ushort v11, v[5:6], off
	v_mov_b32_e32 v4, v2
	v_mov_b32_e32 v5, v2
	;; [unrolled: 1-line block ×14, first 2 shown]
	s_waitcnt vmcnt(1)
	v_lshlrev_b32_e32 v3, 16, v3
	s_waitcnt vmcnt(0)
	v_lshlrev_b32_e32 v11, 16, v11
.LBB113_60:                             ;   in Loop: Header=BB113_53 Depth=1
	s_or_b32 exec_lo, exec_lo, s0
	v_add_co_u32 v88, vcc_lo, 0xffffff82, v85
	v_add_co_ci_u32_e64 v89, null, -1, v86, vcc_lo
	s_mov_b32 s0, exec_lo
	v_cmpx_gt_i64_e64 s[8:9], v[88:89]
	s_cbranch_execz .LBB113_62
; %bb.61:                               ;   in Loop: Header=BB113_53 Depth=1
	v_add_co_u32 v88, vcc_lo, v79, v47
	v_add_co_ci_u32_e64 v89, null, v80, v48, vcc_lo
	v_add_co_u32 v90, vcc_lo, v81, v47
	v_add_co_ci_u32_e64 v91, null, v82, v48, vcc_lo
	global_load_ushort v4, v[88:89], off
	global_load_ushort v12, v[90:91], off
	s_waitcnt vmcnt(1)
	v_lshlrev_b32_e32 v4, 16, v4
	s_waitcnt vmcnt(0)
	v_lshlrev_b32_e32 v12, 16, v12
.LBB113_62:                             ;   in Loop: Header=BB113_53 Depth=1
	s_or_b32 exec_lo, exec_lo, s0
	v_add_co_u32 v88, vcc_lo, 0xffffff83, v85
	v_add_co_ci_u32_e64 v89, null, -1, v86, vcc_lo
	s_mov_b32 s0, exec_lo
	v_cmpx_gt_i64_e64 s[8:9], v[88:89]
	s_cbranch_execz .LBB113_64
; %bb.63:                               ;   in Loop: Header=BB113_53 Depth=1
	v_add_co_u32 v88, vcc_lo, v75, v47
	v_add_co_ci_u32_e64 v89, null, v76, v48, vcc_lo
	v_add_co_u32 v90, vcc_lo, v77, v47
	v_add_co_ci_u32_e64 v91, null, v78, v48, vcc_lo
	global_load_ushort v5, v[88:89], off
	global_load_ushort v13, v[90:91], off
	s_waitcnt vmcnt(1)
	v_lshlrev_b32_e32 v5, 16, v5
	s_waitcnt vmcnt(0)
	v_lshlrev_b32_e32 v13, 16, v13
.LBB113_64:                             ;   in Loop: Header=BB113_53 Depth=1
	;; [unrolled: 18-line block ×7, first 2 shown]
	s_or_b32 exec_lo, exec_lo, s0
	s_waitcnt vmcnt(1)
	ds_bpermute_b32 v89, v2, v62
	s_waitcnt vmcnt(0)
	ds_bpermute_b32 v88, v2, v87
	s_mov_b32 s0, 0
	s_waitcnt lgkmcnt(1)
	v_sub_f32_e32 v11, v11, v89
	ds_bpermute_b32 v89, v2, v62 offset:4
	v_mul_f32_e32 v11, v3, v11
	v_add_f32_e32 v3, v84, v3
	s_waitcnt lgkmcnt(1)
	v_fma_f32 v11, v11, v88, v83
	ds_bpermute_b32 v88, v2, v87 offset:4
	v_add_f32_e32 v3, v4, v3
	v_add_f32_e32 v3, v5, v3
	s_waitcnt lgkmcnt(1)
	v_sub_f32_e32 v12, v12, v89
	v_add_f32_e32 v3, v6, v3
	v_mul_f32_e32 v12, v4, v12
	ds_bpermute_b32 v4, v2, v87 offset:8
	v_add_f32_e32 v3, v7, v3
	s_waitcnt lgkmcnt(1)
	v_fmac_f32_e32 v11, v12, v88
	ds_bpermute_b32 v12, v2, v62 offset:8
	v_add_f32_e32 v3, v8, v3
	v_add_f32_e32 v3, v9, v3
	s_waitcnt lgkmcnt(0)
	v_sub_f32_e32 v12, v13, v12
	v_mul_f32_e32 v12, v5, v12
	ds_bpermute_b32 v5, v2, v62 offset:12
	v_fmac_f32_e32 v11, v12, v4
	ds_bpermute_b32 v4, v2, v87 offset:12
	s_waitcnt lgkmcnt(1)
	v_sub_f32_e32 v5, v14, v5
	v_mul_f32_e32 v5, v6, v5
	s_waitcnt lgkmcnt(0)
	v_fmac_f32_e32 v11, v5, v4
	ds_bpermute_b32 v5, v2, v62 offset:16
	ds_bpermute_b32 v4, v2, v87 offset:16
	s_waitcnt lgkmcnt(1)
	v_sub_f32_e32 v5, v15, v5
	v_mul_f32_e32 v5, v7, v5
	s_waitcnt lgkmcnt(0)
	v_fmac_f32_e32 v11, v5, v4
	ds_bpermute_b32 v5, v2, v62 offset:20
	;; [unrolled: 7-line block ×4, first 2 shown]
	ds_bpermute_b32 v4, v2, v87 offset:28
	v_add_f32_e32 v62, v10, v3
	s_waitcnt lgkmcnt(1)
	v_sub_f32_e32 v5, v18, v5
	v_mul_f32_e32 v5, v10, v5
	s_waitcnt lgkmcnt(0)
	v_fmac_f32_e32 v11, v5, v4
.LBB113_75:                             ;   in Loop: Header=BB113_53 Depth=1
	s_and_b32 vcc_lo, exec_lo, s0
	s_cbranch_vccz .LBB113_81
; %bb.76:                               ;   in Loop: Header=BB113_53 Depth=1
	s_load_dword s0, s[20:21], 0x0
	v_mov_b32_e32 v6, 0
	v_mov_b32_e32 v5, 0
	s_waitcnt lgkmcnt(0)
	s_cmp_lt_u32 s6, s0
	s_cselect_b32 s0, 12, 18
	s_add_u32 s12, s20, s0
	s_addc_u32 s13, s21, 0
	s_mov_b32 s0, exec_lo
	global_load_ushort v3, v2, s[12:13]
	s_waitcnt vmcnt(0)
	v_mad_u32_u24 v3, v1, v3, v0
	v_and_b32_e32 v3, 31, v3
	v_cmpx_gt_u32_e32 8, v3
	s_cbranch_execz .LBB113_80
; %bb.77:                               ;   in Loop: Header=BB113_53 Depth=1
	v_add_co_u32 v3, vcc_lo, v85, v3
	v_add_co_ci_u32_e64 v4, null, 0, v86, vcc_lo
	v_mov_b32_e32 v5, 0
	v_add_co_u32 v3, vcc_lo, 0xffffff81, v3
	v_add_co_ci_u32_e64 v4, null, -1, v4, vcc_lo
	v_mov_b32_e32 v6, 0
	s_mov_b32 s7, exec_lo
	v_cmpx_gt_i64_e64 s[8:9], v[3:4]
	s_cbranch_execz .LBB113_79
; %bb.78:                               ;   in Loop: Header=BB113_53 Depth=1
	v_lshlrev_b64 v[3:4], 2, v[3:4]
	v_add_co_u32 v5, vcc_lo, s16, v3
	v_add_co_ci_u32_e64 v6, null, s17, v4, vcc_lo
	v_add_co_u32 v3, vcc_lo, s18, v3
	v_add_co_ci_u32_e64 v4, null, s19, v4, vcc_lo
	global_load_dword v5, v[5:6], off
	global_load_dword v6, v[3:4], off
.LBB113_79:                             ;   in Loop: Header=BB113_53 Depth=1
	s_or_b32 exec_lo, exec_lo, s7
.LBB113_80:                             ;   in Loop: Header=BB113_53 Depth=1
	s_or_b32 exec_lo, exec_lo, s0
	v_add_co_u32 v3, vcc_lo, v50, v47
	v_add_co_ci_u32_e64 v4, null, v51, v48, vcc_lo
	v_add_co_u32 v7, vcc_lo, v52, v47
	v_add_co_ci_u32_e64 v8, null, v53, v48, vcc_lo
	global_load_ushort v15, v[3:4], off
	v_add_co_u32 v3, vcc_lo, v19, v47
	v_add_co_ci_u32_e64 v4, null, v20, v48, vcc_lo
	v_add_co_u32 v9, vcc_lo, v33, v47
	v_add_co_ci_u32_e64 v10, null, v34, v48, vcc_lo
	;; [unrolled: 2-line block ×4, first 2 shown]
	global_load_ushort v16, v[7:8], off
	global_load_ushort v17, v[3:4], off
	;; [unrolled: 1-line block ×5, first 2 shown]
	v_add_co_u32 v3, vcc_lo, v23, v47
	v_add_co_ci_u32_e64 v4, null, v24, v48, vcc_lo
	v_add_co_u32 v7, vcc_lo, v37, v47
	v_add_co_ci_u32_e64 v8, null, v38, v48, vcc_lo
	;; [unrolled: 2-line block ×5, first 2 shown]
	global_load_ushort v86, v[7:8], off
	global_load_ushort v87, v[3:4], off
	;; [unrolled: 1-line block ×5, first 2 shown]
	v_add_co_u32 v3, vcc_lo, v41, v47
	v_add_co_ci_u32_e64 v4, null, v42, v48, vcc_lo
	v_add_co_u32 v7, vcc_lo, v29, v47
	v_add_co_ci_u32_e64 v8, null, v30, v48, vcc_lo
	;; [unrolled: 2-line block ×3, first 2 shown]
	global_load_ushort v13, v[3:4], off
	global_load_ushort v14, v[7:8], off
	;; [unrolled: 1-line block ×3, first 2 shown]
	v_add_co_u32 v7, s0, v45, v47
	v_add_co_u32 v3, vcc_lo, v31, v47
	v_add_co_ci_u32_e64 v8, null, v46, v48, s0
	v_add_co_ci_u32_e64 v4, null, v32, v48, vcc_lo
	global_load_ushort v7, v[7:8], off
	global_load_ushort v3, v[3:4], off
	s_waitcnt vmcnt(17)
	ds_bpermute_b32 v4, v2, v5
	s_waitcnt vmcnt(16)
	ds_bpermute_b32 v8, v2, v6
	ds_bpermute_b32 v89, v2, v5 offset:8
	ds_bpermute_b32 v90, v2, v6 offset:4
	;; [unrolled: 1-line block ×4, first 2 shown]
	s_waitcnt vmcnt(15)
	v_lshlrev_b32_e32 v15, 16, v15
	s_waitcnt vmcnt(14)
	v_lshlrev_b32_e32 v10, 16, v16
	ds_bpermute_b32 v16, v2, v5 offset:4
	s_waitcnt vmcnt(12)
	v_lshlrev_b32_e32 v18, 16, v18
	v_lshlrev_b32_e32 v17, 16, v17
	s_waitcnt vmcnt(10)
	v_lshlrev_b32_e32 v85, 16, v85
	s_waitcnt lgkmcnt(6)
	v_sub_f32_e32 v4, v10, v4
	ds_bpermute_b32 v10, v2, v5 offset:12
	v_lshlrev_b32_e32 v62, 16, v62
	s_waitcnt lgkmcnt(5)
	v_sub_f32_e32 v85, v85, v89
	v_mul_f32_e32 v4, v4, v15
	v_add_f32_e32 v15, v84, v15
	ds_bpermute_b32 v84, v2, v6 offset:20
	ds_bpermute_b32 v89, v2, v6 offset:24
	v_mul_f32_e32 v85, v85, v62
	v_fmac_f32_e32 v83, v4, v8
	ds_bpermute_b32 v8, v2, v5 offset:16
	ds_bpermute_b32 v4, v2, v6 offset:16
	;; [unrolled: 1-line block ×3, first 2 shown]
	s_waitcnt vmcnt(9)
	v_lshlrev_b32_e32 v86, 16, v86
	s_waitcnt lgkmcnt(6)
	v_sub_f32_e32 v16, v18, v16
	ds_bpermute_b32 v18, v2, v5 offset:20
	s_waitcnt vmcnt(8)
	v_lshlrev_b32_e32 v87, 16, v87
	s_waitcnt vmcnt(6)
	v_lshlrev_b32_e32 v11, 16, v11
	s_waitcnt lgkmcnt(6)
	v_sub_f32_e32 v10, v86, v10
	ds_bpermute_b32 v86, v2, v5 offset:24
	v_mul_f32_e32 v16, v16, v17
	ds_bpermute_b32 v5, v2, v5 offset:28
	v_lshlrev_b32_e32 v88, 16, v88
	v_mul_f32_e32 v10, v10, v87
	s_waitcnt vmcnt(5)
	v_lshlrev_b32_e32 v12, 16, v12
	v_fmac_f32_e32 v83, v16, v90
	s_waitcnt lgkmcnt(5)
	v_sub_f32_e32 v8, v11, v8
	s_waitcnt vmcnt(4)
	v_lshlrev_b32_e32 v13, 16, v13
	v_add_f32_e32 v11, v15, v17
	v_fmac_f32_e32 v83, v85, v91
	s_waitcnt vmcnt(2)
	v_lshlrev_b32_e32 v9, 16, v9
	v_mul_f32_e32 v8, v8, v88
	s_waitcnt lgkmcnt(2)
	v_sub_f32_e32 v13, v13, v18
	v_add_f32_e32 v11, v11, v62
	v_fmac_f32_e32 v83, v10, v92
	v_lshlrev_b32_e32 v10, 16, v14
	s_waitcnt lgkmcnt(1)
	v_sub_f32_e32 v9, v9, v86
	v_mul_f32_e32 v13, v13, v12
	v_add_f32_e32 v11, v11, v87
	v_fmac_f32_e32 v83, v8, v4
	s_waitcnt vmcnt(1)
	v_lshlrev_b32_e32 v4, 16, v7
	s_waitcnt vmcnt(0)
	v_lshlrev_b32_e32 v3, 16, v3
	v_mul_f32_e32 v7, v9, v10
	v_add_f32_e32 v8, v11, v88
	v_fmac_f32_e32 v83, v13, v84
	s_waitcnt lgkmcnt(0)
	v_sub_f32_e32 v4, v4, v5
	v_add_f32_e32 v5, v8, v12
	v_fmac_f32_e32 v83, v7, v89
	v_mul_f32_e32 v4, v4, v3
	v_add_f32_e32 v5, v5, v10
	v_fmac_f32_e32 v83, v4, v6
	v_add_f32_e32 v62, v5, v3
	v_mov_b32_e32 v11, v83
.LBB113_81:                             ;   in Loop: Header=BB113_53 Depth=1
	v_add_co_u32 v50, vcc_lo, v50, s22
	v_add_co_ci_u32_e64 v51, null, s23, v51, vcc_lo
	v_add_co_u32 v52, vcc_lo, v52, s22
	v_add_co_ci_u32_e64 v53, null, s23, v53, vcc_lo
	;; [unrolled: 2-line block ×26, first 2 shown]
	v_add_co_u32 v75, vcc_lo, v75, s22
	s_add_u32 s2, s2, s1
	v_add_co_ci_u32_e64 v76, null, s23, v76, vcc_lo
	v_add_co_u32 v77, vcc_lo, v77, s22
	s_addc_u32 s3, s3, 0
	v_add_co_ci_u32_e64 v78, null, s23, v78, vcc_lo
	v_add_co_u32 v79, vcc_lo, v79, s22
	v_cmp_ge_i64_e64 s0, s[2:3], s[8:9]
	v_add_co_ci_u32_e64 v80, null, s23, v80, vcc_lo
	v_add_co_u32 v81, vcc_lo, v81, s22
	v_add_co_ci_u32_e64 v82, null, s23, v82, vcc_lo
	s_add_u32 s24, s24, s1
	s_addc_u32 s25, s25, 0
	s_and_b32 vcc_lo, exec_lo, s0
	s_cbranch_vccnz .LBB113_83
; %bb.82:                               ;   in Loop: Header=BB113_53 Depth=1
	v_mov_b32_e32 v84, v62
	v_mov_b32_e32 v83, v11
	s_branch .LBB113_53
.LBB113_83:
	v_mad_u32_u24 v2, v1, 33, v0
	v_lshrrev_b32_e32 v3, 5, v0
	s_mov_b32 s0, exec_lo
	v_lshl_add_u32 v2, v2, 2, 0
	v_add_nc_u32_e32 v3, v3, v1
	ds_write_b32 v2, v11
	ds_write_b32 v2, v62 offset:2112
	s_waitcnt lgkmcnt(0)
	s_barrier
	buffer_gl0_inv
	v_cmpx_gt_u32_e32 32, v3
	s_cbranch_execz .LBB113_99
; %bb.84:
	s_load_dwordx4 s[12:15], s[4:5], 0x30
	v_and_b32_e32 v1, 31, v0
                                        ; implicit-def: $vgpr2
	v_cmp_gt_u32_e64 s0, 16, v1
	v_mul_u32_u24_e32 v4, 33, v1
                                        ; implicit-def: $vgpr1
	s_and_saveexec_b32 s1, s0
	s_cbranch_execz .LBB113_86
; %bb.85:
	v_add_nc_u32_e32 v1, v3, v4
	v_lshl_add_u32 v1, v1, 2, 0
	ds_read_b32 v2, v1
	ds_read_b32 v1, v1 offset:2112
.LBB113_86:
	s_or_b32 exec_lo, exec_lo, s1
	v_mbcnt_lo_u32_b32 v8, -1, 0
	s_mov_b32 s7, 0
	v_cmp_eq_u32_e64 s1, 0, v0
	s_lshl_b64 s[2:3], s[6:7], 5
	s_waitcnt lgkmcnt(0)
	s_cmp_lg_u64 s[12:13], 0
	v_xor_b32_e32 v5, 8, v8
	v_xor_b32_e32 v6, 4, v8
	;; [unrolled: 1-line block ×3, first 2 shown]
	s_cselect_b32 s5, -1, 0
	s_cmp_lg_u64 s[14:15], 0
	v_cmp_gt_i32_e32 vcc_lo, 32, v5
	s_cselect_b32 s4, -1, 0
	v_cndmask_b32_e32 v5, v8, v5, vcc_lo
	v_cmp_gt_i32_e32 vcc_lo, 32, v6
	v_lshlrev_b32_e32 v5, 2, v5
	v_cndmask_b32_e32 v6, v8, v6, vcc_lo
	ds_bpermute_b32 v7, v5, v2
	ds_bpermute_b32 v9, v5, v1
	v_lshlrev_b32_e32 v6, 2, v6
	s_waitcnt lgkmcnt(1)
	v_add_f32_e32 v2, v2, v7
	s_waitcnt lgkmcnt(0)
	v_add_f32_e32 v1, v1, v9
	v_xor_b32_e32 v7, 2, v8
	ds_bpermute_b32 v9, v6, v2
	ds_bpermute_b32 v10, v6, v1
	v_cmp_gt_i32_e32 vcc_lo, 32, v7
	v_cndmask_b32_e32 v7, v8, v7, vcc_lo
	v_cmp_gt_i32_e32 vcc_lo, 32, v11
	v_lshlrev_b32_e32 v7, 2, v7
	v_cndmask_b32_e32 v8, v8, v11, vcc_lo
	v_lshlrev_b32_e32 v8, 2, v8
	s_waitcnt lgkmcnt(1)
	v_add_f32_e32 v2, v2, v9
	s_waitcnt lgkmcnt(0)
	v_add_f32_e32 v1, v1, v10
	ds_bpermute_b32 v9, v7, v2
	ds_bpermute_b32 v10, v7, v1
	s_waitcnt lgkmcnt(1)
	v_add_f32_e32 v9, v2, v9
	s_waitcnt lgkmcnt(0)
	v_add_f32_e32 v10, v1, v10
	v_or_b32_e32 v1, s2, v3
	v_mov_b32_e32 v2, s3
	ds_bpermute_b32 v11, v8, v9
	ds_bpermute_b32 v12, v8, v10
	v_cmp_gt_i64_e32 vcc_lo, s[10:11], v[1:2]
	s_and_b32 s7, s1, vcc_lo
	s_waitcnt lgkmcnt(1)
	v_add_f32_e32 v9, v9, v11
	s_waitcnt lgkmcnt(0)
	v_add_f32_e32 v10, v10, v12
	s_and_saveexec_b32 s6, s7
	s_cbranch_execz .LBB113_91
; %bb.87:
	v_lshlrev_b64 v[0:1], 1, v[1:2]
	s_andn2_b32 vcc_lo, exec_lo, s5
	s_cbranch_vccnz .LBB113_89
; %bb.88:
	v_bfe_u32 v2, v9, 16, 1
	v_cmp_o_f32_e32 vcc_lo, v9, v9
	v_mov_b32_e32 v11, 0x7fc0
	v_add3_u32 v2, v9, v2, 0x7fff
	v_cndmask_b32_sdwa v2, v11, v2, vcc_lo dst_sel:DWORD dst_unused:UNUSED_PAD src0_sel:DWORD src1_sel:WORD_1
	v_add_co_u32 v11, vcc_lo, s12, v0
	v_add_co_ci_u32_e64 v12, null, s13, v1, vcc_lo
	global_store_short v[11:12], v2, off
.LBB113_89:
	s_andn2_b32 vcc_lo, exec_lo, s4
	s_cbranch_vccnz .LBB113_91
; %bb.90:
	v_bfe_u32 v2, v10, 16, 1
	v_cmp_o_f32_e32 vcc_lo, v10, v10
	v_mov_b32_e32 v11, 0x7fc0
	v_add3_u32 v2, v10, v2, 0x7fff
	v_cndmask_b32_sdwa v2, v11, v2, vcc_lo dst_sel:DWORD dst_unused:UNUSED_PAD src0_sel:DWORD src1_sel:WORD_1
	v_add_co_u32 v0, vcc_lo, s14, v0
	v_add_co_ci_u32_e64 v1, null, s15, v1, vcc_lo
	global_store_short v[0:1], v2, off
.LBB113_91:
	s_or_b32 exec_lo, exec_lo, s6
	v_cmp_gt_u32_e32 vcc_lo, 16, v3
	s_and_b32 exec_lo, exec_lo, vcc_lo
	s_cbranch_execz .LBB113_99
; %bb.92:
	s_and_saveexec_b32 s6, s0
	s_cbranch_execz .LBB113_94
; %bb.93:
	v_add_nc_u32_e32 v0, v3, v4
	v_lshl_add_u32 v0, v0, 2, 0
	ds_read_b32 v9, v0 offset:64
	ds_read_b32 v10, v0 offset:2176
.LBB113_94:
	s_or_b32 exec_lo, exec_lo, s6
	s_waitcnt lgkmcnt(1)
	ds_bpermute_b32 v0, v5, v9
	s_waitcnt lgkmcnt(1)
	ds_bpermute_b32 v1, v5, v10
	v_add_nc_u32_e32 v5, 16, v3
	v_or_b32_e32 v5, s2, v5
	s_waitcnt lgkmcnt(1)
	v_add_f32_e32 v0, v9, v0
	s_waitcnt lgkmcnt(0)
	v_add_f32_e32 v1, v10, v1
	ds_bpermute_b32 v2, v6, v0
	ds_bpermute_b32 v4, v6, v1
	v_mov_b32_e32 v6, s3
	v_cmp_gt_i64_e32 vcc_lo, s[10:11], v[5:6]
	s_and_b32 s0, s1, vcc_lo
	s_waitcnt lgkmcnt(1)
	v_add_f32_e32 v0, v0, v2
	s_waitcnt lgkmcnt(0)
	v_add_f32_e32 v1, v1, v4
	ds_bpermute_b32 v2, v7, v0
	ds_bpermute_b32 v4, v7, v1
	s_waitcnt lgkmcnt(1)
	v_add_f32_e32 v2, v0, v2
	s_waitcnt lgkmcnt(0)
	v_add_f32_e32 v0, v1, v4
	ds_bpermute_b32 v4, v8, v2
	ds_bpermute_b32 v1, v8, v0
	s_and_b32 exec_lo, exec_lo, s0
	s_cbranch_execz .LBB113_99
; %bb.95:
	s_andn2_b32 vcc_lo, exec_lo, s5
	s_cbranch_vccnz .LBB113_97
; %bb.96:
	s_waitcnt lgkmcnt(1)
	v_add_f32_e32 v2, v2, v4
	v_add_co_u32 v4, s0, s2, v3
	v_add_co_ci_u32_e64 v5, null, s3, 0, s0
	v_bfe_u32 v6, v2, 16, 1
	v_cmp_o_f32_e32 vcc_lo, v2, v2
	v_mov_b32_e32 v7, 0x7fc0
	v_lshlrev_b64 v[4:5], 1, v[4:5]
	v_add3_u32 v2, v2, v6, 0x7fff
	v_cndmask_b32_sdwa v2, v7, v2, vcc_lo dst_sel:DWORD dst_unused:UNUSED_PAD src0_sel:DWORD src1_sel:WORD_1
	v_add_co_u32 v4, vcc_lo, s12, v4
	v_add_co_ci_u32_e64 v5, null, s13, v5, vcc_lo
	global_store_short v[4:5], v2, off offset:32
.LBB113_97:
	s_andn2_b32 vcc_lo, exec_lo, s4
	s_cbranch_vccnz .LBB113_99
; %bb.98:
	s_waitcnt lgkmcnt(0)
	v_add_f32_e32 v2, v0, v1
	v_add_co_u32 v0, s0, s2, v3
	v_add_co_ci_u32_e64 v1, null, s3, 0, s0
	v_bfe_u32 v4, v2, 16, 1
	v_cmp_o_f32_e32 vcc_lo, v2, v2
	v_mov_b32_e32 v3, 0x7fc0
	v_lshlrev_b64 v[0:1], 1, v[0:1]
	v_add3_u32 v2, v2, v4, 0x7fff
	v_cndmask_b32_sdwa v2, v3, v2, vcc_lo dst_sel:DWORD dst_unused:UNUSED_PAD src0_sel:DWORD src1_sel:WORD_1
	v_add_co_u32 v0, vcc_lo, s14, v0
	v_add_co_ci_u32_e64 v1, null, s15, v1, vcc_lo
	global_store_short v[0:1], v2, off offset:32
.LBB113_99:
	s_endpgm
	.section	.rodata,"a",@progbits
	.p2align	6, 0x0
	.amdhsa_kernel _ZN2at6native12_GLOBAL__N_135GammaBetaBackwardCUDAKernelTemplateIN3c108BFloat16EfLj32ELj16ELj128ELb0ELb0ELb0EEEvllPKT_S7_PKT0_SA_PS5_SB_
		.amdhsa_group_segment_fixed_size 0
		.amdhsa_private_segment_fixed_size 0
		.amdhsa_kernarg_size 320
		.amdhsa_user_sgpr_count 6
		.amdhsa_user_sgpr_private_segment_buffer 1
		.amdhsa_user_sgpr_dispatch_ptr 0
		.amdhsa_user_sgpr_queue_ptr 0
		.amdhsa_user_sgpr_kernarg_segment_ptr 1
		.amdhsa_user_sgpr_dispatch_id 0
		.amdhsa_user_sgpr_flat_scratch_init 0
		.amdhsa_user_sgpr_private_segment_size 0
		.amdhsa_wavefront_size32 1
		.amdhsa_uses_dynamic_stack 0
		.amdhsa_system_sgpr_private_segment_wavefront_offset 0
		.amdhsa_system_sgpr_workgroup_id_x 1
		.amdhsa_system_sgpr_workgroup_id_y 1
		.amdhsa_system_sgpr_workgroup_id_z 0
		.amdhsa_system_sgpr_workgroup_info 0
		.amdhsa_system_vgpr_workitem_id 1
		.amdhsa_next_free_vgpr 93
		.amdhsa_next_free_sgpr 32
		.amdhsa_reserve_vcc 1
		.amdhsa_reserve_flat_scratch 0
		.amdhsa_float_round_mode_32 0
		.amdhsa_float_round_mode_16_64 0
		.amdhsa_float_denorm_mode_32 3
		.amdhsa_float_denorm_mode_16_64 3
		.amdhsa_dx10_clamp 1
		.amdhsa_ieee_mode 1
		.amdhsa_fp16_overflow 0
		.amdhsa_workgroup_processor_mode 1
		.amdhsa_memory_ordered 1
		.amdhsa_forward_progress 1
		.amdhsa_shared_vgpr_count 0
		.amdhsa_exception_fp_ieee_invalid_op 0
		.amdhsa_exception_fp_denorm_src 0
		.amdhsa_exception_fp_ieee_div_zero 0
		.amdhsa_exception_fp_ieee_overflow 0
		.amdhsa_exception_fp_ieee_underflow 0
		.amdhsa_exception_fp_ieee_inexact 0
		.amdhsa_exception_int_div_zero 0
	.end_amdhsa_kernel
	.section	.text._ZN2at6native12_GLOBAL__N_135GammaBetaBackwardCUDAKernelTemplateIN3c108BFloat16EfLj32ELj16ELj128ELb0ELb0ELb0EEEvllPKT_S7_PKT0_SA_PS5_SB_,"axG",@progbits,_ZN2at6native12_GLOBAL__N_135GammaBetaBackwardCUDAKernelTemplateIN3c108BFloat16EfLj32ELj16ELj128ELb0ELb0ELb0EEEvllPKT_S7_PKT0_SA_PS5_SB_,comdat
.Lfunc_end113:
	.size	_ZN2at6native12_GLOBAL__N_135GammaBetaBackwardCUDAKernelTemplateIN3c108BFloat16EfLj32ELj16ELj128ELb0ELb0ELb0EEEvllPKT_S7_PKT0_SA_PS5_SB_, .Lfunc_end113-_ZN2at6native12_GLOBAL__N_135GammaBetaBackwardCUDAKernelTemplateIN3c108BFloat16EfLj32ELj16ELj128ELb0ELb0ELb0EEEvllPKT_S7_PKT0_SA_PS5_SB_
                                        ; -- End function
	.set _ZN2at6native12_GLOBAL__N_135GammaBetaBackwardCUDAKernelTemplateIN3c108BFloat16EfLj32ELj16ELj128ELb0ELb0ELb0EEEvllPKT_S7_PKT0_SA_PS5_SB_.num_vgpr, 93
	.set _ZN2at6native12_GLOBAL__N_135GammaBetaBackwardCUDAKernelTemplateIN3c108BFloat16EfLj32ELj16ELj128ELb0ELb0ELb0EEEvllPKT_S7_PKT0_SA_PS5_SB_.num_agpr, 0
	.set _ZN2at6native12_GLOBAL__N_135GammaBetaBackwardCUDAKernelTemplateIN3c108BFloat16EfLj32ELj16ELj128ELb0ELb0ELb0EEEvllPKT_S7_PKT0_SA_PS5_SB_.numbered_sgpr, 32
	.set _ZN2at6native12_GLOBAL__N_135GammaBetaBackwardCUDAKernelTemplateIN3c108BFloat16EfLj32ELj16ELj128ELb0ELb0ELb0EEEvllPKT_S7_PKT0_SA_PS5_SB_.num_named_barrier, 0
	.set _ZN2at6native12_GLOBAL__N_135GammaBetaBackwardCUDAKernelTemplateIN3c108BFloat16EfLj32ELj16ELj128ELb0ELb0ELb0EEEvllPKT_S7_PKT0_SA_PS5_SB_.private_seg_size, 0
	.set _ZN2at6native12_GLOBAL__N_135GammaBetaBackwardCUDAKernelTemplateIN3c108BFloat16EfLj32ELj16ELj128ELb0ELb0ELb0EEEvllPKT_S7_PKT0_SA_PS5_SB_.uses_vcc, 1
	.set _ZN2at6native12_GLOBAL__N_135GammaBetaBackwardCUDAKernelTemplateIN3c108BFloat16EfLj32ELj16ELj128ELb0ELb0ELb0EEEvllPKT_S7_PKT0_SA_PS5_SB_.uses_flat_scratch, 0
	.set _ZN2at6native12_GLOBAL__N_135GammaBetaBackwardCUDAKernelTemplateIN3c108BFloat16EfLj32ELj16ELj128ELb0ELb0ELb0EEEvllPKT_S7_PKT0_SA_PS5_SB_.has_dyn_sized_stack, 0
	.set _ZN2at6native12_GLOBAL__N_135GammaBetaBackwardCUDAKernelTemplateIN3c108BFloat16EfLj32ELj16ELj128ELb0ELb0ELb0EEEvllPKT_S7_PKT0_SA_PS5_SB_.has_recursion, 0
	.set _ZN2at6native12_GLOBAL__N_135GammaBetaBackwardCUDAKernelTemplateIN3c108BFloat16EfLj32ELj16ELj128ELb0ELb0ELb0EEEvllPKT_S7_PKT0_SA_PS5_SB_.has_indirect_call, 0
	.section	.AMDGPU.csdata,"",@progbits
; Kernel info:
; codeLenInByte = 9280
; TotalNumSgprs: 34
; NumVgprs: 93
; ScratchSize: 0
; MemoryBound: 0
; FloatMode: 240
; IeeeMode: 1
; LDSByteSize: 0 bytes/workgroup (compile time only)
; SGPRBlocks: 0
; VGPRBlocks: 11
; NumSGPRsForWavesPerEU: 34
; NumVGPRsForWavesPerEU: 93
; Occupancy: 10
; WaveLimiterHint : 0
; COMPUTE_PGM_RSRC2:SCRATCH_EN: 0
; COMPUTE_PGM_RSRC2:USER_SGPR: 6
; COMPUTE_PGM_RSRC2:TRAP_HANDLER: 0
; COMPUTE_PGM_RSRC2:TGID_X_EN: 1
; COMPUTE_PGM_RSRC2:TGID_Y_EN: 1
; COMPUTE_PGM_RSRC2:TGID_Z_EN: 0
; COMPUTE_PGM_RSRC2:TIDIG_COMP_CNT: 1
	.section	.text._ZN2at6native12_GLOBAL__N_135GammaBetaBackwardCUDAKernelTemplateIN3c108BFloat16EfLj32ELj32ELj256ELb0ELb1ELb0EEEvllPKT_S7_PKT0_SA_PS5_SB_,"axG",@progbits,_ZN2at6native12_GLOBAL__N_135GammaBetaBackwardCUDAKernelTemplateIN3c108BFloat16EfLj32ELj32ELj256ELb0ELb1ELb0EEEvllPKT_S7_PKT0_SA_PS5_SB_,comdat
	.globl	_ZN2at6native12_GLOBAL__N_135GammaBetaBackwardCUDAKernelTemplateIN3c108BFloat16EfLj32ELj32ELj256ELb0ELb1ELb0EEEvllPKT_S7_PKT0_SA_PS5_SB_ ; -- Begin function _ZN2at6native12_GLOBAL__N_135GammaBetaBackwardCUDAKernelTemplateIN3c108BFloat16EfLj32ELj32ELj256ELb0ELb1ELb0EEEvllPKT_S7_PKT0_SA_PS5_SB_
	.p2align	8
	.type	_ZN2at6native12_GLOBAL__N_135GammaBetaBackwardCUDAKernelTemplateIN3c108BFloat16EfLj32ELj32ELj256ELb0ELb1ELb0EEEvllPKT_S7_PKT0_SA_PS5_SB_,@function
_ZN2at6native12_GLOBAL__N_135GammaBetaBackwardCUDAKernelTemplateIN3c108BFloat16EfLj32ELj32ELj256ELb0ELb1ELb0EEEvllPKT_S7_PKT0_SA_PS5_SB_: ; @_ZN2at6native12_GLOBAL__N_135GammaBetaBackwardCUDAKernelTemplateIN3c108BFloat16EfLj32ELj32ELj256ELb0ELb1ELb0EEEvllPKT_S7_PKT0_SA_PS5_SB_
; %bb.0:
	s_load_dwordx4 s[20:23], s[4:5], 0x0
	s_lshl_b32 s2, s7, 8
	s_mov_b32 s3, 0
	s_waitcnt lgkmcnt(0)
	v_cmp_gt_i64_e64 s0, s[20:21], s[2:3]
	s_and_b32 vcc_lo, exec_lo, s0
	s_cbranch_vccnz .LBB114_2
; %bb.1:
	s_mov_b32 s0, s3
	s_branch .LBB114_3
.LBB114_2:
	s_mov_b32 s0, -1
.LBB114_3:
	s_load_dwordx4 s[16:19], s[4:5], 0x30
	v_mov_b32_e32 v2, 0
	v_mov_b32_e32 v17, 0
	s_andn2_b32 vcc_lo, exec_lo, s0
	s_cbranch_vccnz .LBB114_10
; %bb.4:
	s_clause 0x2
	s_load_dword s0, s[4:5], 0x4c
	s_load_dword s1, s[4:5], 0x44
	s_load_dwordx8 s[8:15], s[4:5], 0x10
	v_lshlrev_b32_e32 v4, 3, v1
	v_mov_b32_e32 v3, 0
	v_lshl_add_u32 v2, s6, 5, v0
	v_mov_b32_e32 v8, 4
	v_mov_b32_e32 v9, 8
	v_add_co_u32 v4, s4, v4, s2
	v_add_co_ci_u32_e64 v5, null, 0, 0, s4
	v_mov_b32_e32 v10, 12
	v_mul_lo_u32 v17, s23, v4
	v_mad_u64_u32 v[6:7], null, s22, v4, 0
	v_mul_lo_u32 v18, s22, v5
	v_mov_b32_e32 v11, 16
	v_mov_b32_e32 v12, 20
	;; [unrolled: 1-line block ×3, first 2 shown]
	s_waitcnt lgkmcnt(0)
	s_and_b32 s0, s0, 0xffff
	s_lshl_b32 s4, s1, 8
	v_mad_u32_u24 v15, v1, s0, v0
	s_mul_i32 s1, s23, s4
	v_add3_u32 v7, v7, v18, v17
	s_mul_hi_u32 s7, s22, s4
	v_mov_b32_e32 v14, 28
	v_and_b32_e32 v19, 31, v15
	v_lshlrev_b64 v[15:16], 1, v[2:3]
	v_lshlrev_b64 v[17:18], 1, v[6:7]
	v_mov_b32_e32 v2, 0
	s_mov_b32 s5, 0
	v_add_co_u32 v4, vcc_lo, v4, v19
	v_add_co_ci_u32_e64 v5, null, 0, v5, vcc_lo
	v_add_co_u32 v15, vcc_lo, v17, v15
	v_cmp_gt_u32_e64 s0, 8, v19
	v_lshlrev_b64 v[6:7], 2, v[4:5]
	v_add_co_ci_u32_e64 v16, null, v18, v16, vcc_lo
	v_mov_b32_e32 v17, 0
	s_add_i32 s27, s7, s1
	s_mul_i32 s26, s22, s4
	s_lshl_b64 s[24:25], s[4:5], 2
	s_lshl_b64 s[26:27], s[26:27], 1
	;; [unrolled: 1-line block ×3, first 2 shown]
	s_branch .LBB114_7
.LBB114_5:                              ;   in Loop: Header=BB114_7 Depth=1
	s_or_b32 exec_lo, exec_lo, s5
.LBB114_6:                              ;   in Loop: Header=BB114_7 Depth=1
	s_or_b32 exec_lo, exec_lo, s1
	v_add_co_u32 v20, vcc_lo, s8, v15
	v_add_co_ci_u32_e64 v21, null, s9, v16, vcc_lo
	v_add_co_u32 v22, vcc_lo, s10, v15
	v_add_co_ci_u32_e64 v23, null, s11, v16, vcc_lo
	v_add_co_u32 v24, vcc_lo, v20, s22
	v_add_co_ci_u32_e64 v25, null, s23, v21, vcc_lo
	v_add_co_u32 v26, vcc_lo, v22, s22
	v_add_co_ci_u32_e64 v27, null, s23, v23, vcc_lo
	v_add_co_u32 v28, vcc_lo, v24, s22
	v_add_co_ci_u32_e64 v29, null, s23, v25, vcc_lo
	global_load_ushort v30, v[20:21], off
	global_load_ushort v31, v[22:23], off
	;; [unrolled: 1-line block ×5, first 2 shown]
	v_add_co_u32 v20, vcc_lo, v26, s22
	v_add_co_ci_u32_e64 v21, null, s23, v27, vcc_lo
	v_add_co_u32 v22, vcc_lo, v28, s22
	v_add_co_ci_u32_e64 v23, null, s23, v29, vcc_lo
	;; [unrolled: 2-line block ×5, first 2 shown]
	global_load_ushort v35, v[20:21], off
	global_load_ushort v36, v[22:23], off
	;; [unrolled: 1-line block ×5, first 2 shown]
	v_add_co_u32 v20, vcc_lo, v26, s22
	v_add_co_ci_u32_e64 v21, null, s23, v27, vcc_lo
	v_add_co_u32 v22, vcc_lo, v28, s22
	v_add_co_ci_u32_e64 v23, null, s23, v29, vcc_lo
	;; [unrolled: 2-line block ×4, first 2 shown]
	global_load_ushort v28, v[20:21], off
	global_load_ushort v29, v[22:23], off
	;; [unrolled: 1-line block ×4, first 2 shown]
	v_add_co_u32 v20, vcc_lo, v26, s22
	v_add_co_ci_u32_e64 v21, null, s23, v27, vcc_lo
	v_add_co_u32 v22, vcc_lo, v24, s22
	v_add_co_ci_u32_e64 v23, null, s23, v25, vcc_lo
	global_load_ushort v20, v[20:21], off
	global_load_ushort v21, v[22:23], off
	s_waitcnt vmcnt(17)
	ds_bpermute_b32 v22, v3, v18
	ds_bpermute_b32 v25, v8, v18
	s_waitcnt vmcnt(16)
	ds_bpermute_b32 v23, v3, v19
	ds_bpermute_b32 v27, v9, v18
	;; [unrolled: 1-line block ×14, first 2 shown]
	s_add_u32 s2, s2, s4
	v_add_co_u32 v6, vcc_lo, v6, s24
	s_addc_u32 s3, s3, 0
	v_add_co_ci_u32_e64 v7, null, s25, v7, vcc_lo
	v_add_co_u32 v4, vcc_lo, v4, s4
	v_cmp_lt_i64_e64 s1, s[2:3], s[20:21]
	v_add_co_ci_u32_e64 v5, null, 0, v5, vcc_lo
	v_add_co_u32 v15, vcc_lo, v15, s26
	v_add_co_ci_u32_e64 v16, null, s27, v16, vcc_lo
	s_and_b32 vcc_lo, exec_lo, s1
	s_waitcnt vmcnt(15)
	v_lshlrev_b32_e32 v30, 16, v30
	s_waitcnt vmcnt(14)
	v_lshlrev_b32_e32 v31, 16, v31
	;; [unrolled: 2-line block ×3, first 2 shown]
	v_add_f32_e32 v17, v17, v30
	s_waitcnt lgkmcnt(15)
	v_sub_f32_e32 v22, v31, v22
	v_lshlrev_b32_e32 v31, 16, v32
	s_waitcnt lgkmcnt(14)
	v_sub_f32_e32 v25, v33, v25
	v_mul_f32_e32 v22, v22, v30
	s_waitcnt vmcnt(11)
	v_lshlrev_b32_e32 v30, 16, v34
	v_add_f32_e32 v17, v17, v31
	s_waitcnt lgkmcnt(13)
	v_fmac_f32_e32 v2, v22, v23
	v_mul_f32_e32 v22, v25, v31
	v_add_f32_e32 v17, v17, v30
	s_waitcnt vmcnt(10)
	v_lshlrev_b32_e32 v32, 16, v35
	s_waitcnt lgkmcnt(11)
	v_fmac_f32_e32 v2, v22, v24
	s_waitcnt vmcnt(8)
	v_lshlrev_b32_e32 v25, 16, v37
	s_waitcnt vmcnt(6)
	v_lshlrev_b32_e32 v24, 16, v39
	v_sub_f32_e32 v23, v32, v27
	v_lshlrev_b32_e32 v27, 16, v36
	v_mul_f32_e32 v22, v23, v30
	s_waitcnt lgkmcnt(10)
	v_sub_f32_e32 v23, v25, v43
	v_lshlrev_b32_e32 v25, 16, v38
	v_add_f32_e32 v17, v17, v27
	s_waitcnt lgkmcnt(9)
	v_fmac_f32_e32 v2, v22, v26
	v_mul_f32_e32 v22, v23, v27
	s_waitcnt lgkmcnt(8)
	v_sub_f32_e32 v23, v24, v45
	s_waitcnt vmcnt(5)
	v_lshlrev_b32_e32 v26, 16, v28
	s_waitcnt vmcnt(4)
	v_lshlrev_b32_e32 v24, 16, v29
	v_add_f32_e32 v17, v17, v25
	s_waitcnt lgkmcnt(7)
	v_fmac_f32_e32 v2, v22, v42
	v_mul_f32_e32 v22, v23, v25
	s_waitcnt vmcnt(3)
	v_lshlrev_b32_e32 v25, 16, v40
	s_waitcnt lgkmcnt(6)
	v_sub_f32_e32 v23, v24, v47
	s_waitcnt vmcnt(2)
	v_lshlrev_b32_e32 v24, 16, v41
	v_add_f32_e32 v17, v17, v26
	s_waitcnt lgkmcnt(5)
	v_fmac_f32_e32 v2, v22, v44
	v_mul_f32_e32 v22, v23, v26
	s_waitcnt lgkmcnt(4)
	v_sub_f32_e32 v23, v24, v49
	s_waitcnt vmcnt(1)
	v_lshlrev_b32_e32 v20, 16, v20
	s_waitcnt vmcnt(0)
	v_lshlrev_b32_e32 v21, 16, v21
	v_add_f32_e32 v17, v17, v25
	s_waitcnt lgkmcnt(3)
	v_fmac_f32_e32 v2, v22, v46
	v_mul_f32_e32 v22, v23, v25
	s_waitcnt lgkmcnt(2)
	v_sub_f32_e32 v18, v20, v18
	v_add_f32_e32 v17, v17, v21
	s_waitcnt lgkmcnt(1)
	v_fmac_f32_e32 v2, v22, v48
	v_mul_f32_e32 v18, v18, v21
	s_waitcnt lgkmcnt(0)
	v_fmac_f32_e32 v2, v18, v19
	s_cbranch_vccz .LBB114_10
.LBB114_7:                              ; =>This Inner Loop Header: Depth=1
	v_mov_b32_e32 v19, 0
	v_mov_b32_e32 v18, 0
	s_and_saveexec_b32 s1, s0
	s_cbranch_execz .LBB114_6
; %bb.8:                                ;   in Loop: Header=BB114_7 Depth=1
	v_mov_b32_e32 v18, 0
	v_mov_b32_e32 v19, 0
	s_mov_b32 s5, exec_lo
	v_cmpx_gt_i64_e64 s[20:21], v[4:5]
	s_cbranch_execz .LBB114_5
; %bb.9:                                ;   in Loop: Header=BB114_7 Depth=1
	v_add_co_u32 v18, vcc_lo, s12, v6
	v_add_co_ci_u32_e64 v19, null, s13, v7, vcc_lo
	v_add_co_u32 v20, vcc_lo, s14, v6
	v_add_co_ci_u32_e64 v21, null, s15, v7, vcc_lo
	global_load_dword v18, v[18:19], off
	global_load_dword v19, v[20:21], off
	s_branch .LBB114_5
.LBB114_10:
	v_mad_u32_u24 v3, v1, 33, v0
	v_lshrrev_b32_e32 v4, 5, v0
	s_mov_b32 s0, exec_lo
	v_lshl_add_u32 v3, v3, 2, 0
	v_add_nc_u32_e32 v1, v4, v1
	ds_write_b32 v3, v2
	ds_write_b32 v3, v17 offset:4224
	s_waitcnt lgkmcnt(0)
	s_barrier
	buffer_gl0_inv
	v_cmpx_gt_u32_e32 32, v1
	s_cbranch_execz .LBB114_16
; %bb.11:
	v_and_b32_e32 v2, 31, v0
	v_mbcnt_lo_u32_b32 v3, -1, 0
	v_mad_u32_u24 v2, v2, 33, v1
	v_xor_b32_e32 v5, 16, v3
	v_xor_b32_e32 v7, 8, v3
	v_lshl_add_u32 v2, v2, 2, 0
	v_cmp_gt_i32_e32 vcc_lo, 32, v5
	ds_read_b32 v4, v2
	ds_read_b32 v2, v2 offset:4224
	v_cndmask_b32_e32 v5, v3, v5, vcc_lo
	v_cmp_gt_i32_e32 vcc_lo, 32, v7
	v_lshlrev_b32_e32 v5, 2, v5
	v_cndmask_b32_e32 v7, v3, v7, vcc_lo
	v_lshlrev_b32_e32 v7, 2, v7
	s_waitcnt lgkmcnt(1)
	ds_bpermute_b32 v6, v5, v4
	s_waitcnt lgkmcnt(1)
	ds_bpermute_b32 v5, v5, v2
	s_waitcnt lgkmcnt(1)
	v_add_f32_e32 v4, v4, v6
	s_waitcnt lgkmcnt(0)
	v_add_f32_e32 v2, v2, v5
	ds_bpermute_b32 v5, v7, v4
	ds_bpermute_b32 v6, v7, v2
	v_xor_b32_e32 v7, 4, v3
	v_cmp_gt_i32_e32 vcc_lo, 32, v7
	v_cndmask_b32_e32 v7, v3, v7, vcc_lo
	v_lshlrev_b32_e32 v7, 2, v7
	s_waitcnt lgkmcnt(1)
	v_add_f32_e32 v4, v4, v5
	s_waitcnt lgkmcnt(0)
	v_add_f32_e32 v2, v2, v6
	ds_bpermute_b32 v5, v7, v4
	ds_bpermute_b32 v6, v7, v2
	v_xor_b32_e32 v7, 2, v3
	v_cmp_gt_i32_e32 vcc_lo, 32, v7
	v_cndmask_b32_e32 v7, v3, v7, vcc_lo
	v_lshlrev_b32_e32 v7, 2, v7
	s_waitcnt lgkmcnt(1)
	v_add_f32_e32 v4, v4, v5
	s_waitcnt lgkmcnt(0)
	v_add_f32_e32 v2, v2, v6
	ds_bpermute_b32 v5, v7, v4
	ds_bpermute_b32 v6, v7, v2
	v_xor_b32_e32 v7, 1, v3
	v_cmp_gt_i32_e32 vcc_lo, 32, v7
	v_cndmask_b32_e32 v3, v3, v7, vcc_lo
	v_cmp_eq_u32_e32 vcc_lo, 0, v0
	v_lshlrev_b32_e32 v3, 2, v3
	s_waitcnt lgkmcnt(1)
	v_add_f32_e32 v4, v4, v5
	s_waitcnt lgkmcnt(0)
	v_add_f32_e32 v2, v2, v6
	ds_bpermute_b32 v5, v3, v4
	ds_bpermute_b32 v3, v3, v2
	s_and_b32 exec_lo, exec_lo, vcc_lo
	s_cbranch_execz .LBB114_16
; %bb.12:
	s_mov_b32 s7, 0
	s_lshl_b64 s[0:1], s[6:7], 5
	s_cmp_eq_u64 s[16:17], 0
	v_or_b32_e32 v0, s0, v1
	v_mov_b32_e32 v1, s1
	v_lshlrev_b64 v[0:1], 1, v[0:1]
	s_cbranch_scc1 .LBB114_14
; %bb.13:
	s_waitcnt lgkmcnt(1)
	v_add_f32_e32 v4, v4, v5
	v_mov_b32_e32 v6, 0x7fc0
	v_bfe_u32 v5, v4, 16, 1
	v_cmp_o_f32_e32 vcc_lo, v4, v4
	v_add3_u32 v4, v4, v5, 0x7fff
	v_cndmask_b32_sdwa v6, v6, v4, vcc_lo dst_sel:DWORD dst_unused:UNUSED_PAD src0_sel:DWORD src1_sel:WORD_1
	v_add_co_u32 v4, vcc_lo, s16, v0
	v_add_co_ci_u32_e64 v5, null, s17, v1, vcc_lo
	global_store_short v[4:5], v6, off
.LBB114_14:
	s_cmp_eq_u64 s[18:19], 0
	s_cbranch_scc1 .LBB114_16
; %bb.15:
	s_waitcnt lgkmcnt(0)
	v_add_f32_e32 v2, v2, v3
	v_mov_b32_e32 v4, 0x7fc0
	v_bfe_u32 v3, v2, 16, 1
	v_cmp_o_f32_e32 vcc_lo, v2, v2
	v_add3_u32 v2, v2, v3, 0x7fff
	v_cndmask_b32_sdwa v2, v4, v2, vcc_lo dst_sel:DWORD dst_unused:UNUSED_PAD src0_sel:DWORD src1_sel:WORD_1
	v_add_co_u32 v0, vcc_lo, s18, v0
	v_add_co_ci_u32_e64 v1, null, s19, v1, vcc_lo
	global_store_short v[0:1], v2, off
.LBB114_16:
	s_endpgm
	.section	.rodata,"a",@progbits
	.p2align	6, 0x0
	.amdhsa_kernel _ZN2at6native12_GLOBAL__N_135GammaBetaBackwardCUDAKernelTemplateIN3c108BFloat16EfLj32ELj32ELj256ELb0ELb1ELb0EEEvllPKT_S7_PKT0_SA_PS5_SB_
		.amdhsa_group_segment_fixed_size 0
		.amdhsa_private_segment_fixed_size 0
		.amdhsa_kernarg_size 320
		.amdhsa_user_sgpr_count 6
		.amdhsa_user_sgpr_private_segment_buffer 1
		.amdhsa_user_sgpr_dispatch_ptr 0
		.amdhsa_user_sgpr_queue_ptr 0
		.amdhsa_user_sgpr_kernarg_segment_ptr 1
		.amdhsa_user_sgpr_dispatch_id 0
		.amdhsa_user_sgpr_flat_scratch_init 0
		.amdhsa_user_sgpr_private_segment_size 0
		.amdhsa_wavefront_size32 1
		.amdhsa_uses_dynamic_stack 0
		.amdhsa_system_sgpr_private_segment_wavefront_offset 0
		.amdhsa_system_sgpr_workgroup_id_x 1
		.amdhsa_system_sgpr_workgroup_id_y 1
		.amdhsa_system_sgpr_workgroup_id_z 0
		.amdhsa_system_sgpr_workgroup_info 0
		.amdhsa_system_vgpr_workitem_id 1
		.amdhsa_next_free_vgpr 50
		.amdhsa_next_free_sgpr 28
		.amdhsa_reserve_vcc 1
		.amdhsa_reserve_flat_scratch 0
		.amdhsa_float_round_mode_32 0
		.amdhsa_float_round_mode_16_64 0
		.amdhsa_float_denorm_mode_32 3
		.amdhsa_float_denorm_mode_16_64 3
		.amdhsa_dx10_clamp 1
		.amdhsa_ieee_mode 1
		.amdhsa_fp16_overflow 0
		.amdhsa_workgroup_processor_mode 1
		.amdhsa_memory_ordered 1
		.amdhsa_forward_progress 1
		.amdhsa_shared_vgpr_count 0
		.amdhsa_exception_fp_ieee_invalid_op 0
		.amdhsa_exception_fp_denorm_src 0
		.amdhsa_exception_fp_ieee_div_zero 0
		.amdhsa_exception_fp_ieee_overflow 0
		.amdhsa_exception_fp_ieee_underflow 0
		.amdhsa_exception_fp_ieee_inexact 0
		.amdhsa_exception_int_div_zero 0
	.end_amdhsa_kernel
	.section	.text._ZN2at6native12_GLOBAL__N_135GammaBetaBackwardCUDAKernelTemplateIN3c108BFloat16EfLj32ELj32ELj256ELb0ELb1ELb0EEEvllPKT_S7_PKT0_SA_PS5_SB_,"axG",@progbits,_ZN2at6native12_GLOBAL__N_135GammaBetaBackwardCUDAKernelTemplateIN3c108BFloat16EfLj32ELj32ELj256ELb0ELb1ELb0EEEvllPKT_S7_PKT0_SA_PS5_SB_,comdat
.Lfunc_end114:
	.size	_ZN2at6native12_GLOBAL__N_135GammaBetaBackwardCUDAKernelTemplateIN3c108BFloat16EfLj32ELj32ELj256ELb0ELb1ELb0EEEvllPKT_S7_PKT0_SA_PS5_SB_, .Lfunc_end114-_ZN2at6native12_GLOBAL__N_135GammaBetaBackwardCUDAKernelTemplateIN3c108BFloat16EfLj32ELj32ELj256ELb0ELb1ELb0EEEvllPKT_S7_PKT0_SA_PS5_SB_
                                        ; -- End function
	.set _ZN2at6native12_GLOBAL__N_135GammaBetaBackwardCUDAKernelTemplateIN3c108BFloat16EfLj32ELj32ELj256ELb0ELb1ELb0EEEvllPKT_S7_PKT0_SA_PS5_SB_.num_vgpr, 50
	.set _ZN2at6native12_GLOBAL__N_135GammaBetaBackwardCUDAKernelTemplateIN3c108BFloat16EfLj32ELj32ELj256ELb0ELb1ELb0EEEvllPKT_S7_PKT0_SA_PS5_SB_.num_agpr, 0
	.set _ZN2at6native12_GLOBAL__N_135GammaBetaBackwardCUDAKernelTemplateIN3c108BFloat16EfLj32ELj32ELj256ELb0ELb1ELb0EEEvllPKT_S7_PKT0_SA_PS5_SB_.numbered_sgpr, 28
	.set _ZN2at6native12_GLOBAL__N_135GammaBetaBackwardCUDAKernelTemplateIN3c108BFloat16EfLj32ELj32ELj256ELb0ELb1ELb0EEEvllPKT_S7_PKT0_SA_PS5_SB_.num_named_barrier, 0
	.set _ZN2at6native12_GLOBAL__N_135GammaBetaBackwardCUDAKernelTemplateIN3c108BFloat16EfLj32ELj32ELj256ELb0ELb1ELb0EEEvllPKT_S7_PKT0_SA_PS5_SB_.private_seg_size, 0
	.set _ZN2at6native12_GLOBAL__N_135GammaBetaBackwardCUDAKernelTemplateIN3c108BFloat16EfLj32ELj32ELj256ELb0ELb1ELb0EEEvllPKT_S7_PKT0_SA_PS5_SB_.uses_vcc, 1
	.set _ZN2at6native12_GLOBAL__N_135GammaBetaBackwardCUDAKernelTemplateIN3c108BFloat16EfLj32ELj32ELj256ELb0ELb1ELb0EEEvllPKT_S7_PKT0_SA_PS5_SB_.uses_flat_scratch, 0
	.set _ZN2at6native12_GLOBAL__N_135GammaBetaBackwardCUDAKernelTemplateIN3c108BFloat16EfLj32ELj32ELj256ELb0ELb1ELb0EEEvllPKT_S7_PKT0_SA_PS5_SB_.has_dyn_sized_stack, 0
	.set _ZN2at6native12_GLOBAL__N_135GammaBetaBackwardCUDAKernelTemplateIN3c108BFloat16EfLj32ELj32ELj256ELb0ELb1ELb0EEEvllPKT_S7_PKT0_SA_PS5_SB_.has_recursion, 0
	.set _ZN2at6native12_GLOBAL__N_135GammaBetaBackwardCUDAKernelTemplateIN3c108BFloat16EfLj32ELj32ELj256ELb0ELb1ELb0EEEvllPKT_S7_PKT0_SA_PS5_SB_.has_indirect_call, 0
	.section	.AMDGPU.csdata,"",@progbits
; Kernel info:
; codeLenInByte = 1868
; TotalNumSgprs: 30
; NumVgprs: 50
; ScratchSize: 0
; MemoryBound: 0
; FloatMode: 240
; IeeeMode: 1
; LDSByteSize: 0 bytes/workgroup (compile time only)
; SGPRBlocks: 0
; VGPRBlocks: 6
; NumSGPRsForWavesPerEU: 30
; NumVGPRsForWavesPerEU: 50
; Occupancy: 16
; WaveLimiterHint : 0
; COMPUTE_PGM_RSRC2:SCRATCH_EN: 0
; COMPUTE_PGM_RSRC2:USER_SGPR: 6
; COMPUTE_PGM_RSRC2:TRAP_HANDLER: 0
; COMPUTE_PGM_RSRC2:TGID_X_EN: 1
; COMPUTE_PGM_RSRC2:TGID_Y_EN: 1
; COMPUTE_PGM_RSRC2:TGID_Z_EN: 0
; COMPUTE_PGM_RSRC2:TIDIG_COMP_CNT: 1
	.section	.text._ZN2at6native12_GLOBAL__N_135GammaBetaBackwardCUDAKernelTemplateIN3c108BFloat16EfLj32ELj32ELj256ELb0ELb0ELb0EEEvllPKT_S7_PKT0_SA_PS5_SB_,"axG",@progbits,_ZN2at6native12_GLOBAL__N_135GammaBetaBackwardCUDAKernelTemplateIN3c108BFloat16EfLj32ELj32ELj256ELb0ELb0ELb0EEEvllPKT_S7_PKT0_SA_PS5_SB_,comdat
	.globl	_ZN2at6native12_GLOBAL__N_135GammaBetaBackwardCUDAKernelTemplateIN3c108BFloat16EfLj32ELj32ELj256ELb0ELb0ELb0EEEvllPKT_S7_PKT0_SA_PS5_SB_ ; -- Begin function _ZN2at6native12_GLOBAL__N_135GammaBetaBackwardCUDAKernelTemplateIN3c108BFloat16EfLj32ELj32ELj256ELb0ELb0ELb0EEEvllPKT_S7_PKT0_SA_PS5_SB_
	.p2align	8
	.type	_ZN2at6native12_GLOBAL__N_135GammaBetaBackwardCUDAKernelTemplateIN3c108BFloat16EfLj32ELj32ELj256ELb0ELb0ELb0EEEvllPKT_S7_PKT0_SA_PS5_SB_,@function
_ZN2at6native12_GLOBAL__N_135GammaBetaBackwardCUDAKernelTemplateIN3c108BFloat16EfLj32ELj32ELj256ELb0ELb0ELb0EEEvllPKT_S7_PKT0_SA_PS5_SB_: ; @_ZN2at6native12_GLOBAL__N_135GammaBetaBackwardCUDAKernelTemplateIN3c108BFloat16EfLj32ELj32ELj256ELb0ELb0ELb0EEEvllPKT_S7_PKT0_SA_PS5_SB_
; %bb.0:
	s_clause 0x1
	s_load_dwordx8 s[8:15], s[4:5], 0x0
	s_load_dwordx4 s[16:19], s[4:5], 0x20
	s_lshl_b32 s28, s6, 5
	s_mov_b32 s3, 0
	s_or_b32 s2, s28, 31
	s_waitcnt lgkmcnt(0)
	v_cmp_le_i64_e64 s0, s[10:11], s[2:3]
	s_lshl_b32 s2, s7, 8
	v_cmp_gt_i64_e64 s7, s[8:9], s[2:3]
	s_and_b32 vcc_lo, exec_lo, s0
	v_cndmask_b32_e64 v2, 0, 1, s7
	v_cmp_ne_u32_e64 s0, 1, v2
	s_cbranch_vccz .LBB115_49
; %bb.1:
	v_mov_b32_e32 v11, 0
	v_mov_b32_e32 v62, 0
	s_and_b32 vcc_lo, exec_lo, s0
	s_cbranch_vccnz .LBB115_50
; %bb.2:
	v_lshlrev_b32_e32 v21, 3, v1
	v_mov_b32_e32 v2, 0
	v_add_nc_u32_e32 v5, s28, v0
	s_load_dword s1, s[4:5], 0x44
	s_add_u32 s20, s4, 64
	v_add_co_u32 v11, s0, v21, s2
	v_add_co_ci_u32_e64 v12, null, 0, 0, s0
	v_mov_b32_e32 v6, v2
	v_mul_lo_u32 v7, s11, v11
	v_mad_u64_u32 v[3:4], null, s10, v11, 0
	v_mul_lo_u32 v8, s10, v12
	v_cmp_gt_i64_e64 s0, s[10:11], v[5:6]
	v_lshlrev_b64 v[19:20], 1, v[5:6]
	s_addc_u32 s21, s5, 0
	v_mov_b32_e32 v62, 0
	v_mov_b32_e32 v54, 0
	s_mov_b64 s[26:27], s[2:3]
	v_add3_u32 v4, v4, v8, v7
	v_add_co_u32 v7, vcc_lo, v11, 7
	v_add_co_ci_u32_e64 v8, null, 0, v12, vcc_lo
	v_lshlrev_b64 v[5:6], 1, v[3:4]
	v_mul_lo_u32 v13, s11, v7
	s_waitcnt lgkmcnt(0)
	s_lshl_b32 s29, s1, 8
	v_mul_lo_u32 v14, s10, v8
	v_mad_u64_u32 v[7:8], null, s10, v7, 0
	v_add_co_u32 v22, vcc_lo, s12, v5
	v_add_co_ci_u32_e64 v23, null, s13, v6, vcc_lo
	v_add_co_u32 v9, vcc_lo, v11, 6
	v_add_co_ci_u32_e64 v10, null, 0, v12, vcc_lo
	v_add_co_u32 v24, vcc_lo, s14, v5
	v_mul_lo_u32 v15, s11, v9
	v_mul_lo_u32 v16, s10, v10
	v_mad_u64_u32 v[9:10], null, s10, v9, 0
	v_add3_u32 v8, v8, v14, v13
	v_add_co_ci_u32_e64 v25, null, s15, v6, vcc_lo
	v_add_co_u32 v13, vcc_lo, v11, 5
	v_add_co_ci_u32_e64 v14, null, 0, v12, vcc_lo
	v_add3_u32 v10, v10, v16, v15
	v_lshlrev_b64 v[5:6], 1, v[7:8]
	v_mul_lo_u32 v15, s11, v13
	v_mul_lo_u32 v14, s10, v14
	s_mul_i32 s1, s11, s29
	v_lshlrev_b64 v[7:8], 1, v[9:10]
	v_mad_u64_u32 v[9:10], null, s10, v13, 0
	v_add_co_u32 v26, vcc_lo, s12, v5
	v_add_co_ci_u32_e64 v27, null, s13, v6, vcc_lo
	v_add_co_u32 v28, vcc_lo, s14, v5
	v_add_co_ci_u32_e64 v29, null, s15, v6, vcc_lo
	v_add_co_u32 v30, vcc_lo, s12, v7
	v_add3_u32 v10, v10, v14, v15
	s_mul_hi_u32 s22, s10, s29
	v_add_co_ci_u32_e64 v31, null, s13, v8, vcc_lo
	v_add_co_u32 v13, vcc_lo, v11, 4
	s_add_i32 s23, s22, s1
	v_add_co_u32 v32, s1, s14, v7
	v_add_co_ci_u32_e64 v7, null, 0, v12, vcc_lo
	v_lshlrev_b64 v[5:6], 1, v[9:10]
	v_add_co_u32 v9, vcc_lo, v11, 3
	v_add_co_ci_u32_e64 v10, null, 0, v12, vcc_lo
	v_add_co_ci_u32_e64 v33, null, s15, v8, s1
	v_mul_lo_u32 v14, s11, v13
	v_mul_lo_u32 v15, s10, v7
	v_mad_u64_u32 v[7:8], null, s10, v13, 0
	v_mul_lo_u32 v13, s11, v9
	v_mul_lo_u32 v16, s10, v10
	v_mad_u64_u32 v[9:10], null, s10, v9, 0
	v_add_co_u32 v34, vcc_lo, s12, v5
	v_add_co_ci_u32_e64 v35, null, s13, v6, vcc_lo
	v_add3_u32 v8, v8, v15, v14
	v_add_co_u32 v36, vcc_lo, s14, v5
	v_add_co_ci_u32_e64 v37, null, s15, v6, vcc_lo
	v_add_co_u32 v11, vcc_lo, v11, 2
	v_add3_u32 v10, v10, v16, v13
	v_add_co_ci_u32_e64 v12, null, 0, v12, vcc_lo
	v_lshlrev_b64 v[5:6], 1, v[7:8]
	v_mul_lo_u32 v13, s11, v11
	v_lshlrev_b64 v[7:8], 1, v[9:10]
	v_mul_lo_u32 v12, s10, v12
	v_mad_u64_u32 v[9:10], null, s10, v11, 0
	v_add_co_u32 v38, vcc_lo, s12, v5
	v_add_co_ci_u32_e64 v39, null, s13, v6, vcc_lo
	v_add_co_u32 v40, vcc_lo, s14, v5
	v_add_co_ci_u32_e64 v41, null, s15, v6, vcc_lo
	v_add_co_u32 v42, vcc_lo, s12, v7
	v_add_co_ci_u32_e64 v43, null, s13, v8, vcc_lo
	v_add3_u32 v10, v10, v12, v13
	v_add_co_u32 v44, vcc_lo, s14, v7
	v_add_co_ci_u32_e64 v45, null, s15, v8, vcc_lo
	v_add_co_u32 v3, vcc_lo, v3, s10
	v_add_co_ci_u32_e64 v4, null, s11, v4, vcc_lo
	v_lshlrev_b64 v[5:6], 1, v[9:10]
	s_mul_i32 s22, s10, s29
	v_lshlrev_b64 v[3:4], 1, v[3:4]
	s_lshl_b64 s[22:23], s[22:23], 1
	s_add_u32 s24, s2, 0xff
	v_add_co_u32 v46, vcc_lo, s12, v5
	v_add_co_ci_u32_e64 v47, null, s13, v6, vcc_lo
	v_add_co_u32 v48, vcc_lo, s14, v5
	v_add_co_ci_u32_e64 v49, null, s15, v6, vcc_lo
	;; [unrolled: 2-line block ×4, first 2 shown]
	s_addc_u32 s25, 0, 0
.LBB115_3:                              ; =>This Inner Loop Header: Depth=1
	v_cmp_ge_i64_e64 s1, s[24:25], s[8:9]
	v_add_co_u32 v55, s30, v21, s24
	v_add_co_ci_u32_e64 v56, null, 0, s25, s30
                                        ; implicit-def: $vgpr11_vgpr12_vgpr13_vgpr14_vgpr15_vgpr16_vgpr17_vgpr18
                                        ; implicit-def: $vgpr3_vgpr4_vgpr5_vgpr6_vgpr7_vgpr8_vgpr9_vgpr10
                                        ; implicit-def: $vgpr58
                                        ; implicit-def: $vgpr3
	s_and_b32 vcc_lo, exec_lo, s1
	s_mov_b32 s1, -1
                                        ; implicit-def: $vgpr11
                                        ; implicit-def: $vgpr4
	s_cbranch_vccz .LBB115_25
; %bb.4:                                ;   in Loop: Header=BB115_3 Depth=1
	s_load_dword s1, s[20:21], 0xc
	v_mov_b32_e32 v58, 0
	v_mov_b32_e32 v57, 0
	s_waitcnt lgkmcnt(0)
	s_and_b32 s1, s1, 0xffff
	v_mad_u32_u24 v3, v1, s1, v0
	s_mov_b32 s1, exec_lo
	v_and_b32_e32 v3, 31, v3
	v_cmpx_gt_u32_e32 8, v3
	s_cbranch_execz .LBB115_8
; %bb.5:                                ;   in Loop: Header=BB115_3 Depth=1
	v_add_co_u32 v3, vcc_lo, v55, v3
	v_add_co_ci_u32_e64 v4, null, 0, v56, vcc_lo
	v_mov_b32_e32 v57, 0
	v_add_co_u32 v3, vcc_lo, 0xffffff01, v3
	v_add_co_ci_u32_e64 v4, null, -1, v4, vcc_lo
	v_mov_b32_e32 v58, 0
	s_mov_b32 s30, exec_lo
	v_cmpx_gt_i64_e64 s[8:9], v[3:4]
	s_cbranch_execz .LBB115_7
; %bb.6:                                ;   in Loop: Header=BB115_3 Depth=1
	v_lshlrev_b64 v[3:4], 2, v[3:4]
	v_add_co_u32 v5, vcc_lo, s16, v3
	v_add_co_ci_u32_e64 v6, null, s17, v4, vcc_lo
	v_add_co_u32 v3, vcc_lo, s18, v3
	v_add_co_ci_u32_e64 v4, null, s19, v4, vcc_lo
	global_load_dword v57, v[5:6], off
	global_load_dword v58, v[3:4], off
.LBB115_7:                              ;   in Loop: Header=BB115_3 Depth=1
	s_or_b32 exec_lo, exec_lo, s30
.LBB115_8:                              ;   in Loop: Header=BB115_3 Depth=1
	s_or_b32 exec_lo, exec_lo, s1
	v_add_co_u32 v10, vcc_lo, 0xffffff01, v55
	v_add_co_ci_u32_e64 v11, null, -1, v56, vcc_lo
	v_mov_b32_e32 v9, v2
	v_mov_b32_e32 v3, v2
	;; [unrolled: 1-line block ×7, first 2 shown]
	v_cmp_gt_i64_e32 vcc_lo, s[8:9], v[10:11]
	v_mov_b32_e32 v18, v9
	v_mov_b32_e32 v15, v6
	;; [unrolled: 1-line block ×16, first 2 shown]
	s_and_b32 s30, s0, vcc_lo
	s_and_saveexec_b32 s1, s30
	s_cbranch_execz .LBB115_10
; %bb.9:                                ;   in Loop: Header=BB115_3 Depth=1
	v_add_co_u32 v3, vcc_lo, v22, v19
	v_add_co_ci_u32_e64 v4, null, v23, v20, vcc_lo
	v_add_co_u32 v5, vcc_lo, v24, v19
	v_add_co_ci_u32_e64 v6, null, v25, v20, vcc_lo
	global_load_ushort v3, v[3:4], off
	global_load_ushort v11, v[5:6], off
	v_mov_b32_e32 v4, v2
	v_mov_b32_e32 v5, v2
	;; [unrolled: 1-line block ×14, first 2 shown]
	s_waitcnt vmcnt(1)
	v_lshlrev_b32_e32 v3, 16, v3
	s_waitcnt vmcnt(0)
	v_lshlrev_b32_e32 v11, 16, v11
.LBB115_10:                             ;   in Loop: Header=BB115_3 Depth=1
	s_or_b32 exec_lo, exec_lo, s1
	v_add_co_u32 v59, vcc_lo, 0xffffff02, v55
	v_add_co_ci_u32_e64 v60, null, -1, v56, vcc_lo
	v_cmp_gt_i64_e32 vcc_lo, s[8:9], v[59:60]
	s_and_b32 s30, s0, vcc_lo
	s_and_saveexec_b32 s1, s30
	s_cbranch_execz .LBB115_12
; %bb.11:                               ;   in Loop: Header=BB115_3 Depth=1
	v_add_co_u32 v59, vcc_lo, v50, v19
	v_add_co_ci_u32_e64 v60, null, v51, v20, vcc_lo
	v_add_co_u32 v63, vcc_lo, v52, v19
	v_add_co_ci_u32_e64 v64, null, v53, v20, vcc_lo
	global_load_ushort v4, v[59:60], off
	global_load_ushort v12, v[63:64], off
	s_waitcnt vmcnt(1)
	v_lshlrev_b32_e32 v4, 16, v4
	s_waitcnt vmcnt(0)
	v_lshlrev_b32_e32 v12, 16, v12
.LBB115_12:                             ;   in Loop: Header=BB115_3 Depth=1
	s_or_b32 exec_lo, exec_lo, s1
	v_add_co_u32 v59, vcc_lo, 0xffffff03, v55
	v_add_co_ci_u32_e64 v60, null, -1, v56, vcc_lo
	v_cmp_gt_i64_e32 vcc_lo, s[8:9], v[59:60]
	s_and_b32 s30, s0, vcc_lo
	s_and_saveexec_b32 s1, s30
	s_cbranch_execz .LBB115_14
; %bb.13:                               ;   in Loop: Header=BB115_3 Depth=1
	v_add_co_u32 v59, vcc_lo, v46, v19
	v_add_co_ci_u32_e64 v60, null, v47, v20, vcc_lo
	v_add_co_u32 v63, vcc_lo, v48, v19
	v_add_co_ci_u32_e64 v64, null, v49, v20, vcc_lo
	global_load_ushort v5, v[59:60], off
	global_load_ushort v13, v[63:64], off
	s_waitcnt vmcnt(1)
	v_lshlrev_b32_e32 v5, 16, v5
	s_waitcnt vmcnt(0)
	v_lshlrev_b32_e32 v13, 16, v13
.LBB115_14:                             ;   in Loop: Header=BB115_3 Depth=1
	;; [unrolled: 19-line block ×7, first 2 shown]
	s_or_b32 exec_lo, exec_lo, s1
	s_waitcnt vmcnt(1)
	ds_bpermute_b32 v59, v2, v57
	ds_bpermute_b32 v60, v2, v57 offset:4
	ds_bpermute_b32 v61, v2, v57 offset:8
	s_waitcnt vmcnt(0)
	ds_bpermute_b32 v63, v2, v58
	ds_bpermute_b32 v64, v2, v57 offset:12
	ds_bpermute_b32 v65, v2, v58 offset:4
	ds_bpermute_b32 v66, v2, v57 offset:16
	ds_bpermute_b32 v67, v2, v58 offset:8
	ds_bpermute_b32 v68, v2, v58 offset:12
	ds_bpermute_b32 v69, v2, v57 offset:20
	ds_bpermute_b32 v70, v2, v57 offset:24
	s_mov_b32 s1, 0
	s_waitcnt lgkmcnt(10)
	v_sub_f32_e32 v11, v11, v59
	v_add_f32_e32 v59, v62, v3
	s_waitcnt lgkmcnt(9)
	v_sub_f32_e32 v12, v12, v60
	ds_bpermute_b32 v60, v2, v58 offset:16
	s_waitcnt lgkmcnt(9)
	v_sub_f32_e32 v13, v13, v61
	v_mul_f32_e32 v3, v3, v11
	ds_bpermute_b32 v61, v2, v58 offset:20
	v_mul_f32_e32 v12, v4, v12
	v_add_f32_e32 v4, v4, v59
	v_mul_f32_e32 v13, v5, v13
	s_waitcnt lgkmcnt(9)
	v_fma_f32 v11, v3, v63, v54
	s_waitcnt lgkmcnt(8)
	v_sub_f32_e32 v3, v14, v64
	ds_bpermute_b32 v63, v2, v58 offset:24
	v_add_f32_e32 v4, v5, v4
	ds_bpermute_b32 v58, v2, v58 offset:28
	s_waitcnt lgkmcnt(9)
	v_fmac_f32_e32 v11, v12, v65
	s_waitcnt lgkmcnt(8)
	v_sub_f32_e32 v12, v15, v66
	v_mul_f32_e32 v14, v6, v3
	ds_bpermute_b32 v3, v2, v57 offset:28
	s_waitcnt lgkmcnt(6)
	v_sub_f32_e32 v5, v16, v69
	v_fmac_f32_e32 v11, v13, v67
	v_mul_f32_e32 v12, v7, v12
	v_add_f32_e32 v4, v6, v4
	s_waitcnt lgkmcnt(5)
	v_sub_f32_e32 v6, v17, v70
	v_mul_f32_e32 v5, v8, v5
	v_fmac_f32_e32 v11, v14, v68
	v_add_f32_e32 v4, v7, v4
	v_mul_f32_e32 v6, v9, v6
	s_waitcnt lgkmcnt(4)
	v_fmac_f32_e32 v11, v12, v60
	v_add_f32_e32 v4, v8, v4
	s_waitcnt lgkmcnt(3)
	v_fmac_f32_e32 v11, v5, v61
	v_add_f32_e32 v4, v9, v4
	s_waitcnt lgkmcnt(2)
	v_fmac_f32_e32 v11, v6, v63
.LBB115_25:                             ;   in Loop: Header=BB115_3 Depth=1
	s_and_b32 vcc_lo, exec_lo, s1
	s_cbranch_vccz .LBB115_40
; %bb.26:                               ;   in Loop: Header=BB115_3 Depth=1
	s_load_dword s1, s[20:21], 0x0
	s_waitcnt lgkmcnt(0)
	v_mov_b32_e32 v58, 0
	v_mov_b32_e32 v57, 0
	s_cmp_lt_u32 s6, s1
	s_cselect_b32 s1, 12, 18
	s_add_u32 s30, s20, s1
	s_addc_u32 s31, s21, 0
	s_mov_b32 s1, exec_lo
	global_load_ushort v3, v2, s[30:31]
	s_waitcnt vmcnt(0)
	v_mad_u32_u24 v3, v1, v3, v0
	v_and_b32_e32 v3, 31, v3
	v_cmpx_gt_u32_e32 8, v3
	s_cbranch_execz .LBB115_30
; %bb.27:                               ;   in Loop: Header=BB115_3 Depth=1
	v_add_co_u32 v3, vcc_lo, v55, v3
	v_add_co_ci_u32_e64 v4, null, 0, v56, vcc_lo
	v_mov_b32_e32 v57, 0
	v_add_co_u32 v3, vcc_lo, 0xffffff01, v3
	v_add_co_ci_u32_e64 v4, null, -1, v4, vcc_lo
	v_mov_b32_e32 v58, 0
	s_mov_b32 s30, exec_lo
	v_cmpx_gt_i64_e64 s[8:9], v[3:4]
	s_cbranch_execz .LBB115_29
; %bb.28:                               ;   in Loop: Header=BB115_3 Depth=1
	v_lshlrev_b64 v[3:4], 2, v[3:4]
	v_add_co_u32 v5, vcc_lo, s16, v3
	v_add_co_ci_u32_e64 v6, null, s17, v4, vcc_lo
	v_add_co_u32 v3, vcc_lo, s18, v3
	v_add_co_ci_u32_e64 v4, null, s19, v4, vcc_lo
	global_load_dword v57, v[5:6], off
	global_load_dword v58, v[3:4], off
.LBB115_29:                             ;   in Loop: Header=BB115_3 Depth=1
	s_or_b32 exec_lo, exec_lo, s30
.LBB115_30:                             ;   in Loop: Header=BB115_3 Depth=1
	s_or_b32 exec_lo, exec_lo, s1
	v_mov_b32_e32 v9, v2
	v_mov_b32_e32 v3, v2
	v_mov_b32_e32 v4, v2
	v_mov_b32_e32 v5, v2
	v_mov_b32_e32 v6, v2
	v_mov_b32_e32 v7, v2
	v_mov_b32_e32 v8, v2
	v_mov_b32_e32 v18, v9
	v_mov_b32_e32 v14, v5
	v_mov_b32_e32 v15, v6
	v_mov_b32_e32 v16, v7
	v_mov_b32_e32 v17, v8
	v_mov_b32_e32 v13, v4
	v_mov_b32_e32 v12, v3
	v_mov_b32_e32 v11, v2
	v_mov_b32_e32 v10, v9
	v_mov_b32_e32 v9, v8
	v_mov_b32_e32 v8, v7
	v_mov_b32_e32 v7, v6
	v_mov_b32_e32 v6, v5
	v_mov_b32_e32 v5, v4
	v_mov_b32_e32 v4, v3
	v_mov_b32_e32 v3, v2
	s_and_saveexec_b32 s1, s0
	s_cbranch_execnz .LBB115_42
; %bb.31:                               ;   in Loop: Header=BB115_3 Depth=1
	s_or_b32 exec_lo, exec_lo, s1
	s_and_saveexec_b32 s1, s0
	s_cbranch_execnz .LBB115_43
.LBB115_32:                             ;   in Loop: Header=BB115_3 Depth=1
	s_or_b32 exec_lo, exec_lo, s1
	s_and_saveexec_b32 s1, s0
	s_cbranch_execnz .LBB115_44
.LBB115_33:                             ;   in Loop: Header=BB115_3 Depth=1
	s_or_b32 exec_lo, exec_lo, s1
	s_and_saveexec_b32 s1, s0
	s_cbranch_execnz .LBB115_45
.LBB115_34:                             ;   in Loop: Header=BB115_3 Depth=1
	s_or_b32 exec_lo, exec_lo, s1
	s_and_saveexec_b32 s1, s0
	s_cbranch_execnz .LBB115_46
.LBB115_35:                             ;   in Loop: Header=BB115_3 Depth=1
	s_or_b32 exec_lo, exec_lo, s1
	s_and_saveexec_b32 s1, s0
	s_cbranch_execnz .LBB115_47
.LBB115_36:                             ;   in Loop: Header=BB115_3 Depth=1
	s_or_b32 exec_lo, exec_lo, s1
	s_and_saveexec_b32 s1, s0
	s_cbranch_execnz .LBB115_48
.LBB115_37:                             ;   in Loop: Header=BB115_3 Depth=1
	s_or_b32 exec_lo, exec_lo, s1
	s_and_saveexec_b32 s1, s0
	s_cbranch_execz .LBB115_39
.LBB115_38:                             ;   in Loop: Header=BB115_3 Depth=1
	v_add_co_u32 v55, vcc_lo, v26, v19
	v_add_co_ci_u32_e64 v56, null, v27, v20, vcc_lo
	v_add_co_u32 v59, vcc_lo, v28, v19
	v_add_co_ci_u32_e64 v60, null, v29, v20, vcc_lo
	global_load_ushort v10, v[55:56], off
	global_load_ushort v18, v[59:60], off
	s_waitcnt vmcnt(1)
	v_lshlrev_b32_e32 v10, 16, v10
	s_waitcnt vmcnt(0)
	v_lshlrev_b32_e32 v18, 16, v18
.LBB115_39:                             ;   in Loop: Header=BB115_3 Depth=1
	s_or_b32 exec_lo, exec_lo, s1
	s_waitcnt vmcnt(1)
	ds_bpermute_b32 v55, v2, v57
	ds_bpermute_b32 v56, v2, v57 offset:4
	ds_bpermute_b32 v59, v2, v57 offset:8
	s_waitcnt vmcnt(0)
	ds_bpermute_b32 v60, v2, v58
	ds_bpermute_b32 v61, v2, v57 offset:12
	ds_bpermute_b32 v63, v2, v58 offset:4
	;; [unrolled: 1-line block ×5, first 2 shown]
	s_waitcnt lgkmcnt(8)
	v_sub_f32_e32 v11, v11, v55
	ds_bpermute_b32 v55, v2, v58 offset:12
	s_waitcnt lgkmcnt(8)
	v_sub_f32_e32 v12, v12, v56
	ds_bpermute_b32 v56, v2, v58 offset:16
	s_waitcnt lgkmcnt(8)
	v_sub_f32_e32 v13, v13, v59
	v_mul_f32_e32 v11, v3, v11
	v_add_f32_e32 v3, v62, v3
	v_mul_f32_e32 v12, v4, v12
	ds_bpermute_b32 v59, v2, v58 offset:20
	s_waitcnt lgkmcnt(7)
	v_sub_f32_e32 v14, v14, v61
	v_fmac_f32_e32 v54, v11, v60
	ds_bpermute_b32 v11, v2, v57 offset:24
	v_mul_f32_e32 v13, v5, v13
	v_add_f32_e32 v3, v4, v3
	s_waitcnt lgkmcnt(6)
	v_sub_f32_e32 v4, v15, v64
	v_fmac_f32_e32 v54, v12, v63
	v_mul_f32_e32 v12, v6, v14
	s_waitcnt lgkmcnt(4)
	v_sub_f32_e32 v14, v16, v66
	v_add_f32_e32 v5, v5, v3
	v_mul_f32_e32 v4, v7, v4
	v_fmac_f32_e32 v54, v13, v65
	ds_bpermute_b32 v13, v2, v58 offset:24
	ds_bpermute_b32 v58, v2, v58 offset:28
	;; [unrolled: 1-line block ×3, first 2 shown]
	v_add_f32_e32 v5, v6, v5
	s_waitcnt lgkmcnt(6)
	v_fmac_f32_e32 v54, v12, v55
	v_mul_f32_e32 v6, v8, v14
	v_add_f32_e32 v5, v7, v5
	s_waitcnt lgkmcnt(5)
	v_fmac_f32_e32 v54, v4, v56
	s_waitcnt lgkmcnt(3)
	v_sub_f32_e32 v4, v17, v11
	v_add_f32_e32 v5, v8, v5
	v_fmac_f32_e32 v54, v6, v59
	v_mul_f32_e32 v4, v9, v4
	s_waitcnt lgkmcnt(2)
	v_fmac_f32_e32 v54, v4, v13
	v_add_f32_e32 v4, v9, v5
	v_mov_b32_e32 v11, v54
.LBB115_40:                             ;   in Loop: Header=BB115_3 Depth=1
	v_add_co_u32 v22, vcc_lo, v22, s22
	v_add_co_ci_u32_e64 v23, null, s23, v23, vcc_lo
	v_add_co_u32 v24, vcc_lo, v24, s22
	v_add_co_ci_u32_e64 v25, null, s23, v25, vcc_lo
	;; [unrolled: 2-line block ×10, first 2 shown]
	v_add_co_u32 v42, vcc_lo, v42, s22
	s_waitcnt lgkmcnt(0)
	v_sub_f32_e32 v3, v18, v3
	v_add_co_ci_u32_e64 v43, null, s23, v43, vcc_lo
	v_add_co_u32 v44, vcc_lo, v44, s22
	v_add_co_ci_u32_e64 v45, null, s23, v45, vcc_lo
	v_add_co_u32 v46, vcc_lo, v46, s22
	s_add_u32 s26, s26, s29
	v_add_co_ci_u32_e64 v47, null, s23, v47, vcc_lo
	v_add_co_u32 v48, vcc_lo, v48, s22
	v_mul_f32_e32 v3, v10, v3
	s_addc_u32 s27, s27, 0
	v_add_co_ci_u32_e64 v49, null, s23, v49, vcc_lo
	v_add_co_u32 v50, vcc_lo, v50, s22
	v_cmp_lt_i64_e64 s1, s[26:27], s[8:9]
	v_add_co_ci_u32_e64 v51, null, s23, v51, vcc_lo
	v_add_co_u32 v52, vcc_lo, v52, s22
	v_add_f32_e32 v62, v4, v10
	v_fmac_f32_e32 v11, v3, v58
	v_add_co_ci_u32_e64 v53, null, s23, v53, vcc_lo
	s_add_u32 s24, s24, s29
	s_addc_u32 s25, s25, 0
	s_and_b32 vcc_lo, exec_lo, s1
	s_cbranch_vccz .LBB115_50
; %bb.41:                               ;   in Loop: Header=BB115_3 Depth=1
	v_mov_b32_e32 v54, v11
	s_branch .LBB115_3
.LBB115_42:                             ;   in Loop: Header=BB115_3 Depth=1
	v_add_co_u32 v3, vcc_lo, v22, v19
	v_add_co_ci_u32_e64 v4, null, v23, v20, vcc_lo
	v_add_co_u32 v5, vcc_lo, v24, v19
	v_add_co_ci_u32_e64 v6, null, v25, v20, vcc_lo
	global_load_ushort v3, v[3:4], off
	global_load_ushort v11, v[5:6], off
	v_mov_b32_e32 v4, v2
	v_mov_b32_e32 v5, v2
	;; [unrolled: 1-line block ×14, first 2 shown]
	s_waitcnt vmcnt(1)
	v_lshlrev_b32_e32 v3, 16, v3
	s_waitcnt vmcnt(0)
	v_lshlrev_b32_e32 v11, 16, v11
	s_or_b32 exec_lo, exec_lo, s1
	s_and_saveexec_b32 s1, s0
	s_cbranch_execz .LBB115_32
.LBB115_43:                             ;   in Loop: Header=BB115_3 Depth=1
	v_add_co_u32 v55, vcc_lo, v50, v19
	v_add_co_ci_u32_e64 v56, null, v51, v20, vcc_lo
	v_add_co_u32 v59, vcc_lo, v52, v19
	v_add_co_ci_u32_e64 v60, null, v53, v20, vcc_lo
	global_load_ushort v4, v[55:56], off
	global_load_ushort v12, v[59:60], off
	s_waitcnt vmcnt(1)
	v_lshlrev_b32_e32 v4, 16, v4
	s_waitcnt vmcnt(0)
	v_lshlrev_b32_e32 v12, 16, v12
	s_or_b32 exec_lo, exec_lo, s1
	s_and_saveexec_b32 s1, s0
	s_cbranch_execz .LBB115_33
.LBB115_44:                             ;   in Loop: Header=BB115_3 Depth=1
	v_add_co_u32 v55, vcc_lo, v46, v19
	v_add_co_ci_u32_e64 v56, null, v47, v20, vcc_lo
	v_add_co_u32 v59, vcc_lo, v48, v19
	v_add_co_ci_u32_e64 v60, null, v49, v20, vcc_lo
	global_load_ushort v5, v[55:56], off
	global_load_ushort v13, v[59:60], off
	s_waitcnt vmcnt(1)
	v_lshlrev_b32_e32 v5, 16, v5
	s_waitcnt vmcnt(0)
	v_lshlrev_b32_e32 v13, 16, v13
	s_or_b32 exec_lo, exec_lo, s1
	s_and_saveexec_b32 s1, s0
	s_cbranch_execz .LBB115_34
.LBB115_45:                             ;   in Loop: Header=BB115_3 Depth=1
	v_add_co_u32 v55, vcc_lo, v42, v19
	v_add_co_ci_u32_e64 v56, null, v43, v20, vcc_lo
	v_add_co_u32 v59, vcc_lo, v44, v19
	v_add_co_ci_u32_e64 v60, null, v45, v20, vcc_lo
	global_load_ushort v6, v[55:56], off
	global_load_ushort v14, v[59:60], off
	s_waitcnt vmcnt(1)
	v_lshlrev_b32_e32 v6, 16, v6
	s_waitcnt vmcnt(0)
	v_lshlrev_b32_e32 v14, 16, v14
	s_or_b32 exec_lo, exec_lo, s1
	s_and_saveexec_b32 s1, s0
	s_cbranch_execz .LBB115_35
.LBB115_46:                             ;   in Loop: Header=BB115_3 Depth=1
	v_add_co_u32 v55, vcc_lo, v38, v19
	v_add_co_ci_u32_e64 v56, null, v39, v20, vcc_lo
	v_add_co_u32 v59, vcc_lo, v40, v19
	v_add_co_ci_u32_e64 v60, null, v41, v20, vcc_lo
	global_load_ushort v7, v[55:56], off
	global_load_ushort v15, v[59:60], off
	s_waitcnt vmcnt(1)
	v_lshlrev_b32_e32 v7, 16, v7
	s_waitcnt vmcnt(0)
	v_lshlrev_b32_e32 v15, 16, v15
	s_or_b32 exec_lo, exec_lo, s1
	s_and_saveexec_b32 s1, s0
	s_cbranch_execz .LBB115_36
.LBB115_47:                             ;   in Loop: Header=BB115_3 Depth=1
	v_add_co_u32 v55, vcc_lo, v34, v19
	v_add_co_ci_u32_e64 v56, null, v35, v20, vcc_lo
	v_add_co_u32 v59, vcc_lo, v36, v19
	v_add_co_ci_u32_e64 v60, null, v37, v20, vcc_lo
	global_load_ushort v8, v[55:56], off
	global_load_ushort v16, v[59:60], off
	s_waitcnt vmcnt(1)
	v_lshlrev_b32_e32 v8, 16, v8
	s_waitcnt vmcnt(0)
	v_lshlrev_b32_e32 v16, 16, v16
	s_or_b32 exec_lo, exec_lo, s1
	s_and_saveexec_b32 s1, s0
	s_cbranch_execz .LBB115_37
.LBB115_48:                             ;   in Loop: Header=BB115_3 Depth=1
	v_add_co_u32 v55, vcc_lo, v30, v19
	v_add_co_ci_u32_e64 v56, null, v31, v20, vcc_lo
	v_add_co_u32 v59, vcc_lo, v32, v19
	v_add_co_ci_u32_e64 v60, null, v33, v20, vcc_lo
	global_load_ushort v9, v[55:56], off
	global_load_ushort v17, v[59:60], off
	s_waitcnt vmcnt(1)
	v_lshlrev_b32_e32 v9, 16, v9
	s_waitcnt vmcnt(0)
	v_lshlrev_b32_e32 v17, 16, v17
	s_or_b32 exec_lo, exec_lo, s1
	s_and_saveexec_b32 s1, s0
	s_cbranch_execnz .LBB115_38
	s_branch .LBB115_39
.LBB115_49:
                                        ; implicit-def: $vgpr11
                                        ; implicit-def: $vgpr62
	s_branch .LBB115_51
.LBB115_50:
	s_cbranch_execnz .LBB115_83
.LBB115_51:
	v_mov_b32_e32 v11, 0
	v_mov_b32_e32 v62, 0
	s_andn2_b32 vcc_lo, exec_lo, s7
	s_cbranch_vccnz .LBB115_83
; %bb.52:
	s_load_dword s0, s[4:5], 0x44
	v_lshlrev_b32_e32 v49, 3, v1
	s_add_u32 s20, s4, 64
	s_addc_u32 s21, s5, 0
	v_lshlrev_b32_e32 v8, 4, v1
	v_mov_b32_e32 v84, 0
	v_add_co_u32 v4, s1, v49, s2
	v_add_co_ci_u32_e64 v5, null, 0, 0, s1
	v_mov_b32_e32 v83, 0
	v_mul_lo_u32 v6, s11, v4
	v_mad_u64_u32 v[2:3], null, s10, v4, 0
	v_mul_lo_u32 v7, s10, v5
	s_waitcnt lgkmcnt(0)
	s_lshl_b32 s1, s0, 8
	v_add3_u32 v3, v3, v7, v6
	s_mul_i32 s0, s11, s1
	s_mul_hi_u32 s7, s10, s1
	s_mul_i32 s22, s10, s1
	s_add_i32 s23, s7, s0
	v_lshlrev_b64 v[6:7], 1, v[2:3]
	s_lshl_b64 s[22:23], s[22:23], 1
	s_add_u32 s24, s2, 0xff
	s_addc_u32 s25, 0, 0
	s_lshl_b64 s[26:27], s[2:3], 1
	v_add_co_u32 v8, s0, v8, s26
	v_add_co_ci_u32_e64 v9, null, 0, s27, s0
	v_add_co_u32 v10, vcc_lo, v8, 2
	v_add_co_ci_u32_e64 v11, null, 0, v9, vcc_lo
	v_add_co_u32 v50, vcc_lo, s12, v6
	v_add_co_ci_u32_e64 v51, null, s13, v7, vcc_lo
	;; [unrolled: 2-line block ×6, first 2 shown]
	v_add_co_u32 v41, vcc_lo, v8, 10
	v_mad_u64_u32 v[21:22], null, s10, v6, s[12:13]
	v_mul_lo_u32 v7, s10, v7
	v_mul_lo_u32 v15, s11, v6
	v_mad_u64_u32 v[35:36], null, s10, v6, s[14:15]
	v_add_co_ci_u32_e64 v29, null, 0, v9, vcc_lo
	v_add_co_u32 v43, vcc_lo, v8, 12
	v_add_co_ci_u32_e64 v31, null, 0, v9, vcc_lo
	v_add_co_u32 v8, vcc_lo, v8, 14
	v_mad_u64_u32 v[19:20], null, s10, v10, s[12:13]
	v_mul_lo_u32 v11, s10, v11
	v_mul_lo_u32 v12, s11, v10
	v_mad_u64_u32 v[33:34], null, s10, v10, s[14:15]
	v_add_co_ci_u32_e64 v9, null, 0, v9, vcc_lo
	v_add_co_u32 v6, vcc_lo, v4, 7
	v_add3_u32 v22, v15, v22, v7
	v_add3_u32 v36, v15, v36, v7
	v_add_co_ci_u32_e64 v7, null, 0, v5, vcc_lo
	v_mul_lo_u32 v57, s10, v9
	v_add_co_u32 v9, vcc_lo, v4, 6
	v_add3_u32 v20, v12, v20, v11
	v_add3_u32 v34, v12, v34, v11
	v_add_co_ci_u32_e64 v12, null, 0, v5, vcc_lo
	v_mul_lo_u32 v10, s11, v6
	v_mul_lo_u32 v11, s10, v7
	v_mad_u64_u32 v[6:7], null, s10, v6, 0
	v_mad_u64_u32 v[23:24], null, s10, v13, s[12:13]
	v_mul_lo_u32 v17, s11, v13
	v_mul_lo_u32 v55, s10, v31
	v_mad_u64_u32 v[31:32], null, s10, v8, s[12:13]
	v_mul_lo_u32 v58, s11, v8
	v_mad_u64_u32 v[37:38], null, s10, v13, s[14:15]
	v_mad_u64_u32 v[45:46], null, s10, v8, s[14:15]
	v_mul_lo_u32 v13, s11, v9
	v_mul_lo_u32 v12, s10, v12
	v_mad_u64_u32 v[8:9], null, s10, v9, 0
	v_add3_u32 v7, v7, v11, v10
	v_add_co_u32 v10, vcc_lo, v4, 5
	v_mad_u64_u32 v[27:28], null, s10, v41, s[12:13]
	v_mul_lo_u32 v48, s10, v29
	v_mul_lo_u32 v54, s11, v41
	v_mad_u64_u32 v[41:42], null, s10, v41, s[14:15]
	v_add3_u32 v9, v9, v12, v13
	v_add_co_ci_u32_e64 v11, null, 0, v5, vcc_lo
	v_mad_u64_u32 v[29:30], null, s10, v43, s[12:13]
	v_mul_lo_u32 v56, s11, v43
	v_mad_u64_u32 v[43:44], null, s10, v43, s[14:15]
	v_lshlrev_b64 v[6:7], 1, v[6:7]
	v_lshlrev_b64 v[8:9], 1, v[8:9]
	v_mul_lo_u32 v12, s11, v10
	v_mul_lo_u32 v13, s10, v11
	v_mad_u64_u32 v[10:11], null, s10, v10, 0
	v_add3_u32 v28, v54, v28, v48
	v_add3_u32 v42, v54, v42, v48
	v_add_co_u32 v54, vcc_lo, s12, v6
	v_add3_u32 v30, v56, v30, v55
	v_add3_u32 v44, v56, v44, v55
	v_add_co_ci_u32_e64 v55, null, s13, v7, vcc_lo
	v_add_co_u32 v56, vcc_lo, s14, v6
	v_add3_u32 v32, v58, v32, v57
	v_add3_u32 v46, v58, v46, v57
	v_add_co_ci_u32_e64 v57, null, s15, v7, vcc_lo
	v_add_co_u32 v58, vcc_lo, s12, v8
	v_add_co_ci_u32_e64 v59, null, s13, v9, vcc_lo
	v_add3_u32 v11, v11, v13, v12
	v_add_co_u32 v12, vcc_lo, v4, 4
	v_add_co_ci_u32_e64 v13, null, 0, v5, vcc_lo
	v_add_co_u32 v60, vcc_lo, s14, v8
	v_mul_lo_u32 v14, s10, v14
	v_add_co_ci_u32_e64 v61, null, s15, v9, vcc_lo
	v_lshlrev_b64 v[6:7], 1, v[10:11]
	v_mul_lo_u32 v10, s11, v12
	v_mul_lo_u32 v11, s10, v13
	v_mad_u64_u32 v[8:9], null, s10, v12, 0
	v_add_co_u32 v12, vcc_lo, v4, 3
	v_add_co_ci_u32_e64 v13, null, 0, v5, vcc_lo
	v_add_co_u32 v63, vcc_lo, s12, v6
	v_add3_u32 v24, v17, v24, v14
	v_add3_u32 v38, v17, v38, v14
	v_add_co_ci_u32_e64 v64, null, s13, v7, vcc_lo
	v_add3_u32 v9, v9, v11, v10
	v_mul_lo_u32 v14, s11, v12
	v_mad_u64_u32 v[10:11], null, s10, v12, 0
	v_add_co_u32 v12, vcc_lo, v4, 2
	v_mul_lo_u32 v13, s10, v13
	v_add_co_ci_u32_e64 v15, null, 0, v5, vcc_lo
	v_add_co_u32 v65, vcc_lo, s14, v6
	v_lshlrev_b64 v[4:5], 1, v[8:9]
	v_add_co_ci_u32_e64 v66, null, s15, v7, vcc_lo
	v_mul_lo_u32 v8, s11, v12
	v_mul_lo_u32 v9, s10, v15
	v_mad_u64_u32 v[6:7], null, s10, v12, 0
	v_add3_u32 v11, v11, v13, v14
	v_add_co_u32 v67, vcc_lo, s12, v4
	v_add_co_ci_u32_e64 v68, null, s13, v5, vcc_lo
	v_add_co_u32 v69, vcc_lo, s14, v4
	v_add_co_ci_u32_e64 v70, null, s15, v5, vcc_lo
	v_lshlrev_b64 v[4:5], 1, v[10:11]
	v_add3_u32 v7, v7, v9, v8
	v_add_co_u32 v2, vcc_lo, v2, s10
	v_add_co_ci_u32_e64 v3, null, s11, v3, vcc_lo
	v_lshlrev_b64 v[6:7], 1, v[6:7]
	v_add_co_u32 v71, vcc_lo, s12, v4
	v_add_co_ci_u32_e64 v72, null, s13, v5, vcc_lo
	v_add_co_u32 v73, vcc_lo, s14, v4
	v_lshlrev_b64 v[3:4], 1, v[2:3]
	v_mov_b32_e32 v2, 0
	v_mad_u64_u32 v[25:26], null, s10, v16, s[12:13]
	v_mul_lo_u32 v18, s10, v18
	v_mul_lo_u32 v47, s11, v16
	v_mad_u64_u32 v[39:40], null, s10, v16, s[14:15]
	v_add_co_ci_u32_e64 v74, null, s15, v5, vcc_lo
	v_add_co_u32 v75, vcc_lo, s12, v6
	v_add_co_ci_u32_e64 v76, null, s13, v7, vcc_lo
	v_add_co_u32 v77, vcc_lo, s14, v6
	v_add_nc_u32_e32 v5, s28, v0
	v_mov_b32_e32 v6, v2
	v_add_co_ci_u32_e64 v78, null, s15, v7, vcc_lo
	v_add_co_u32 v79, vcc_lo, s12, v3
	v_add_co_ci_u32_e64 v80, null, s13, v4, vcc_lo
	v_add_co_u32 v81, vcc_lo, s14, v3
	v_add3_u32 v26, v47, v26, v18
	v_add3_u32 v40, v47, v40, v18
	v_lshlrev_b64 v[47:48], 1, v[5:6]
	v_add_co_ci_u32_e64 v82, null, s15, v4, vcc_lo
.LBB115_53:                             ; =>This Inner Loop Header: Depth=1
	v_cmp_ge_i64_e64 s0, s[24:25], s[8:9]
	v_add_co_u32 v85, s7, v49, s24
	v_add_co_ci_u32_e64 v86, null, 0, s25, s7
                                        ; implicit-def: $vgpr62
                                        ; implicit-def: $vgpr11
	s_and_b32 vcc_lo, exec_lo, s0
	s_mov_b32 s0, -1
	s_cbranch_vccz .LBB115_75
; %bb.54:                               ;   in Loop: Header=BB115_53 Depth=1
	s_load_dword s0, s[20:21], 0xc
	v_mov_b32_e32 v87, 0
	v_mov_b32_e32 v62, 0
	s_waitcnt lgkmcnt(0)
	s_and_b32 s0, s0, 0xffff
	v_mad_u32_u24 v3, v1, s0, v0
	s_mov_b32 s0, exec_lo
	v_and_b32_e32 v3, 31, v3
	v_cmpx_gt_u32_e32 8, v3
	s_cbranch_execz .LBB115_58
; %bb.55:                               ;   in Loop: Header=BB115_53 Depth=1
	v_add_co_u32 v3, vcc_lo, v85, v3
	v_add_co_ci_u32_e64 v4, null, 0, v86, vcc_lo
	v_mov_b32_e32 v62, 0
	v_add_co_u32 v3, vcc_lo, 0xffffff01, v3
	v_add_co_ci_u32_e64 v4, null, -1, v4, vcc_lo
	v_mov_b32_e32 v87, 0
	s_mov_b32 s7, exec_lo
	v_cmpx_gt_i64_e64 s[8:9], v[3:4]
	s_cbranch_execz .LBB115_57
; %bb.56:                               ;   in Loop: Header=BB115_53 Depth=1
	v_lshlrev_b64 v[3:4], 2, v[3:4]
	v_add_co_u32 v5, vcc_lo, s16, v3
	v_add_co_ci_u32_e64 v6, null, s17, v4, vcc_lo
	v_add_co_u32 v3, vcc_lo, s18, v3
	v_add_co_ci_u32_e64 v4, null, s19, v4, vcc_lo
	global_load_dword v62, v[5:6], off
	global_load_dword v87, v[3:4], off
.LBB115_57:                             ;   in Loop: Header=BB115_53 Depth=1
	s_or_b32 exec_lo, exec_lo, s7
.LBB115_58:                             ;   in Loop: Header=BB115_53 Depth=1
	s_or_b32 exec_lo, exec_lo, s0
	v_add_co_u32 v10, vcc_lo, 0xffffff01, v85
	v_add_co_ci_u32_e64 v11, null, -1, v86, vcc_lo
	v_mov_b32_e32 v9, v2
	v_mov_b32_e32 v3, v2
	;; [unrolled: 1-line block ×7, first 2 shown]
	v_cmp_gt_i64_e32 vcc_lo, s[8:9], v[10:11]
	v_mov_b32_e32 v18, v9
	v_mov_b32_e32 v15, v6
	;; [unrolled: 1-line block ×16, first 2 shown]
	s_and_saveexec_b32 s0, vcc_lo
	s_cbranch_execz .LBB115_60
; %bb.59:                               ;   in Loop: Header=BB115_53 Depth=1
	v_add_co_u32 v3, vcc_lo, v50, v47
	v_add_co_ci_u32_e64 v4, null, v51, v48, vcc_lo
	v_add_co_u32 v5, vcc_lo, v52, v47
	v_add_co_ci_u32_e64 v6, null, v53, v48, vcc_lo
	global_load_ushort v3, v[3:4], off
	global_load_ushort v11, v[5:6], off
	v_mov_b32_e32 v4, v2
	v_mov_b32_e32 v5, v2
	;; [unrolled: 1-line block ×14, first 2 shown]
	s_waitcnt vmcnt(1)
	v_lshlrev_b32_e32 v3, 16, v3
	s_waitcnt vmcnt(0)
	v_lshlrev_b32_e32 v11, 16, v11
.LBB115_60:                             ;   in Loop: Header=BB115_53 Depth=1
	s_or_b32 exec_lo, exec_lo, s0
	v_add_co_u32 v88, vcc_lo, 0xffffff02, v85
	v_add_co_ci_u32_e64 v89, null, -1, v86, vcc_lo
	s_mov_b32 s0, exec_lo
	v_cmpx_gt_i64_e64 s[8:9], v[88:89]
	s_cbranch_execz .LBB115_62
; %bb.61:                               ;   in Loop: Header=BB115_53 Depth=1
	v_add_co_u32 v88, vcc_lo, v79, v47
	v_add_co_ci_u32_e64 v89, null, v80, v48, vcc_lo
	v_add_co_u32 v90, vcc_lo, v81, v47
	v_add_co_ci_u32_e64 v91, null, v82, v48, vcc_lo
	global_load_ushort v4, v[88:89], off
	global_load_ushort v12, v[90:91], off
	s_waitcnt vmcnt(1)
	v_lshlrev_b32_e32 v4, 16, v4
	s_waitcnt vmcnt(0)
	v_lshlrev_b32_e32 v12, 16, v12
.LBB115_62:                             ;   in Loop: Header=BB115_53 Depth=1
	s_or_b32 exec_lo, exec_lo, s0
	v_add_co_u32 v88, vcc_lo, 0xffffff03, v85
	v_add_co_ci_u32_e64 v89, null, -1, v86, vcc_lo
	s_mov_b32 s0, exec_lo
	v_cmpx_gt_i64_e64 s[8:9], v[88:89]
	s_cbranch_execz .LBB115_64
; %bb.63:                               ;   in Loop: Header=BB115_53 Depth=1
	v_add_co_u32 v88, vcc_lo, v75, v47
	v_add_co_ci_u32_e64 v89, null, v76, v48, vcc_lo
	v_add_co_u32 v90, vcc_lo, v77, v47
	v_add_co_ci_u32_e64 v91, null, v78, v48, vcc_lo
	global_load_ushort v5, v[88:89], off
	global_load_ushort v13, v[90:91], off
	s_waitcnt vmcnt(1)
	v_lshlrev_b32_e32 v5, 16, v5
	s_waitcnt vmcnt(0)
	v_lshlrev_b32_e32 v13, 16, v13
.LBB115_64:                             ;   in Loop: Header=BB115_53 Depth=1
	;; [unrolled: 18-line block ×7, first 2 shown]
	s_or_b32 exec_lo, exec_lo, s0
	s_waitcnt vmcnt(1)
	ds_bpermute_b32 v89, v2, v62
	s_waitcnt vmcnt(0)
	ds_bpermute_b32 v88, v2, v87
	s_mov_b32 s0, 0
	s_waitcnt lgkmcnt(1)
	v_sub_f32_e32 v11, v11, v89
	ds_bpermute_b32 v89, v2, v62 offset:4
	v_mul_f32_e32 v11, v3, v11
	v_add_f32_e32 v3, v84, v3
	s_waitcnt lgkmcnt(1)
	v_fma_f32 v11, v11, v88, v83
	ds_bpermute_b32 v88, v2, v87 offset:4
	v_add_f32_e32 v3, v4, v3
	v_add_f32_e32 v3, v5, v3
	s_waitcnt lgkmcnt(1)
	v_sub_f32_e32 v12, v12, v89
	v_add_f32_e32 v3, v6, v3
	v_mul_f32_e32 v12, v4, v12
	ds_bpermute_b32 v4, v2, v87 offset:8
	v_add_f32_e32 v3, v7, v3
	s_waitcnt lgkmcnt(1)
	v_fmac_f32_e32 v11, v12, v88
	ds_bpermute_b32 v12, v2, v62 offset:8
	v_add_f32_e32 v3, v8, v3
	v_add_f32_e32 v3, v9, v3
	s_waitcnt lgkmcnt(0)
	v_sub_f32_e32 v12, v13, v12
	v_mul_f32_e32 v12, v5, v12
	ds_bpermute_b32 v5, v2, v62 offset:12
	v_fmac_f32_e32 v11, v12, v4
	ds_bpermute_b32 v4, v2, v87 offset:12
	s_waitcnt lgkmcnt(1)
	v_sub_f32_e32 v5, v14, v5
	v_mul_f32_e32 v5, v6, v5
	s_waitcnt lgkmcnt(0)
	v_fmac_f32_e32 v11, v5, v4
	ds_bpermute_b32 v5, v2, v62 offset:16
	ds_bpermute_b32 v4, v2, v87 offset:16
	s_waitcnt lgkmcnt(1)
	v_sub_f32_e32 v5, v15, v5
	v_mul_f32_e32 v5, v7, v5
	s_waitcnt lgkmcnt(0)
	v_fmac_f32_e32 v11, v5, v4
	ds_bpermute_b32 v5, v2, v62 offset:20
	;; [unrolled: 7-line block ×4, first 2 shown]
	ds_bpermute_b32 v4, v2, v87 offset:28
	v_add_f32_e32 v62, v10, v3
	s_waitcnt lgkmcnt(1)
	v_sub_f32_e32 v5, v18, v5
	v_mul_f32_e32 v5, v10, v5
	s_waitcnt lgkmcnt(0)
	v_fmac_f32_e32 v11, v5, v4
.LBB115_75:                             ;   in Loop: Header=BB115_53 Depth=1
	s_and_b32 vcc_lo, exec_lo, s0
	s_cbranch_vccz .LBB115_81
; %bb.76:                               ;   in Loop: Header=BB115_53 Depth=1
	s_load_dword s0, s[20:21], 0x0
	v_mov_b32_e32 v6, 0
	v_mov_b32_e32 v5, 0
	s_waitcnt lgkmcnt(0)
	s_cmp_lt_u32 s6, s0
	s_cselect_b32 s0, 12, 18
	s_add_u32 s12, s20, s0
	s_addc_u32 s13, s21, 0
	s_mov_b32 s0, exec_lo
	global_load_ushort v3, v2, s[12:13]
	s_waitcnt vmcnt(0)
	v_mad_u32_u24 v3, v1, v3, v0
	v_and_b32_e32 v3, 31, v3
	v_cmpx_gt_u32_e32 8, v3
	s_cbranch_execz .LBB115_80
; %bb.77:                               ;   in Loop: Header=BB115_53 Depth=1
	v_add_co_u32 v3, vcc_lo, v85, v3
	v_add_co_ci_u32_e64 v4, null, 0, v86, vcc_lo
	v_mov_b32_e32 v5, 0
	v_add_co_u32 v3, vcc_lo, 0xffffff01, v3
	v_add_co_ci_u32_e64 v4, null, -1, v4, vcc_lo
	v_mov_b32_e32 v6, 0
	s_mov_b32 s7, exec_lo
	v_cmpx_gt_i64_e64 s[8:9], v[3:4]
	s_cbranch_execz .LBB115_79
; %bb.78:                               ;   in Loop: Header=BB115_53 Depth=1
	v_lshlrev_b64 v[3:4], 2, v[3:4]
	v_add_co_u32 v5, vcc_lo, s16, v3
	v_add_co_ci_u32_e64 v6, null, s17, v4, vcc_lo
	v_add_co_u32 v3, vcc_lo, s18, v3
	v_add_co_ci_u32_e64 v4, null, s19, v4, vcc_lo
	global_load_dword v5, v[5:6], off
	global_load_dword v6, v[3:4], off
.LBB115_79:                             ;   in Loop: Header=BB115_53 Depth=1
	s_or_b32 exec_lo, exec_lo, s7
.LBB115_80:                             ;   in Loop: Header=BB115_53 Depth=1
	s_or_b32 exec_lo, exec_lo, s0
	v_add_co_u32 v3, vcc_lo, v50, v47
	v_add_co_ci_u32_e64 v4, null, v51, v48, vcc_lo
	v_add_co_u32 v7, vcc_lo, v52, v47
	v_add_co_ci_u32_e64 v8, null, v53, v48, vcc_lo
	global_load_ushort v15, v[3:4], off
	v_add_co_u32 v3, vcc_lo, v19, v47
	v_add_co_ci_u32_e64 v4, null, v20, v48, vcc_lo
	v_add_co_u32 v9, vcc_lo, v33, v47
	v_add_co_ci_u32_e64 v10, null, v34, v48, vcc_lo
	;; [unrolled: 2-line block ×4, first 2 shown]
	global_load_ushort v16, v[7:8], off
	global_load_ushort v17, v[3:4], off
	;; [unrolled: 1-line block ×5, first 2 shown]
	v_add_co_u32 v3, vcc_lo, v23, v47
	v_add_co_ci_u32_e64 v4, null, v24, v48, vcc_lo
	v_add_co_u32 v7, vcc_lo, v37, v47
	v_add_co_ci_u32_e64 v8, null, v38, v48, vcc_lo
	;; [unrolled: 2-line block ×5, first 2 shown]
	global_load_ushort v86, v[7:8], off
	global_load_ushort v87, v[3:4], off
	;; [unrolled: 1-line block ×5, first 2 shown]
	v_add_co_u32 v3, vcc_lo, v41, v47
	v_add_co_ci_u32_e64 v4, null, v42, v48, vcc_lo
	v_add_co_u32 v7, vcc_lo, v29, v47
	v_add_co_ci_u32_e64 v8, null, v30, v48, vcc_lo
	;; [unrolled: 2-line block ×3, first 2 shown]
	global_load_ushort v13, v[3:4], off
	global_load_ushort v14, v[7:8], off
	;; [unrolled: 1-line block ×3, first 2 shown]
	v_add_co_u32 v7, s0, v45, v47
	v_add_co_u32 v3, vcc_lo, v31, v47
	v_add_co_ci_u32_e64 v8, null, v46, v48, s0
	v_add_co_ci_u32_e64 v4, null, v32, v48, vcc_lo
	global_load_ushort v7, v[7:8], off
	global_load_ushort v3, v[3:4], off
	s_waitcnt vmcnt(17)
	ds_bpermute_b32 v4, v2, v5
	s_waitcnt vmcnt(16)
	ds_bpermute_b32 v8, v2, v6
	ds_bpermute_b32 v89, v2, v5 offset:8
	ds_bpermute_b32 v90, v2, v6 offset:4
	;; [unrolled: 1-line block ×4, first 2 shown]
	s_waitcnt vmcnt(15)
	v_lshlrev_b32_e32 v15, 16, v15
	s_waitcnt vmcnt(14)
	v_lshlrev_b32_e32 v10, 16, v16
	ds_bpermute_b32 v16, v2, v5 offset:4
	s_waitcnt vmcnt(12)
	v_lshlrev_b32_e32 v18, 16, v18
	v_lshlrev_b32_e32 v17, 16, v17
	s_waitcnt vmcnt(10)
	v_lshlrev_b32_e32 v85, 16, v85
	s_waitcnt lgkmcnt(6)
	v_sub_f32_e32 v4, v10, v4
	ds_bpermute_b32 v10, v2, v5 offset:12
	v_lshlrev_b32_e32 v62, 16, v62
	s_waitcnt lgkmcnt(5)
	v_sub_f32_e32 v85, v85, v89
	v_mul_f32_e32 v4, v4, v15
	v_add_f32_e32 v15, v84, v15
	ds_bpermute_b32 v84, v2, v6 offset:20
	ds_bpermute_b32 v89, v2, v6 offset:24
	v_mul_f32_e32 v85, v85, v62
	v_fmac_f32_e32 v83, v4, v8
	ds_bpermute_b32 v8, v2, v5 offset:16
	ds_bpermute_b32 v4, v2, v6 offset:16
	;; [unrolled: 1-line block ×3, first 2 shown]
	s_waitcnt vmcnt(9)
	v_lshlrev_b32_e32 v86, 16, v86
	s_waitcnt lgkmcnt(6)
	v_sub_f32_e32 v16, v18, v16
	ds_bpermute_b32 v18, v2, v5 offset:20
	s_waitcnt vmcnt(8)
	v_lshlrev_b32_e32 v87, 16, v87
	s_waitcnt vmcnt(6)
	v_lshlrev_b32_e32 v11, 16, v11
	s_waitcnt lgkmcnt(6)
	v_sub_f32_e32 v10, v86, v10
	ds_bpermute_b32 v86, v2, v5 offset:24
	v_mul_f32_e32 v16, v16, v17
	ds_bpermute_b32 v5, v2, v5 offset:28
	v_lshlrev_b32_e32 v88, 16, v88
	v_mul_f32_e32 v10, v10, v87
	s_waitcnt vmcnt(5)
	v_lshlrev_b32_e32 v12, 16, v12
	v_fmac_f32_e32 v83, v16, v90
	s_waitcnt lgkmcnt(5)
	v_sub_f32_e32 v8, v11, v8
	s_waitcnt vmcnt(4)
	v_lshlrev_b32_e32 v13, 16, v13
	v_add_f32_e32 v11, v15, v17
	v_fmac_f32_e32 v83, v85, v91
	s_waitcnt vmcnt(2)
	v_lshlrev_b32_e32 v9, 16, v9
	v_mul_f32_e32 v8, v8, v88
	s_waitcnt lgkmcnt(2)
	v_sub_f32_e32 v13, v13, v18
	v_add_f32_e32 v11, v11, v62
	v_fmac_f32_e32 v83, v10, v92
	v_lshlrev_b32_e32 v10, 16, v14
	s_waitcnt lgkmcnt(1)
	v_sub_f32_e32 v9, v9, v86
	v_mul_f32_e32 v13, v13, v12
	v_add_f32_e32 v11, v11, v87
	v_fmac_f32_e32 v83, v8, v4
	s_waitcnt vmcnt(1)
	v_lshlrev_b32_e32 v4, 16, v7
	s_waitcnt vmcnt(0)
	v_lshlrev_b32_e32 v3, 16, v3
	v_mul_f32_e32 v7, v9, v10
	v_add_f32_e32 v8, v11, v88
	v_fmac_f32_e32 v83, v13, v84
	s_waitcnt lgkmcnt(0)
	v_sub_f32_e32 v4, v4, v5
	v_add_f32_e32 v5, v8, v12
	v_fmac_f32_e32 v83, v7, v89
	v_mul_f32_e32 v4, v4, v3
	v_add_f32_e32 v5, v5, v10
	v_fmac_f32_e32 v83, v4, v6
	v_add_f32_e32 v62, v5, v3
	v_mov_b32_e32 v11, v83
.LBB115_81:                             ;   in Loop: Header=BB115_53 Depth=1
	v_add_co_u32 v50, vcc_lo, v50, s22
	v_add_co_ci_u32_e64 v51, null, s23, v51, vcc_lo
	v_add_co_u32 v52, vcc_lo, v52, s22
	v_add_co_ci_u32_e64 v53, null, s23, v53, vcc_lo
	;; [unrolled: 2-line block ×26, first 2 shown]
	v_add_co_u32 v75, vcc_lo, v75, s22
	s_add_u32 s2, s2, s1
	v_add_co_ci_u32_e64 v76, null, s23, v76, vcc_lo
	v_add_co_u32 v77, vcc_lo, v77, s22
	s_addc_u32 s3, s3, 0
	v_add_co_ci_u32_e64 v78, null, s23, v78, vcc_lo
	v_add_co_u32 v79, vcc_lo, v79, s22
	v_cmp_ge_i64_e64 s0, s[2:3], s[8:9]
	v_add_co_ci_u32_e64 v80, null, s23, v80, vcc_lo
	v_add_co_u32 v81, vcc_lo, v81, s22
	v_add_co_ci_u32_e64 v82, null, s23, v82, vcc_lo
	s_add_u32 s24, s24, s1
	s_addc_u32 s25, s25, 0
	s_and_b32 vcc_lo, exec_lo, s0
	s_cbranch_vccnz .LBB115_83
; %bb.82:                               ;   in Loop: Header=BB115_53 Depth=1
	v_mov_b32_e32 v84, v62
	v_mov_b32_e32 v83, v11
	s_branch .LBB115_53
.LBB115_83:
	v_mad_u32_u24 v2, v1, 33, v0
	v_lshrrev_b32_e32 v3, 5, v0
	s_mov_b32 s7, 0
	s_mov_b32 s0, exec_lo
	v_lshl_add_u32 v2, v2, 2, 0
	v_add_nc_u32_e32 v1, v3, v1
	ds_write_b32 v2, v11
	ds_write_b32 v2, v62 offset:4224
	s_waitcnt lgkmcnt(0)
	s_barrier
	buffer_gl0_inv
	v_cmpx_gt_u32_e32 32, v1
	s_cbranch_execz .LBB115_89
; %bb.84:
	v_and_b32_e32 v2, 31, v0
	v_mbcnt_lo_u32_b32 v3, -1, 0
	s_lshl_b64 s[0:1], s[6:7], 5
	v_mad_u32_u24 v2, v2, 33, v1
	v_xor_b32_e32 v5, 16, v3
	v_xor_b32_e32 v7, 8, v3
	v_or_b32_e32 v1, s0, v1
	v_cmp_eq_u32_e64 s0, 0, v0
	v_lshl_add_u32 v2, v2, 2, 0
	v_cmp_gt_i32_e32 vcc_lo, 32, v5
	ds_read_b32 v4, v2
	ds_read_b32 v2, v2 offset:4224
	v_cndmask_b32_e32 v5, v3, v5, vcc_lo
	v_cmp_gt_i32_e32 vcc_lo, 32, v7
	v_lshlrev_b32_e32 v5, 2, v5
	v_cndmask_b32_e32 v7, v3, v7, vcc_lo
	v_lshlrev_b32_e32 v7, 2, v7
	s_waitcnt lgkmcnt(1)
	ds_bpermute_b32 v6, v5, v4
	s_waitcnt lgkmcnt(1)
	ds_bpermute_b32 v5, v5, v2
	s_waitcnt lgkmcnt(1)
	v_add_f32_e32 v4, v4, v6
	s_waitcnt lgkmcnt(0)
	v_add_f32_e32 v2, v2, v5
	ds_bpermute_b32 v5, v7, v4
	ds_bpermute_b32 v6, v7, v2
	v_xor_b32_e32 v7, 4, v3
	v_cmp_gt_i32_e32 vcc_lo, 32, v7
	v_cndmask_b32_e32 v7, v3, v7, vcc_lo
	v_lshlrev_b32_e32 v7, 2, v7
	s_waitcnt lgkmcnt(1)
	v_add_f32_e32 v4, v4, v5
	s_waitcnt lgkmcnt(0)
	v_add_f32_e32 v2, v2, v6
	ds_bpermute_b32 v5, v7, v4
	ds_bpermute_b32 v6, v7, v2
	v_xor_b32_e32 v7, 2, v3
	v_cmp_gt_i32_e32 vcc_lo, 32, v7
	v_cndmask_b32_e32 v7, v3, v7, vcc_lo
	v_lshlrev_b32_e32 v7, 2, v7
	;; [unrolled: 10-line block ×3, first 2 shown]
	s_waitcnt lgkmcnt(1)
	v_add_f32_e32 v5, v4, v5
	s_waitcnt lgkmcnt(0)
	v_add_f32_e32 v3, v2, v6
	v_mov_b32_e32 v2, s1
	ds_bpermute_b32 v6, v7, v5
	ds_bpermute_b32 v4, v7, v3
	v_cmp_gt_i64_e32 vcc_lo, s[10:11], v[1:2]
	s_and_b32 s0, s0, vcc_lo
	s_and_b32 exec_lo, exec_lo, s0
	s_cbranch_execz .LBB115_89
; %bb.85:
	s_load_dwordx4 s[0:3], s[4:5], 0x30
	v_lshlrev_b64 v[0:1], 1, v[1:2]
	s_waitcnt lgkmcnt(0)
	s_cmp_eq_u64 s[0:1], 0
	s_cbranch_scc1 .LBB115_87
; %bb.86:
	v_add_f32_e32 v2, v5, v6
	v_mov_b32_e32 v6, 0x7fc0
	v_bfe_u32 v5, v2, 16, 1
	v_cmp_o_f32_e32 vcc_lo, v2, v2
	v_add3_u32 v2, v2, v5, 0x7fff
	v_cndmask_b32_sdwa v2, v6, v2, vcc_lo dst_sel:DWORD dst_unused:UNUSED_PAD src0_sel:DWORD src1_sel:WORD_1
	v_add_co_u32 v5, vcc_lo, s0, v0
	v_add_co_ci_u32_e64 v6, null, s1, v1, vcc_lo
	global_store_short v[5:6], v2, off
.LBB115_87:
	s_cmp_eq_u64 s[2:3], 0
	s_cbranch_scc1 .LBB115_89
; %bb.88:
	v_add_f32_e32 v2, v3, v4
	v_mov_b32_e32 v4, 0x7fc0
	v_bfe_u32 v3, v2, 16, 1
	v_cmp_o_f32_e32 vcc_lo, v2, v2
	v_add3_u32 v2, v2, v3, 0x7fff
	v_cndmask_b32_sdwa v2, v4, v2, vcc_lo dst_sel:DWORD dst_unused:UNUSED_PAD src0_sel:DWORD src1_sel:WORD_1
	v_add_co_u32 v0, vcc_lo, s2, v0
	v_add_co_ci_u32_e64 v1, null, s3, v1, vcc_lo
	global_store_short v[0:1], v2, off
.LBB115_89:
	s_endpgm
	.section	.rodata,"a",@progbits
	.p2align	6, 0x0
	.amdhsa_kernel _ZN2at6native12_GLOBAL__N_135GammaBetaBackwardCUDAKernelTemplateIN3c108BFloat16EfLj32ELj32ELj256ELb0ELb0ELb0EEEvllPKT_S7_PKT0_SA_PS5_SB_
		.amdhsa_group_segment_fixed_size 0
		.amdhsa_private_segment_fixed_size 0
		.amdhsa_kernarg_size 320
		.amdhsa_user_sgpr_count 6
		.amdhsa_user_sgpr_private_segment_buffer 1
		.amdhsa_user_sgpr_dispatch_ptr 0
		.amdhsa_user_sgpr_queue_ptr 0
		.amdhsa_user_sgpr_kernarg_segment_ptr 1
		.amdhsa_user_sgpr_dispatch_id 0
		.amdhsa_user_sgpr_flat_scratch_init 0
		.amdhsa_user_sgpr_private_segment_size 0
		.amdhsa_wavefront_size32 1
		.amdhsa_uses_dynamic_stack 0
		.amdhsa_system_sgpr_private_segment_wavefront_offset 0
		.amdhsa_system_sgpr_workgroup_id_x 1
		.amdhsa_system_sgpr_workgroup_id_y 1
		.amdhsa_system_sgpr_workgroup_id_z 0
		.amdhsa_system_sgpr_workgroup_info 0
		.amdhsa_system_vgpr_workitem_id 1
		.amdhsa_next_free_vgpr 93
		.amdhsa_next_free_sgpr 32
		.amdhsa_reserve_vcc 1
		.amdhsa_reserve_flat_scratch 0
		.amdhsa_float_round_mode_32 0
		.amdhsa_float_round_mode_16_64 0
		.amdhsa_float_denorm_mode_32 3
		.amdhsa_float_denorm_mode_16_64 3
		.amdhsa_dx10_clamp 1
		.amdhsa_ieee_mode 1
		.amdhsa_fp16_overflow 0
		.amdhsa_workgroup_processor_mode 1
		.amdhsa_memory_ordered 1
		.amdhsa_forward_progress 1
		.amdhsa_shared_vgpr_count 0
		.amdhsa_exception_fp_ieee_invalid_op 0
		.amdhsa_exception_fp_denorm_src 0
		.amdhsa_exception_fp_ieee_div_zero 0
		.amdhsa_exception_fp_ieee_overflow 0
		.amdhsa_exception_fp_ieee_underflow 0
		.amdhsa_exception_fp_ieee_inexact 0
		.amdhsa_exception_int_div_zero 0
	.end_amdhsa_kernel
	.section	.text._ZN2at6native12_GLOBAL__N_135GammaBetaBackwardCUDAKernelTemplateIN3c108BFloat16EfLj32ELj32ELj256ELb0ELb0ELb0EEEvllPKT_S7_PKT0_SA_PS5_SB_,"axG",@progbits,_ZN2at6native12_GLOBAL__N_135GammaBetaBackwardCUDAKernelTemplateIN3c108BFloat16EfLj32ELj32ELj256ELb0ELb0ELb0EEEvllPKT_S7_PKT0_SA_PS5_SB_,comdat
.Lfunc_end115:
	.size	_ZN2at6native12_GLOBAL__N_135GammaBetaBackwardCUDAKernelTemplateIN3c108BFloat16EfLj32ELj32ELj256ELb0ELb0ELb0EEEvllPKT_S7_PKT0_SA_PS5_SB_, .Lfunc_end115-_ZN2at6native12_GLOBAL__N_135GammaBetaBackwardCUDAKernelTemplateIN3c108BFloat16EfLj32ELj32ELj256ELb0ELb0ELb0EEEvllPKT_S7_PKT0_SA_PS5_SB_
                                        ; -- End function
	.set _ZN2at6native12_GLOBAL__N_135GammaBetaBackwardCUDAKernelTemplateIN3c108BFloat16EfLj32ELj32ELj256ELb0ELb0ELb0EEEvllPKT_S7_PKT0_SA_PS5_SB_.num_vgpr, 93
	.set _ZN2at6native12_GLOBAL__N_135GammaBetaBackwardCUDAKernelTemplateIN3c108BFloat16EfLj32ELj32ELj256ELb0ELb0ELb0EEEvllPKT_S7_PKT0_SA_PS5_SB_.num_agpr, 0
	.set _ZN2at6native12_GLOBAL__N_135GammaBetaBackwardCUDAKernelTemplateIN3c108BFloat16EfLj32ELj32ELj256ELb0ELb0ELb0EEEvllPKT_S7_PKT0_SA_PS5_SB_.numbered_sgpr, 32
	.set _ZN2at6native12_GLOBAL__N_135GammaBetaBackwardCUDAKernelTemplateIN3c108BFloat16EfLj32ELj32ELj256ELb0ELb0ELb0EEEvllPKT_S7_PKT0_SA_PS5_SB_.num_named_barrier, 0
	.set _ZN2at6native12_GLOBAL__N_135GammaBetaBackwardCUDAKernelTemplateIN3c108BFloat16EfLj32ELj32ELj256ELb0ELb0ELb0EEEvllPKT_S7_PKT0_SA_PS5_SB_.private_seg_size, 0
	.set _ZN2at6native12_GLOBAL__N_135GammaBetaBackwardCUDAKernelTemplateIN3c108BFloat16EfLj32ELj32ELj256ELb0ELb0ELb0EEEvllPKT_S7_PKT0_SA_PS5_SB_.uses_vcc, 1
	.set _ZN2at6native12_GLOBAL__N_135GammaBetaBackwardCUDAKernelTemplateIN3c108BFloat16EfLj32ELj32ELj256ELb0ELb0ELb0EEEvllPKT_S7_PKT0_SA_PS5_SB_.uses_flat_scratch, 0
	.set _ZN2at6native12_GLOBAL__N_135GammaBetaBackwardCUDAKernelTemplateIN3c108BFloat16EfLj32ELj32ELj256ELb0ELb0ELb0EEEvllPKT_S7_PKT0_SA_PS5_SB_.has_dyn_sized_stack, 0
	.set _ZN2at6native12_GLOBAL__N_135GammaBetaBackwardCUDAKernelTemplateIN3c108BFloat16EfLj32ELj32ELj256ELb0ELb0ELb0EEEvllPKT_S7_PKT0_SA_PS5_SB_.has_recursion, 0
	.set _ZN2at6native12_GLOBAL__N_135GammaBetaBackwardCUDAKernelTemplateIN3c108BFloat16EfLj32ELj32ELj256ELb0ELb0ELb0EEEvllPKT_S7_PKT0_SA_PS5_SB_.has_indirect_call, 0
	.section	.AMDGPU.csdata,"",@progbits
; Kernel info:
; codeLenInByte = 8880
; TotalNumSgprs: 34
; NumVgprs: 93
; ScratchSize: 0
; MemoryBound: 0
; FloatMode: 240
; IeeeMode: 1
; LDSByteSize: 0 bytes/workgroup (compile time only)
; SGPRBlocks: 0
; VGPRBlocks: 11
; NumSGPRsForWavesPerEU: 34
; NumVGPRsForWavesPerEU: 93
; Occupancy: 10
; WaveLimiterHint : 0
; COMPUTE_PGM_RSRC2:SCRATCH_EN: 0
; COMPUTE_PGM_RSRC2:USER_SGPR: 6
; COMPUTE_PGM_RSRC2:TRAP_HANDLER: 0
; COMPUTE_PGM_RSRC2:TGID_X_EN: 1
; COMPUTE_PGM_RSRC2:TGID_Y_EN: 1
; COMPUTE_PGM_RSRC2:TGID_Z_EN: 0
; COMPUTE_PGM_RSRC2:TIDIG_COMP_CNT: 1
	.section	.text._ZN2at6native12_GLOBAL__N_118cuComputeGradInputIddLb1EEEvPKT_S5_llPKT0_S8_S5_PS3_,"axG",@progbits,_ZN2at6native12_GLOBAL__N_118cuComputeGradInputIddLb1EEEvPKT_S5_llPKT0_S8_S5_PS3_,comdat
	.globl	_ZN2at6native12_GLOBAL__N_118cuComputeGradInputIddLb1EEEvPKT_S5_llPKT0_S8_S5_PS3_ ; -- Begin function _ZN2at6native12_GLOBAL__N_118cuComputeGradInputIddLb1EEEvPKT_S5_llPKT0_S8_S5_PS3_
	.p2align	8
	.type	_ZN2at6native12_GLOBAL__N_118cuComputeGradInputIddLb1EEEvPKT_S5_llPKT0_S8_S5_PS3_,@function
_ZN2at6native12_GLOBAL__N_118cuComputeGradInputIddLb1EEEvPKT_S5_llPKT0_S8_S5_PS3_: ; @_ZN2at6native12_GLOBAL__N_118cuComputeGradInputIddLb1EEEvPKT_S5_llPKT0_S8_S5_PS3_
; %bb.0:
	s_load_dwordx4 s[8:11], s[4:5], 0x10
	s_mov_b32 s6, s7
	s_ashr_i32 s7, s7, 31
	s_waitcnt lgkmcnt(0)
	v_cmp_le_i64_e64 s0, s[8:9], s[6:7]
	s_and_b32 vcc_lo, exec_lo, s0
	s_cbranch_vccnz .LBB116_47
; %bb.1:
	v_cvt_f64_i32_e32 v[2:3], s11
	v_cvt_f64_u32_e32 v[4:5], s10
	s_clause 0x4
	s_load_dword s0, s[4:5], 0x4c
	s_load_dwordx4 s[12:15], s[4:5], 0x30
	s_load_dword s26, s[4:5], 0x44
	s_load_dwordx4 s[16:19], s[4:5], 0x0
	s_load_dwordx2 s[20:21], s[4:5], 0x28
	v_cmp_gt_i64_e64 s35, s[10:11], 0
	v_cmp_ne_u32_e64 s1, 0, v1
	v_mbcnt_lo_u32_b32 v22, -1, 0
	v_cndmask_b32_e64 v20, 0, 1, s35
	s_waitcnt lgkmcnt(0)
	s_and_b32 s28, s0, 0xffff
	v_ldexp_f64 v[2:3], v[2:3], 32
	s_lshr_b32 s27, s0, 16
	s_cmp_lg_u64 s[12:13], 0
	s_mul_i32 s31, s27, s28
	s_cselect_b32 s29, -1, 0
	s_cmp_gt_u32 s28, 1
	v_cmp_eq_u32_e64 s0, 0, v1
	s_cselect_b32 s30, -1, 0
	s_cmp_gt_u32 s27, 1
	s_cselect_b32 s33, -1, 0
	s_ashr_i32 s34, s31, 31
	v_add_f64 v[2:3], v[2:3], v[4:5]
	v_div_scale_f64 v[4:5], null, v[2:3], v[2:3], 1.0
	v_div_scale_f64 v[10:11], vcc_lo, 1.0, v[2:3], 1.0
	v_rcp_f64_e32 v[6:7], v[4:5]
	v_fma_f64 v[8:9], -v[4:5], v[6:7], 1.0
	v_fma_f64 v[6:7], v[6:7], v[8:9], v[6:7]
	v_fma_f64 v[8:9], -v[4:5], v[6:7], 1.0
	v_fma_f64 v[6:7], v[6:7], v[8:9], v[6:7]
	v_mul_f64 v[8:9], v[10:11], v[6:7]
	v_fma_f64 v[4:5], -v[4:5], v[8:9], v[10:11]
	v_lshlrev_b32_e32 v11, 4, v0
	v_add_nc_u32_e32 v23, 0, v11
	v_div_fmas_f64 v[5:6], v[4:5], v[6:7], v[8:9]
	v_mad_u32_u24 v4, v1, s28, v0
	v_add_nc_u32_e32 v8, s31, v4
	v_lshlrev_b32_e32 v10, 4, v4
	v_ashrrev_i32_e32 v9, 31, v8
	v_sub_co_u32 v8, vcc_lo, v8, s31
	v_add_nc_u32_e32 v21, 0, v10
	v_subrev_co_ci_u32_e64 v9, null, s34, v9, vcc_lo
	v_div_fixup_f64 v[6:7], v[5:6], v[2:3], 1.0
	v_mov_b32_e32 v5, 0
	v_cmp_gt_i64_e64 s2, s[10:11], v[4:5]
	s_branch .LBB116_4
.LBB116_2:                              ;   in Loop: Header=BB116_4 Depth=1
	s_inst_prefetch 0x2
	s_or_b32 exec_lo, exec_lo, s24
.LBB116_3:                              ;   in Loop: Header=BB116_4 Depth=1
	s_add_i32 s6, s26, s6
	s_waitcnt_vscnt null, 0x0
	s_ashr_i32 s7, s6, 31
	s_barrier
	v_cmp_le_i64_e64 s3, s[8:9], s[6:7]
	buffer_gl0_inv
	s_and_b32 vcc_lo, exec_lo, s3
	s_cbranch_vccnz .LBB116_47
.LBB116_4:                              ; =>This Loop Header: Depth=1
                                        ;     Child Loop BB116_8 Depth 2
                                        ;     Child Loop BB116_19 Depth 2
	;; [unrolled: 1-line block ×6, first 2 shown]
	s_mul_i32 s3, s6, s11
	s_mul_hi_u32 s4, s6, s10
	s_mul_i32 s22, s7, s10
	s_add_i32 s3, s4, s3
	s_lshl_b64 s[4:5], s[6:7], 3
	s_add_i32 s25, s3, s22
	s_add_u32 s4, s20, s4
	s_addc_u32 s5, s21, s5
	s_mul_i32 s24, s6, s10
	s_load_dwordx2 s[22:23], s[4:5], 0x0
	s_lshl_b64 s[24:25], s[24:25], 3
	v_cmp_ne_u32_e64 s3, 1, v20
	s_add_u32 s7, s18, s24
	s_addc_u32 s36, s19, s25
	s_add_u32 s37, s16, s24
	s_addc_u32 s38, s17, s25
	s_andn2_b32 vcc_lo, exec_lo, s29
	s_mov_b32 s4, -1
                                        ; implicit-def: $vgpr10_vgpr11
	s_cbranch_vccnz .LBB116_15
; %bb.5:                                ;   in Loop: Header=BB116_4 Depth=1
	v_mov_b32_e32 v10, 0
	v_mov_b32_e32 v11, 0
	s_and_b32 vcc_lo, exec_lo, s3
	s_cbranch_vccnz .LBB116_14
; %bb.6:                                ;   in Loop: Header=BB116_4 Depth=1
	s_mov_b32 s4, 0
	s_branch .LBB116_8
.LBB116_7:                              ;   in Loop: Header=BB116_8 Depth=2
	s_or_b32 exec_lo, exec_lo, s3
	s_waitcnt vmcnt(0)
	v_mul_f64 v[12:13], v[12:13], v[18:19]
	s_add_i32 s4, s4, s31
	s_ashr_i32 s5, s4, 31
	v_cmp_le_i64_e64 s3, s[10:11], s[4:5]
	s_and_b32 vcc_lo, exec_lo, s3
	v_mul_f64 v[12:13], v[16:17], v[12:13]
	s_waitcnt lgkmcnt(0)
	v_fma_f64 v[10:11], s[22:23], v[12:13], v[10:11]
	s_cbranch_vccnz .LBB116_14
.LBB116_8:                              ;   Parent Loop BB116_4 Depth=1
                                        ; =>  This Inner Loop Header: Depth=2
	v_add_nc_u32_e32 v12, s4, v4
	v_ashrrev_i32_e32 v13, 31, v12
	v_cmp_gt_i64_e32 vcc_lo, s[10:11], v[12:13]
	v_lshlrev_b64 v[14:15], 3, v[12:13]
	v_mov_b32_e32 v12, 0
	v_mov_b32_e32 v13, 0
	s_and_saveexec_b32 s5, vcc_lo
	s_cbranch_execz .LBB116_10
; %bb.9:                                ;   in Loop: Header=BB116_8 Depth=2
	v_add_co_u32 v12, s3, s12, v14
	v_add_co_ci_u32_e64 v13, null, s13, v15, s3
	global_load_dwordx2 v[12:13], v[12:13], off
.LBB116_10:                             ;   in Loop: Header=BB116_8 Depth=2
	s_or_b32 exec_lo, exec_lo, s5
	v_mov_b32_e32 v18, 0
	v_mov_b32_e32 v16, 0
	;; [unrolled: 1-line block ×4, first 2 shown]
	s_and_saveexec_b32 s5, vcc_lo
	s_cbranch_execz .LBB116_12
; %bb.11:                               ;   in Loop: Header=BB116_8 Depth=2
	v_add_co_u32 v16, s3, s7, v14
	v_add_co_ci_u32_e64 v17, null, s36, v15, s3
	global_load_dwordx2 v[16:17], v[16:17], off
.LBB116_12:                             ;   in Loop: Header=BB116_8 Depth=2
	s_or_b32 exec_lo, exec_lo, s5
	s_and_saveexec_b32 s3, vcc_lo
	s_cbranch_execz .LBB116_7
; %bb.13:                               ;   in Loop: Header=BB116_8 Depth=2
	v_add_co_u32 v14, vcc_lo, s37, v14
	v_add_co_ci_u32_e64 v15, null, s38, v15, vcc_lo
	global_load_dwordx2 v[18:19], v[14:15], off
	s_branch .LBB116_7
.LBB116_14:                             ;   in Loop: Header=BB116_4 Depth=1
	s_mov_b32 s4, 0
.LBB116_15:                             ;   in Loop: Header=BB116_4 Depth=1
	s_andn2_b32 vcc_lo, exec_lo, s4
	s_cbranch_vccnz .LBB116_23
; %bb.16:                               ;   in Loop: Header=BB116_4 Depth=1
	v_mov_b32_e32 v10, 0
	v_mov_b32_e32 v11, 0
	s_andn2_b32 vcc_lo, exec_lo, s35
	s_cbranch_vccnz .LBB116_23
; %bb.17:                               ;   in Loop: Header=BB116_4 Depth=1
	s_mov_b32 s4, 0
	s_inst_prefetch 0x1
	s_branch .LBB116_19
	.p2align	6
.LBB116_18:                             ;   in Loop: Header=BB116_19 Depth=2
	s_or_b32 exec_lo, exec_lo, s3
	s_waitcnt vmcnt(0)
	v_mul_f64 v[12:13], v[12:13], v[16:17]
	s_add_i32 s4, s4, s31
	s_ashr_i32 s5, s4, 31
	v_cmp_le_i64_e64 s3, s[10:11], s[4:5]
	s_and_b32 vcc_lo, exec_lo, s3
	s_waitcnt lgkmcnt(0)
	v_fma_f64 v[10:11], s[22:23], v[12:13], v[10:11]
	s_cbranch_vccnz .LBB116_23
.LBB116_19:                             ;   Parent Loop BB116_4 Depth=1
                                        ; =>  This Inner Loop Header: Depth=2
	v_add_nc_u32_e32 v12, s4, v4
	v_ashrrev_i32_e32 v13, 31, v12
	v_cmp_gt_i64_e32 vcc_lo, s[10:11], v[12:13]
	v_lshlrev_b64 v[14:15], 3, v[12:13]
	v_mov_b32_e32 v12, 0
	v_mov_b32_e32 v13, 0
	s_and_saveexec_b32 s5, vcc_lo
	s_cbranch_execz .LBB116_21
; %bb.20:                               ;   in Loop: Header=BB116_19 Depth=2
	v_add_co_u32 v12, s3, s7, v14
	v_add_co_ci_u32_e64 v13, null, s36, v15, s3
	global_load_dwordx2 v[12:13], v[12:13], off
.LBB116_21:                             ;   in Loop: Header=BB116_19 Depth=2
	s_or_b32 exec_lo, exec_lo, s5
	v_mov_b32_e32 v16, 0
	v_mov_b32_e32 v17, 0
	s_and_saveexec_b32 s3, vcc_lo
	s_cbranch_execz .LBB116_18
; %bb.22:                               ;   in Loop: Header=BB116_19 Depth=2
	v_add_co_u32 v14, vcc_lo, s37, v14
	v_add_co_ci_u32_e64 v15, null, s38, v15, vcc_lo
	global_load_dwordx2 v[16:17], v[14:15], off
	s_branch .LBB116_18
.LBB116_23:                             ;   in Loop: Header=BB116_4 Depth=1
	s_inst_prefetch 0x2
	s_andn2_b32 vcc_lo, exec_lo, s30
	s_cbranch_vccnz .LBB116_26
; %bb.24:                               ;   in Loop: Header=BB116_4 Depth=1
	s_mov_b32 s3, s28
.LBB116_25:                             ;   Parent Loop BB116_4 Depth=1
                                        ; =>  This Inner Loop Header: Depth=2
	s_lshr_b32 s4, s3, 1
	s_cmp_lt_u32 s3, 4
	v_xor_b32_e32 v12, s4, v22
	s_mov_b32 s3, s4
	v_cmp_gt_i32_e32 vcc_lo, 32, v12
	v_cndmask_b32_e32 v12, v22, v12, vcc_lo
	v_lshlrev_b32_e32 v13, 2, v12
	ds_bpermute_b32 v12, v13, v10
	ds_bpermute_b32 v13, v13, v11
	s_waitcnt lgkmcnt(0)
	v_add_f64 v[10:11], v[10:11], v[12:13]
	s_cbranch_scc0 .LBB116_25
.LBB116_26:                             ;   in Loop: Header=BB116_4 Depth=1
	s_andn2_b32 vcc_lo, exec_lo, s33
	s_mov_b32 s5, s27
	s_cbranch_vccnz .LBB116_38
	.p2align	6
.LBB116_27:                             ;   Parent Loop BB116_4 Depth=1
                                        ; =>  This Inner Loop Header: Depth=2
	s_lshr_b32 s39, s5, 1
	s_and_b32 s4, s5, 0xfffe
	v_cmp_le_u32_e64 s3, s39, v1
	v_cmp_gt_u32_e64 s4, s4, v1
	v_cmp_gt_u32_e32 vcc_lo, s39, v1
	s_and_b32 s4, s3, s4
	s_and_saveexec_b32 s3, s4
	s_cbranch_execz .LBB116_29
; %bb.28:                               ;   in Loop: Header=BB116_27 Depth=2
	v_subrev_nc_u32_e32 v12, s39, v1
	v_mad_u32_u24 v12, v12, s28, v0
	v_lshl_add_u32 v12, v12, 4, 0
	ds_write_b64 v12, v[10:11] offset:8
.LBB116_29:                             ;   in Loop: Header=BB116_27 Depth=2
	s_or_b32 exec_lo, exec_lo, s3
	s_waitcnt lgkmcnt(0)
	s_barrier
	buffer_gl0_inv
	s_and_saveexec_b32 s3, vcc_lo
	s_cbranch_execz .LBB116_31
; %bb.30:                               ;   in Loop: Header=BB116_27 Depth=2
	ds_read_b64 v[12:13], v21 offset:8
	s_waitcnt lgkmcnt(0)
	v_add_f64 v[10:11], v[10:11], v[12:13]
.LBB116_31:                             ;   in Loop: Header=BB116_27 Depth=2
	s_or_b32 exec_lo, exec_lo, s3
	s_cmp_lt_u32 s5, 4
	s_barrier
	buffer_gl0_inv
	s_cbranch_scc1 .LBB116_33
; %bb.32:                               ;   in Loop: Header=BB116_27 Depth=2
	s_mov_b32 s5, s39
	s_branch .LBB116_27
.LBB116_33:                             ;   in Loop: Header=BB116_4 Depth=1
	s_and_saveexec_b32 s3, s0
; %bb.34:                               ;   in Loop: Header=BB116_4 Depth=1
	ds_write_b64 v23, v[10:11] offset:8
; %bb.35:                               ;   in Loop: Header=BB116_4 Depth=1
	s_or_b32 exec_lo, exec_lo, s3
	s_waitcnt lgkmcnt(0)
	s_barrier
	buffer_gl0_inv
	s_and_saveexec_b32 s3, s1
; %bb.36:                               ;   in Loop: Header=BB116_4 Depth=1
	ds_read_b64 v[10:11], v23 offset:8
; %bb.37:                               ;   in Loop: Header=BB116_4 Depth=1
	s_or_b32 exec_lo, exec_lo, s3
.LBB116_38:                             ;   in Loop: Header=BB116_4 Depth=1
	s_waitcnt lgkmcnt(0)
	v_mul_f64 v[12:13], v[6:7], s[22:23]
	s_add_u32 s4, s14, s24
	s_addc_u32 s5, s15, s25
	s_andn2_b32 vcc_lo, exec_lo, s29
	s_cbranch_vccnz .LBB116_43
; %bb.39:                               ;   in Loop: Header=BB116_4 Depth=1
	s_and_saveexec_b32 s24, s2
	s_cbranch_execz .LBB116_42
; %bb.40:                               ;   in Loop: Header=BB116_4 Depth=1
	v_mov_b32_e32 v15, v9
	v_mov_b32_e32 v17, v5
	v_mov_b32_e32 v14, v8
	v_mov_b32_e32 v16, v4
	s_mov_b32 s25, 0
	s_inst_prefetch 0x1
	.p2align	6
.LBB116_41:                             ;   Parent Loop BB116_4 Depth=1
                                        ; =>  This Inner Loop Header: Depth=2
	v_lshlrev_b64 v[18:19], 3, v[16:17]
	v_add_co_u32 v16, vcc_lo, s7, v18
	v_add_co_ci_u32_e64 v17, null, s36, v19, vcc_lo
	v_add_co_u32 v24, vcc_lo, s37, v18
	v_add_co_ci_u32_e64 v25, null, s38, v19, vcc_lo
	global_load_dwordx2 v[16:17], v[16:17], off
	v_add_co_u32 v26, vcc_lo, s12, v18
	global_load_dwordx2 v[24:25], v[24:25], off
	v_add_co_ci_u32_e64 v27, null, s13, v19, vcc_lo
	v_add_co_u32 v14, vcc_lo, v14, s31
	v_add_co_ci_u32_e64 v15, null, s34, v15, vcc_lo
	global_load_dwordx2 v[26:27], v[26:27], off
	v_add_co_u32 v18, s3, s4, v18
	v_cmp_le_i64_e32 vcc_lo, s[10:11], v[14:15]
	v_add_co_ci_u32_e64 v19, null, s5, v19, s3
	s_or_b32 s25, vcc_lo, s25
	s_waitcnt vmcnt(2)
	v_mul_f64 v[16:17], s[22:23], v[16:17]
	s_waitcnt vmcnt(1)
	v_mul_f64 v[24:25], v[24:25], v[2:3]
	v_mul_f64 v[16:17], v[10:11], v[16:17]
	s_waitcnt vmcnt(0)
	v_fma_f64 v[16:17], v[24:25], v[26:27], -v[16:17]
	v_mul_f64 v[24:25], v[12:13], v[16:17]
	v_ashrrev_i32_e32 v17, 31, v14
	v_mov_b32_e32 v16, v14
	global_store_dwordx2 v[18:19], v[24:25], off
	s_andn2_b32 exec_lo, exec_lo, s25
	s_cbranch_execnz .LBB116_41
.LBB116_42:                             ;   in Loop: Header=BB116_4 Depth=1
	s_inst_prefetch 0x2
	s_or_b32 exec_lo, exec_lo, s24
	s_cbranch_execnz .LBB116_3
	s_branch .LBB116_44
.LBB116_43:                             ;   in Loop: Header=BB116_4 Depth=1
.LBB116_44:                             ;   in Loop: Header=BB116_4 Depth=1
	s_and_saveexec_b32 s24, s2
	s_cbranch_execz .LBB116_2
; %bb.45:                               ;   in Loop: Header=BB116_4 Depth=1
	v_mov_b32_e32 v15, v9
	v_mov_b32_e32 v17, v5
	;; [unrolled: 1-line block ×4, first 2 shown]
	s_mov_b32 s25, 0
	s_inst_prefetch 0x1
	.p2align	6
.LBB116_46:                             ;   Parent Loop BB116_4 Depth=1
                                        ; =>  This Inner Loop Header: Depth=2
	v_lshlrev_b64 v[18:19], 3, v[16:17]
	v_add_co_u32 v16, vcc_lo, s7, v18
	v_add_co_ci_u32_e64 v17, null, s36, v19, vcc_lo
	v_add_co_u32 v24, vcc_lo, s37, v18
	v_add_co_ci_u32_e64 v25, null, s38, v19, vcc_lo
	global_load_dwordx2 v[16:17], v[16:17], off
	v_add_co_u32 v14, vcc_lo, v14, s31
	global_load_dwordx2 v[24:25], v[24:25], off
	v_add_co_ci_u32_e64 v15, null, s34, v15, vcc_lo
	v_add_co_u32 v18, s3, s4, v18
	v_add_co_ci_u32_e64 v19, null, s5, v19, s3
	v_cmp_le_i64_e32 vcc_lo, s[10:11], v[14:15]
	s_or_b32 s25, vcc_lo, s25
	s_waitcnt vmcnt(1)
	v_mul_f64 v[16:17], s[22:23], v[16:17]
	v_mul_f64 v[16:17], v[10:11], v[16:17]
	s_waitcnt vmcnt(0)
	v_fma_f64 v[16:17], v[24:25], v[2:3], -v[16:17]
	v_mul_f64 v[24:25], v[12:13], v[16:17]
	v_ashrrev_i32_e32 v17, 31, v14
	v_mov_b32_e32 v16, v14
	global_store_dwordx2 v[18:19], v[24:25], off
	s_andn2_b32 exec_lo, exec_lo, s25
	s_cbranch_execnz .LBB116_46
	s_branch .LBB116_2
.LBB116_47:
	s_endpgm
	.section	.rodata,"a",@progbits
	.p2align	6, 0x0
	.amdhsa_kernel _ZN2at6native12_GLOBAL__N_118cuComputeGradInputIddLb1EEEvPKT_S5_llPKT0_S8_S5_PS3_
		.amdhsa_group_segment_fixed_size 0
		.amdhsa_private_segment_fixed_size 0
		.amdhsa_kernarg_size 320
		.amdhsa_user_sgpr_count 6
		.amdhsa_user_sgpr_private_segment_buffer 1
		.amdhsa_user_sgpr_dispatch_ptr 0
		.amdhsa_user_sgpr_queue_ptr 0
		.amdhsa_user_sgpr_kernarg_segment_ptr 1
		.amdhsa_user_sgpr_dispatch_id 0
		.amdhsa_user_sgpr_flat_scratch_init 0
		.amdhsa_user_sgpr_private_segment_size 0
		.amdhsa_wavefront_size32 1
		.amdhsa_uses_dynamic_stack 0
		.amdhsa_system_sgpr_private_segment_wavefront_offset 0
		.amdhsa_system_sgpr_workgroup_id_x 1
		.amdhsa_system_sgpr_workgroup_id_y 1
		.amdhsa_system_sgpr_workgroup_id_z 0
		.amdhsa_system_sgpr_workgroup_info 0
		.amdhsa_system_vgpr_workitem_id 1
		.amdhsa_next_free_vgpr 28
		.amdhsa_next_free_sgpr 40
		.amdhsa_reserve_vcc 1
		.amdhsa_reserve_flat_scratch 0
		.amdhsa_float_round_mode_32 0
		.amdhsa_float_round_mode_16_64 0
		.amdhsa_float_denorm_mode_32 3
		.amdhsa_float_denorm_mode_16_64 3
		.amdhsa_dx10_clamp 1
		.amdhsa_ieee_mode 1
		.amdhsa_fp16_overflow 0
		.amdhsa_workgroup_processor_mode 1
		.amdhsa_memory_ordered 1
		.amdhsa_forward_progress 1
		.amdhsa_shared_vgpr_count 0
		.amdhsa_exception_fp_ieee_invalid_op 0
		.amdhsa_exception_fp_denorm_src 0
		.amdhsa_exception_fp_ieee_div_zero 0
		.amdhsa_exception_fp_ieee_overflow 0
		.amdhsa_exception_fp_ieee_underflow 0
		.amdhsa_exception_fp_ieee_inexact 0
		.amdhsa_exception_int_div_zero 0
	.end_amdhsa_kernel
	.section	.text._ZN2at6native12_GLOBAL__N_118cuComputeGradInputIddLb1EEEvPKT_S5_llPKT0_S8_S5_PS3_,"axG",@progbits,_ZN2at6native12_GLOBAL__N_118cuComputeGradInputIddLb1EEEvPKT_S5_llPKT0_S8_S5_PS3_,comdat
.Lfunc_end116:
	.size	_ZN2at6native12_GLOBAL__N_118cuComputeGradInputIddLb1EEEvPKT_S5_llPKT0_S8_S5_PS3_, .Lfunc_end116-_ZN2at6native12_GLOBAL__N_118cuComputeGradInputIddLb1EEEvPKT_S5_llPKT0_S8_S5_PS3_
                                        ; -- End function
	.set _ZN2at6native12_GLOBAL__N_118cuComputeGradInputIddLb1EEEvPKT_S5_llPKT0_S8_S5_PS3_.num_vgpr, 28
	.set _ZN2at6native12_GLOBAL__N_118cuComputeGradInputIddLb1EEEvPKT_S5_llPKT0_S8_S5_PS3_.num_agpr, 0
	.set _ZN2at6native12_GLOBAL__N_118cuComputeGradInputIddLb1EEEvPKT_S5_llPKT0_S8_S5_PS3_.numbered_sgpr, 40
	.set _ZN2at6native12_GLOBAL__N_118cuComputeGradInputIddLb1EEEvPKT_S5_llPKT0_S8_S5_PS3_.num_named_barrier, 0
	.set _ZN2at6native12_GLOBAL__N_118cuComputeGradInputIddLb1EEEvPKT_S5_llPKT0_S8_S5_PS3_.private_seg_size, 0
	.set _ZN2at6native12_GLOBAL__N_118cuComputeGradInputIddLb1EEEvPKT_S5_llPKT0_S8_S5_PS3_.uses_vcc, 1
	.set _ZN2at6native12_GLOBAL__N_118cuComputeGradInputIddLb1EEEvPKT_S5_llPKT0_S8_S5_PS3_.uses_flat_scratch, 0
	.set _ZN2at6native12_GLOBAL__N_118cuComputeGradInputIddLb1EEEvPKT_S5_llPKT0_S8_S5_PS3_.has_dyn_sized_stack, 0
	.set _ZN2at6native12_GLOBAL__N_118cuComputeGradInputIddLb1EEEvPKT_S5_llPKT0_S8_S5_PS3_.has_recursion, 0
	.set _ZN2at6native12_GLOBAL__N_118cuComputeGradInputIddLb1EEEvPKT_S5_llPKT0_S8_S5_PS3_.has_indirect_call, 0
	.section	.AMDGPU.csdata,"",@progbits
; Kernel info:
; codeLenInByte = 1768
; TotalNumSgprs: 42
; NumVgprs: 28
; ScratchSize: 0
; MemoryBound: 0
; FloatMode: 240
; IeeeMode: 1
; LDSByteSize: 0 bytes/workgroup (compile time only)
; SGPRBlocks: 0
; VGPRBlocks: 3
; NumSGPRsForWavesPerEU: 42
; NumVGPRsForWavesPerEU: 28
; Occupancy: 16
; WaveLimiterHint : 0
; COMPUTE_PGM_RSRC2:SCRATCH_EN: 0
; COMPUTE_PGM_RSRC2:USER_SGPR: 6
; COMPUTE_PGM_RSRC2:TRAP_HANDLER: 0
; COMPUTE_PGM_RSRC2:TGID_X_EN: 1
; COMPUTE_PGM_RSRC2:TGID_Y_EN: 1
; COMPUTE_PGM_RSRC2:TGID_Z_EN: 0
; COMPUTE_PGM_RSRC2:TIDIG_COMP_CNT: 1
	.section	.text._ZN2at6native12_GLOBAL__N_128layer_norm_grad_input_kernelIddLb1EEEvPKT_S5_PKT0_S8_S5_PS3_i,"axG",@progbits,_ZN2at6native12_GLOBAL__N_128layer_norm_grad_input_kernelIddLb1EEEvPKT_S5_PKT0_S8_S5_PS3_i,comdat
	.globl	_ZN2at6native12_GLOBAL__N_128layer_norm_grad_input_kernelIddLb1EEEvPKT_S5_PKT0_S8_S5_PS3_i ; -- Begin function _ZN2at6native12_GLOBAL__N_128layer_norm_grad_input_kernelIddLb1EEEvPKT_S5_PKT0_S8_S5_PS3_i
	.p2align	8
	.type	_ZN2at6native12_GLOBAL__N_128layer_norm_grad_input_kernelIddLb1EEEvPKT_S5_PKT0_S8_S5_PS3_i,@function
_ZN2at6native12_GLOBAL__N_128layer_norm_grad_input_kernelIddLb1EEEvPKT_S5_PKT0_S8_S5_PS3_i: ; @_ZN2at6native12_GLOBAL__N_128layer_norm_grad_input_kernelIddLb1EEEvPKT_S5_PKT0_S8_S5_PS3_i
; %bb.0:
	s_clause 0x2
	s_load_dword s16, s[4:5], 0x30
	s_load_dwordx4 s[0:3], s[4:5], 0x18
	s_load_dwordx4 s[8:11], s[4:5], 0x0
	s_mov_b32 s7, 0
	v_lshlrev_b32_e32 v1, 2, v0
	v_mov_b32_e32 v3, 0
	v_mov_b32_e32 v4, 0
	v_or_b32_e32 v2, 3, v1
	s_waitcnt lgkmcnt(0)
	s_ashr_i32 s12, s16, 31
	s_mul_hi_u32 s14, s16, s6
	s_mul_i32 s15, s12, s6
	s_lshl_b64 s[12:13], s[6:7], 3
	s_add_i32 s15, s14, s15
	s_add_u32 s0, s0, s12
	s_addc_u32 s1, s1, s13
	s_mul_i32 s14, s16, s6
	s_load_dwordx2 s[12:13], s[0:1], 0x0
	s_lshl_b64 s[14:15], s[14:15], 3
	s_mov_b32 s0, exec_lo
	s_add_u32 s1, s10, s14
	s_addc_u32 s6, s11, s15
	s_add_u32 s17, s8, s14
	s_addc_u32 s18, s9, s15
	v_cmpx_gt_u32_e64 s16, v2
	s_cbranch_execz .LBB117_12
; %bb.1:
	s_load_dword s20, s[4:5], 0x44
	s_cmp_lg_u64 s[2:3], 0
	v_mov_b32_e32 v3, 0
	v_mov_b32_e32 v4, 0
	;; [unrolled: 1-line block ×3, first 2 shown]
	s_cselect_b32 s19, -1, 0
	s_waitcnt lgkmcnt(0)
	s_and_b32 s20, s20, 0xffff
	s_lshl_b32 s20, s20, 2
	s_branch .LBB117_3
.LBB117_2:                              ;   in Loop: Header=BB117_3 Depth=1
	global_load_dwordx2 v[11:12], v[15:16], off offset:24
	global_load_dwordx2 v[9:10], v[9:10], off offset:24
	s_waitcnt vmcnt(6)
	v_mul_f64 v[7:8], v[7:8], v[17:18]
	s_waitcnt vmcnt(4)
	v_mul_f64 v[5:6], v[5:6], v[21:22]
	v_add_nc_u32_e32 v1, s20, v1
	v_mul_f64 v[7:8], v[13:14], v[7:8]
	v_mul_f64 v[5:6], v[19:20], v[5:6]
	v_fma_f64 v[3:4], s[12:13], v[7:8], v[3:4]
	s_waitcnt vmcnt(2)
	v_mul_f64 v[7:8], v[25:26], v[29:30]
	v_fma_f64 v[3:4], s[12:13], v[5:6], v[3:4]
	v_mul_f64 v[5:6], v[27:28], v[7:8]
	v_fma_f64 v[3:4], s[12:13], v[5:6], v[3:4]
	s_waitcnt vmcnt(1)
	v_mul_f64 v[7:8], v[23:24], v[11:12]
	s_waitcnt vmcnt(0)
	v_mul_f64 v[5:6], v[9:10], v[7:8]
	v_fma_f64 v[3:4], s[12:13], v[5:6], v[3:4]
	v_add_nc_u32_e32 v5, 3, v1
	v_cmp_le_u32_e32 vcc_lo, s16, v5
	s_or_b32 s7, vcc_lo, s7
	s_andn2_b32 exec_lo, exec_lo, s7
	s_cbranch_execz .LBB117_11
.LBB117_3:                              ; =>This Inner Loop Header: Depth=1
	v_mov_b32_e32 v5, 0
	v_lshlrev_b64 v[11:12], 3, v[1:2]
	v_mov_b32_e32 v7, 0
	v_mov_b32_e32 v6, 0x3ff00000
	;; [unrolled: 1-line block ×3, first 2 shown]
	s_and_b32 vcc_lo, exec_lo, s19
	s_cbranch_vccz .LBB117_5
; %bb.4:                                ;   in Loop: Header=BB117_3 Depth=1
	v_add_co_u32 v7, vcc_lo, s2, v11
	v_add_co_ci_u32_e64 v8, null, s3, v12, vcc_lo
	global_load_dwordx2 v[7:8], v[7:8], off
.LBB117_5:                              ;   in Loop: Header=BB117_3 Depth=1
	v_add_co_u32 v9, vcc_lo, s1, v11
	v_add_co_ci_u32_e64 v10, null, s6, v12, vcc_lo
	v_add_co_u32 v15, vcc_lo, s17, v11
	v_add_co_ci_u32_e64 v16, null, s18, v12, vcc_lo
	global_load_dwordx2 v[13:14], v[9:10], off
	global_load_dwordx2 v[17:18], v[15:16], off
	s_andn2_b32 vcc_lo, exec_lo, s19
	s_cbranch_vccnz .LBB117_7
; %bb.6:                                ;   in Loop: Header=BB117_3 Depth=1
	v_add_co_u32 v5, vcc_lo, s2, v11
	v_add_co_ci_u32_e64 v6, null, s3, v12, vcc_lo
	global_load_dwordx2 v[5:6], v[5:6], off offset:8
.LBB117_7:                              ;   in Loop: Header=BB117_3 Depth=1
	global_load_dwordx2 v[19:20], v[9:10], off offset:8
	global_load_dwordx2 v[21:22], v[15:16], off offset:8
	v_mov_b32_e32 v23, 0
	v_mov_b32_e32 v25, 0
	v_mov_b32_e32 v24, 0x3ff00000
	v_mov_b32_e32 v26, 0x3ff00000
	s_andn2_b32 vcc_lo, exec_lo, s19
	s_cbranch_vccnz .LBB117_9
; %bb.8:                                ;   in Loop: Header=BB117_3 Depth=1
	v_add_co_u32 v25, vcc_lo, s2, v11
	v_add_co_ci_u32_e64 v26, null, s3, v12, vcc_lo
	global_load_dwordx2 v[25:26], v[25:26], off offset:16
.LBB117_9:                              ;   in Loop: Header=BB117_3 Depth=1
	global_load_dwordx2 v[27:28], v[9:10], off offset:16
	global_load_dwordx2 v[29:30], v[15:16], off offset:16
	s_andn2_b32 vcc_lo, exec_lo, s19
	s_cbranch_vccnz .LBB117_2
; %bb.10:                               ;   in Loop: Header=BB117_3 Depth=1
	v_add_co_u32 v11, vcc_lo, s2, v11
	v_add_co_ci_u32_e64 v12, null, s3, v12, vcc_lo
	global_load_dwordx2 v[23:24], v[11:12], off offset:24
	s_branch .LBB117_2
.LBB117_11:
	s_or_b32 exec_lo, exec_lo, s7
.LBB117_12:
	s_or_b32 exec_lo, exec_lo, s0
	s_mov_b32 s7, exec_lo
	v_cmpx_gt_u32_e64 s16, v1
	s_cbranch_execz .LBB117_19
; %bb.13:
	v_mov_b32_e32 v2, 0
	s_cmp_lg_u64 s[2:3], 0
	v_lshlrev_b64 v[5:6], 3, v[1:2]
	v_add_co_u32 v2, vcc_lo, s14, v5
	v_add_co_ci_u32_e64 v10, null, s15, v6, vcc_lo
	v_add_co_u32 v5, vcc_lo, s2, v5
	v_add_co_ci_u32_e64 v6, null, s3, v6, vcc_lo
	;; [unrolled: 2-line block ×4, first 2 shown]
	s_cselect_b32 s8, -1, 0
	s_mov_b32 s9, 0
	s_inst_prefetch 0x1
	s_branch .LBB117_16
	.p2align	6
.LBB117_14:                             ;   in Loop: Header=BB117_16 Depth=1
	global_load_dwordx2 v[11:12], v[5:6], off
.LBB117_15:                             ;   in Loop: Header=BB117_16 Depth=1
	global_load_dwordx2 v[13:14], v[9:10], off
	global_load_dwordx2 v[15:16], v[7:8], off
	v_add_nc_u32_e32 v1, 1, v1
	v_add_co_u32 v5, vcc_lo, v5, 8
	v_add_co_ci_u32_e64 v6, null, 0, v6, vcc_lo
	v_add_co_u32 v7, vcc_lo, v7, 8
	v_add_co_ci_u32_e64 v8, null, 0, v8, vcc_lo
	v_cmp_le_u32_e32 vcc_lo, s16, v1
	v_add_co_u32 v9, s0, v9, 8
	v_add_co_ci_u32_e64 v10, null, 0, v10, s0
	s_or_b32 s9, vcc_lo, s9
	s_waitcnt vmcnt(1)
	v_mul_f64 v[11:12], v[11:12], v[13:14]
	s_waitcnt vmcnt(0)
	v_mul_f64 v[11:12], v[15:16], v[11:12]
	s_waitcnt lgkmcnt(0)
	v_fma_f64 v[3:4], s[12:13], v[11:12], v[3:4]
	s_andn2_b32 exec_lo, exec_lo, s9
	s_cbranch_execz .LBB117_18
.LBB117_16:                             ; =>This Inner Loop Header: Depth=1
	s_andn2_b32 vcc_lo, exec_lo, s8
	s_cbranch_vccz .LBB117_14
; %bb.17:                               ;   in Loop: Header=BB117_16 Depth=1
	v_mov_b32_e32 v11, 0
	v_mov_b32_e32 v12, 0x3ff00000
	s_branch .LBB117_15
.LBB117_18:
	s_inst_prefetch 0x2
	s_or_b32 exec_lo, exec_lo, s9
.LBB117_19:
	s_or_b32 exec_lo, exec_lo, s7
	v_mbcnt_lo_u32_b32 v9, -1, 0
	v_and_b32_e32 v10, 31, v0
	s_mov_b32 s0, exec_lo
	s_waitcnt lgkmcnt(0)
	s_barrier
	v_lshl_or_b32 v5, v9, 2, 64
	v_cmp_gt_u32_e32 vcc_lo, 24, v9
	buffer_gl0_inv
	ds_bpermute_b32 v1, v5, v3
	ds_bpermute_b32 v2, v5, v4
	s_waitcnt lgkmcnt(0)
	v_add_f64 v[1:2], v[3:4], v[1:2]
	v_cndmask_b32_e64 v3, 0, 8, vcc_lo
	v_cmp_gt_u32_e32 vcc_lo, 28, v9
	v_add_lshl_u32 v6, v3, v9, 2
	ds_bpermute_b32 v3, v6, v1
	ds_bpermute_b32 v4, v6, v2
	s_waitcnt lgkmcnt(0)
	v_add_f64 v[1:2], v[1:2], v[3:4]
	v_cndmask_b32_e64 v3, 0, 4, vcc_lo
	v_cmp_gt_u32_e32 vcc_lo, 30, v9
	v_add_lshl_u32 v7, v3, v9, 2
	ds_bpermute_b32 v3, v7, v1
	ds_bpermute_b32 v4, v7, v2
	s_waitcnt lgkmcnt(0)
	v_add_f64 v[1:2], v[1:2], v[3:4]
	v_cndmask_b32_e64 v3, 0, 2, vcc_lo
	v_cmp_ne_u32_e32 vcc_lo, 31, v9
	v_add_lshl_u32 v8, v3, v9, 2
	ds_bpermute_b32 v3, v8, v1
	ds_bpermute_b32 v4, v8, v2
	s_waitcnt lgkmcnt(0)
	v_add_f64 v[1:2], v[1:2], v[3:4]
	v_add_co_ci_u32_e64 v3, null, 0, v9, vcc_lo
	v_lshlrev_b32_e32 v9, 2, v3
	ds_bpermute_b32 v3, v9, v1
	ds_bpermute_b32 v4, v9, v2
	v_cmpx_eq_u32_e32 0, v10
	s_cbranch_execz .LBB117_21
; %bb.20:
	s_waitcnt lgkmcnt(0)
	v_add_f64 v[1:2], v[1:2], v[3:4]
	v_lshrrev_b32_e32 v3, 2, v0
	v_add_nc_u32_e32 v3, 0, v3
	ds_write_b64 v3, v[1:2]
.LBB117_21:
	s_or_b32 exec_lo, exec_lo, s0
	s_waitcnt lgkmcnt(0)
	s_barrier
	buffer_gl0_inv
	s_load_dword s0, s[4:5], 0x44
	v_mov_b32_e32 v1, 0
	v_mov_b32_e32 v2, 0
	s_waitcnt lgkmcnt(0)
	s_bfe_u32 s7, s0, 0xb0005
	v_cmp_gt_u32_e32 vcc_lo, s7, v0
	s_and_saveexec_b32 s7, vcc_lo
; %bb.22:
	v_lshl_add_u32 v1, v10, 3, 0
	ds_read_b64 v[1:2], v1
; %bb.23:
	s_or_b32 exec_lo, exec_lo, s7
	s_mov_b32 s7, exec_lo
	v_cmpx_gt_u32_e32 32, v0
	s_cbranch_execz .LBB117_25
; %bb.24:
	s_waitcnt lgkmcnt(0)
	ds_bpermute_b32 v3, v5, v1
	ds_bpermute_b32 v4, v5, v2
	s_waitcnt lgkmcnt(0)
	v_add_f64 v[1:2], v[1:2], v[3:4]
	ds_bpermute_b32 v3, v6, v1
	ds_bpermute_b32 v4, v6, v2
	s_waitcnt lgkmcnt(0)
	v_add_f64 v[1:2], v[1:2], v[3:4]
	;; [unrolled: 4-line block ×5, first 2 shown]
.LBB117_25:
	s_or_b32 exec_lo, exec_lo, s7
	s_mov_b32 s7, exec_lo
	v_cmpx_eq_u32_e32 0, v0
	s_cbranch_execz .LBB117_27
; %bb.26:
	v_mov_b32_e32 v3, 0
	s_waitcnt lgkmcnt(0)
	ds_write_b64 v3, v[1:2] offset:8
.LBB117_27:
	s_or_b32 exec_lo, exec_lo, s7
	s_waitcnt lgkmcnt(0)
	s_barrier
	buffer_gl0_inv
	s_mov_b32 s7, exec_lo
	v_cmpx_gt_i32_e64 s16, v0
	s_cbranch_execz .LBB117_33
; %bb.28:
	v_cvt_f64_i32_e32 v[2:3], s16
	s_load_dwordx2 s[8:9], s[4:5], 0x28
	v_mov_b32_e32 v1, 0
	s_and_b32 s4, 0xffff, s0
	s_waitcnt lgkmcnt(0)
	s_add_u32 s5, s8, s14
	v_div_scale_f64 v[4:5], null, v[2:3], v[2:3], 1.0
	s_addc_u32 s7, s9, s15
	s_cmp_lg_u64 s[2:3], 0
	s_mov_b32 s9, 0
	s_cselect_b32 s8, -1, 0
	v_rcp_f64_e32 v[6:7], v[4:5]
	v_fma_f64 v[8:9], -v[4:5], v[6:7], 1.0
	v_fma_f64 v[6:7], v[6:7], v[8:9], v[6:7]
	v_fma_f64 v[8:9], -v[4:5], v[6:7], 1.0
	v_fma_f64 v[6:7], v[6:7], v[8:9], v[6:7]
	v_div_scale_f64 v[8:9], vcc_lo, 1.0, v[2:3], 1.0
	v_mul_f64 v[10:11], v[8:9], v[6:7]
	v_fma_f64 v[4:5], -v[4:5], v[10:11], v[8:9]
	v_div_fmas_f64 v[4:5], v[4:5], v[6:7], v[10:11]
	ds_read_b64 v[6:7], v1 offset:8
	v_div_fixup_f64 v[4:5], v[4:5], v[2:3], 1.0
	v_mul_f64 v[4:5], v[4:5], s[12:13]
	s_inst_prefetch 0x1
	s_branch .LBB117_31
	.p2align	6
.LBB117_29:                             ;   in Loop: Header=BB117_31 Depth=1
	v_add_co_u32 v14, vcc_lo, s2, v8
	v_add_co_ci_u32_e64 v15, null, s3, v9, vcc_lo
	global_load_dwordx2 v[14:15], v[14:15], off
.LBB117_30:                             ;   in Loop: Header=BB117_31 Depth=1
	s_waitcnt vmcnt(1)
	v_mul_f64 v[10:11], s[12:13], v[10:11]
	s_waitcnt vmcnt(0)
	v_mul_f64 v[14:15], v[14:15], v[2:3]
	v_add_nc_u32_e32 v0, s4, v0
	v_add_co_u32 v8, s0, s5, v8
	v_add_co_ci_u32_e64 v9, null, s7, v9, s0
	v_cmp_le_i32_e32 vcc_lo, s16, v0
	s_or_b32 s9, vcc_lo, s9
	s_waitcnt lgkmcnt(0)
	v_mul_f64 v[10:11], v[6:7], v[10:11]
	v_fma_f64 v[10:11], v[12:13], v[14:15], -v[10:11]
	v_mul_f64 v[10:11], v[4:5], v[10:11]
	global_store_dwordx2 v[8:9], v[10:11], off
	s_andn2_b32 exec_lo, exec_lo, s9
	s_cbranch_execz .LBB117_33
.LBB117_31:                             ; =>This Inner Loop Header: Depth=1
	v_ashrrev_i32_e32 v1, 31, v0
	v_lshlrev_b64 v[8:9], 3, v[0:1]
	v_add_co_u32 v10, vcc_lo, s1, v8
	v_add_co_ci_u32_e64 v11, null, s6, v9, vcc_lo
	v_add_co_u32 v12, vcc_lo, s17, v8
	v_add_co_ci_u32_e64 v13, null, s18, v9, vcc_lo
	global_load_dwordx2 v[10:11], v[10:11], off
	global_load_dwordx2 v[12:13], v[12:13], off
	s_andn2_b32 vcc_lo, exec_lo, s8
	s_cbranch_vccz .LBB117_29
; %bb.32:                               ;   in Loop: Header=BB117_31 Depth=1
	v_mov_b32_e32 v14, 0
	v_mov_b32_e32 v15, 0x3ff00000
	s_branch .LBB117_30
.LBB117_33:
	s_inst_prefetch 0x2
	s_endpgm
	.section	.rodata,"a",@progbits
	.p2align	6, 0x0
	.amdhsa_kernel _ZN2at6native12_GLOBAL__N_128layer_norm_grad_input_kernelIddLb1EEEvPKT_S5_PKT0_S8_S5_PS3_i
		.amdhsa_group_segment_fixed_size 0
		.amdhsa_private_segment_fixed_size 0
		.amdhsa_kernarg_size 312
		.amdhsa_user_sgpr_count 6
		.amdhsa_user_sgpr_private_segment_buffer 1
		.amdhsa_user_sgpr_dispatch_ptr 0
		.amdhsa_user_sgpr_queue_ptr 0
		.amdhsa_user_sgpr_kernarg_segment_ptr 1
		.amdhsa_user_sgpr_dispatch_id 0
		.amdhsa_user_sgpr_flat_scratch_init 0
		.amdhsa_user_sgpr_private_segment_size 0
		.amdhsa_wavefront_size32 1
		.amdhsa_uses_dynamic_stack 0
		.amdhsa_system_sgpr_private_segment_wavefront_offset 0
		.amdhsa_system_sgpr_workgroup_id_x 1
		.amdhsa_system_sgpr_workgroup_id_y 0
		.amdhsa_system_sgpr_workgroup_id_z 0
		.amdhsa_system_sgpr_workgroup_info 0
		.amdhsa_system_vgpr_workitem_id 0
		.amdhsa_next_free_vgpr 31
		.amdhsa_next_free_sgpr 21
		.amdhsa_reserve_vcc 1
		.amdhsa_reserve_flat_scratch 0
		.amdhsa_float_round_mode_32 0
		.amdhsa_float_round_mode_16_64 0
		.amdhsa_float_denorm_mode_32 3
		.amdhsa_float_denorm_mode_16_64 3
		.amdhsa_dx10_clamp 1
		.amdhsa_ieee_mode 1
		.amdhsa_fp16_overflow 0
		.amdhsa_workgroup_processor_mode 1
		.amdhsa_memory_ordered 1
		.amdhsa_forward_progress 1
		.amdhsa_shared_vgpr_count 0
		.amdhsa_exception_fp_ieee_invalid_op 0
		.amdhsa_exception_fp_denorm_src 0
		.amdhsa_exception_fp_ieee_div_zero 0
		.amdhsa_exception_fp_ieee_overflow 0
		.amdhsa_exception_fp_ieee_underflow 0
		.amdhsa_exception_fp_ieee_inexact 0
		.amdhsa_exception_int_div_zero 0
	.end_amdhsa_kernel
	.section	.text._ZN2at6native12_GLOBAL__N_128layer_norm_grad_input_kernelIddLb1EEEvPKT_S5_PKT0_S8_S5_PS3_i,"axG",@progbits,_ZN2at6native12_GLOBAL__N_128layer_norm_grad_input_kernelIddLb1EEEvPKT_S5_PKT0_S8_S5_PS3_i,comdat
.Lfunc_end117:
	.size	_ZN2at6native12_GLOBAL__N_128layer_norm_grad_input_kernelIddLb1EEEvPKT_S5_PKT0_S8_S5_PS3_i, .Lfunc_end117-_ZN2at6native12_GLOBAL__N_128layer_norm_grad_input_kernelIddLb1EEEvPKT_S5_PKT0_S8_S5_PS3_i
                                        ; -- End function
	.set _ZN2at6native12_GLOBAL__N_128layer_norm_grad_input_kernelIddLb1EEEvPKT_S5_PKT0_S8_S5_PS3_i.num_vgpr, 31
	.set _ZN2at6native12_GLOBAL__N_128layer_norm_grad_input_kernelIddLb1EEEvPKT_S5_PKT0_S8_S5_PS3_i.num_agpr, 0
	.set _ZN2at6native12_GLOBAL__N_128layer_norm_grad_input_kernelIddLb1EEEvPKT_S5_PKT0_S8_S5_PS3_i.numbered_sgpr, 21
	.set _ZN2at6native12_GLOBAL__N_128layer_norm_grad_input_kernelIddLb1EEEvPKT_S5_PKT0_S8_S5_PS3_i.num_named_barrier, 0
	.set _ZN2at6native12_GLOBAL__N_128layer_norm_grad_input_kernelIddLb1EEEvPKT_S5_PKT0_S8_S5_PS3_i.private_seg_size, 0
	.set _ZN2at6native12_GLOBAL__N_128layer_norm_grad_input_kernelIddLb1EEEvPKT_S5_PKT0_S8_S5_PS3_i.uses_vcc, 1
	.set _ZN2at6native12_GLOBAL__N_128layer_norm_grad_input_kernelIddLb1EEEvPKT_S5_PKT0_S8_S5_PS3_i.uses_flat_scratch, 0
	.set _ZN2at6native12_GLOBAL__N_128layer_norm_grad_input_kernelIddLb1EEEvPKT_S5_PKT0_S8_S5_PS3_i.has_dyn_sized_stack, 0
	.set _ZN2at6native12_GLOBAL__N_128layer_norm_grad_input_kernelIddLb1EEEvPKT_S5_PKT0_S8_S5_PS3_i.has_recursion, 0
	.set _ZN2at6native12_GLOBAL__N_128layer_norm_grad_input_kernelIddLb1EEEvPKT_S5_PKT0_S8_S5_PS3_i.has_indirect_call, 0
	.section	.AMDGPU.csdata,"",@progbits
; Kernel info:
; codeLenInByte = 1940
; TotalNumSgprs: 23
; NumVgprs: 31
; ScratchSize: 0
; MemoryBound: 0
; FloatMode: 240
; IeeeMode: 1
; LDSByteSize: 0 bytes/workgroup (compile time only)
; SGPRBlocks: 0
; VGPRBlocks: 3
; NumSGPRsForWavesPerEU: 23
; NumVGPRsForWavesPerEU: 31
; Occupancy: 16
; WaveLimiterHint : 0
; COMPUTE_PGM_RSRC2:SCRATCH_EN: 0
; COMPUTE_PGM_RSRC2:USER_SGPR: 6
; COMPUTE_PGM_RSRC2:TRAP_HANDLER: 0
; COMPUTE_PGM_RSRC2:TGID_X_EN: 1
; COMPUTE_PGM_RSRC2:TGID_Y_EN: 0
; COMPUTE_PGM_RSRC2:TGID_Z_EN: 0
; COMPUTE_PGM_RSRC2:TIDIG_COMP_CNT: 0
	.section	.text._ZN2at6native12_GLOBAL__N_133GammaBetaBackwardSimpleCUDAKernelIddLb1EEEvllPKT_S5_PKT0_S8_PS3_S9_,"axG",@progbits,_ZN2at6native12_GLOBAL__N_133GammaBetaBackwardSimpleCUDAKernelIddLb1EEEvllPKT_S5_PKT0_S8_PS3_S9_,comdat
	.globl	_ZN2at6native12_GLOBAL__N_133GammaBetaBackwardSimpleCUDAKernelIddLb1EEEvllPKT_S5_PKT0_S8_PS3_S9_ ; -- Begin function _ZN2at6native12_GLOBAL__N_133GammaBetaBackwardSimpleCUDAKernelIddLb1EEEvllPKT_S5_PKT0_S8_PS3_S9_
	.p2align	8
	.type	_ZN2at6native12_GLOBAL__N_133GammaBetaBackwardSimpleCUDAKernelIddLb1EEEvllPKT_S5_PKT0_S8_PS3_S9_,@function
_ZN2at6native12_GLOBAL__N_133GammaBetaBackwardSimpleCUDAKernelIddLb1EEEvllPKT_S5_PKT0_S8_PS3_S9_: ; @_ZN2at6native12_GLOBAL__N_133GammaBetaBackwardSimpleCUDAKernelIddLb1EEEvllPKT_S5_PKT0_S8_PS3_S9_
; %bb.0:
	s_clause 0x1
	s_load_dword s0, s[4:5], 0x4c
	s_load_dwordx8 s[8:15], s[4:5], 0x0
	v_mov_b32_e32 v1, 0
	s_waitcnt lgkmcnt(0)
	s_and_b32 s0, s0, 0xffff
	v_mad_u64_u32 v[0:1], null, s0, s6, v[0:1]
	s_mov_b32 s0, exec_lo
	v_cmpx_gt_i64_e64 s[10:11], v[0:1]
	s_cbranch_execz .LBB118_9
; %bb.1:
	s_load_dwordx4 s[0:3], s[4:5], 0x28
	v_cmp_lt_i64_e64 s4, s[8:9], 1
	v_lshlrev_b64 v[0:1], 3, v[0:1]
	s_and_b32 vcc_lo, exec_lo, s4
	s_cbranch_vccnz .LBB118_6
; %bb.2:
	v_mov_b32_e32 v2, 0
	v_mov_b32_e32 v5, v1
	;; [unrolled: 1-line block ×4, first 2 shown]
	s_waitcnt lgkmcnt(0)
	s_cmp_lg_u64 s[2:3], 0
	s_cselect_b32 s6, -1, 0
	s_lshl_b64 s[4:5], s[10:11], 3
	s_inst_prefetch 0x1
	s_branch .LBB118_4
	.p2align	6
.LBB118_3:                              ;   in Loop: Header=BB118_4 Depth=1
	v_add_f64 v[2:3], v[2:3], v[6:7]
	v_add_co_u32 v4, vcc_lo, v4, s4
	s_add_u32 s8, s8, -1
	s_addc_u32 s9, s9, -1
	v_add_co_ci_u32_e64 v5, null, s5, v5, vcc_lo
	s_add_u32 s0, s0, 8
	s_addc_u32 s1, s1, 0
	s_cmp_eq_u64 s[8:9], 0
	s_cbranch_scc1 .LBB118_7
.LBB118_4:                              ; =>This Inner Loop Header: Depth=1
	v_mov_b32_e32 v6, 0
	v_mov_b32_e32 v7, 0
	s_andn2_b32 vcc_lo, exec_lo, s6
	s_cbranch_vccnz .LBB118_3
; %bb.5:                                ;   in Loop: Header=BB118_4 Depth=1
	v_add_co_u32 v6, vcc_lo, s12, v4
	v_add_co_ci_u32_e64 v7, null, s13, v5, vcc_lo
	v_add_co_u32 v8, vcc_lo, s14, v4
	v_add_co_ci_u32_e64 v9, null, s15, v5, vcc_lo
	global_load_dwordx2 v[6:7], v[6:7], off
	global_load_dwordx2 v[8:9], v[8:9], off
	s_load_dwordx2 s[10:11], s[0:1], 0x0
	s_waitcnt vmcnt(0)
	v_mul_f64 v[6:7], v[6:7], v[8:9]
	s_waitcnt lgkmcnt(0)
	v_mul_f64 v[6:7], v[6:7], s[10:11]
	s_branch .LBB118_3
.LBB118_6:
	v_mov_b32_e32 v2, 0
	v_mov_b32_e32 v3, 0
.LBB118_7:
	s_inst_prefetch 0x2
	s_waitcnt lgkmcnt(0)
	s_cmp_lg_u64 s[2:3], 0
	s_cbranch_scc0 .LBB118_9
; %bb.8:
	v_add_co_u32 v0, vcc_lo, s2, v0
	v_add_co_ci_u32_e64 v1, null, s3, v1, vcc_lo
	global_store_dwordx2 v[0:1], v[2:3], off
.LBB118_9:
	s_endpgm
	.section	.rodata,"a",@progbits
	.p2align	6, 0x0
	.amdhsa_kernel _ZN2at6native12_GLOBAL__N_133GammaBetaBackwardSimpleCUDAKernelIddLb1EEEvllPKT_S5_PKT0_S8_PS3_S9_
		.amdhsa_group_segment_fixed_size 0
		.amdhsa_private_segment_fixed_size 0
		.amdhsa_kernarg_size 320
		.amdhsa_user_sgpr_count 6
		.amdhsa_user_sgpr_private_segment_buffer 1
		.amdhsa_user_sgpr_dispatch_ptr 0
		.amdhsa_user_sgpr_queue_ptr 0
		.amdhsa_user_sgpr_kernarg_segment_ptr 1
		.amdhsa_user_sgpr_dispatch_id 0
		.amdhsa_user_sgpr_flat_scratch_init 0
		.amdhsa_user_sgpr_private_segment_size 0
		.amdhsa_wavefront_size32 1
		.amdhsa_uses_dynamic_stack 0
		.amdhsa_system_sgpr_private_segment_wavefront_offset 0
		.amdhsa_system_sgpr_workgroup_id_x 1
		.amdhsa_system_sgpr_workgroup_id_y 0
		.amdhsa_system_sgpr_workgroup_id_z 0
		.amdhsa_system_sgpr_workgroup_info 0
		.amdhsa_system_vgpr_workitem_id 0
		.amdhsa_next_free_vgpr 10
		.amdhsa_next_free_sgpr 16
		.amdhsa_reserve_vcc 1
		.amdhsa_reserve_flat_scratch 0
		.amdhsa_float_round_mode_32 0
		.amdhsa_float_round_mode_16_64 0
		.amdhsa_float_denorm_mode_32 3
		.amdhsa_float_denorm_mode_16_64 3
		.amdhsa_dx10_clamp 1
		.amdhsa_ieee_mode 1
		.amdhsa_fp16_overflow 0
		.amdhsa_workgroup_processor_mode 1
		.amdhsa_memory_ordered 1
		.amdhsa_forward_progress 1
		.amdhsa_shared_vgpr_count 0
		.amdhsa_exception_fp_ieee_invalid_op 0
		.amdhsa_exception_fp_denorm_src 0
		.amdhsa_exception_fp_ieee_div_zero 0
		.amdhsa_exception_fp_ieee_overflow 0
		.amdhsa_exception_fp_ieee_underflow 0
		.amdhsa_exception_fp_ieee_inexact 0
		.amdhsa_exception_int_div_zero 0
	.end_amdhsa_kernel
	.section	.text._ZN2at6native12_GLOBAL__N_133GammaBetaBackwardSimpleCUDAKernelIddLb1EEEvllPKT_S5_PKT0_S8_PS3_S9_,"axG",@progbits,_ZN2at6native12_GLOBAL__N_133GammaBetaBackwardSimpleCUDAKernelIddLb1EEEvllPKT_S5_PKT0_S8_PS3_S9_,comdat
.Lfunc_end118:
	.size	_ZN2at6native12_GLOBAL__N_133GammaBetaBackwardSimpleCUDAKernelIddLb1EEEvllPKT_S5_PKT0_S8_PS3_S9_, .Lfunc_end118-_ZN2at6native12_GLOBAL__N_133GammaBetaBackwardSimpleCUDAKernelIddLb1EEEvllPKT_S5_PKT0_S8_PS3_S9_
                                        ; -- End function
	.set _ZN2at6native12_GLOBAL__N_133GammaBetaBackwardSimpleCUDAKernelIddLb1EEEvllPKT_S5_PKT0_S8_PS3_S9_.num_vgpr, 10
	.set _ZN2at6native12_GLOBAL__N_133GammaBetaBackwardSimpleCUDAKernelIddLb1EEEvllPKT_S5_PKT0_S8_PS3_S9_.num_agpr, 0
	.set _ZN2at6native12_GLOBAL__N_133GammaBetaBackwardSimpleCUDAKernelIddLb1EEEvllPKT_S5_PKT0_S8_PS3_S9_.numbered_sgpr, 16
	.set _ZN2at6native12_GLOBAL__N_133GammaBetaBackwardSimpleCUDAKernelIddLb1EEEvllPKT_S5_PKT0_S8_PS3_S9_.num_named_barrier, 0
	.set _ZN2at6native12_GLOBAL__N_133GammaBetaBackwardSimpleCUDAKernelIddLb1EEEvllPKT_S5_PKT0_S8_PS3_S9_.private_seg_size, 0
	.set _ZN2at6native12_GLOBAL__N_133GammaBetaBackwardSimpleCUDAKernelIddLb1EEEvllPKT_S5_PKT0_S8_PS3_S9_.uses_vcc, 1
	.set _ZN2at6native12_GLOBAL__N_133GammaBetaBackwardSimpleCUDAKernelIddLb1EEEvllPKT_S5_PKT0_S8_PS3_S9_.uses_flat_scratch, 0
	.set _ZN2at6native12_GLOBAL__N_133GammaBetaBackwardSimpleCUDAKernelIddLb1EEEvllPKT_S5_PKT0_S8_PS3_S9_.has_dyn_sized_stack, 0
	.set _ZN2at6native12_GLOBAL__N_133GammaBetaBackwardSimpleCUDAKernelIddLb1EEEvllPKT_S5_PKT0_S8_PS3_S9_.has_recursion, 0
	.set _ZN2at6native12_GLOBAL__N_133GammaBetaBackwardSimpleCUDAKernelIddLb1EEEvllPKT_S5_PKT0_S8_PS3_S9_.has_indirect_call, 0
	.section	.AMDGPU.csdata,"",@progbits
; Kernel info:
; codeLenInByte = 392
; TotalNumSgprs: 18
; NumVgprs: 10
; ScratchSize: 0
; MemoryBound: 1
; FloatMode: 240
; IeeeMode: 1
; LDSByteSize: 0 bytes/workgroup (compile time only)
; SGPRBlocks: 0
; VGPRBlocks: 1
; NumSGPRsForWavesPerEU: 18
; NumVGPRsForWavesPerEU: 10
; Occupancy: 16
; WaveLimiterHint : 0
; COMPUTE_PGM_RSRC2:SCRATCH_EN: 0
; COMPUTE_PGM_RSRC2:USER_SGPR: 6
; COMPUTE_PGM_RSRC2:TRAP_HANDLER: 0
; COMPUTE_PGM_RSRC2:TGID_X_EN: 1
; COMPUTE_PGM_RSRC2:TGID_Y_EN: 0
; COMPUTE_PGM_RSRC2:TGID_Z_EN: 0
; COMPUTE_PGM_RSRC2:TIDIG_COMP_CNT: 0
	.section	.text._ZN2at6native12_GLOBAL__N_135GammaBetaBackwardCUDAKernelTemplateIddLj64ELj1ELj32ELb1ELb1ELb1EEEvllPKT_S5_PKT0_S8_PS3_S9_,"axG",@progbits,_ZN2at6native12_GLOBAL__N_135GammaBetaBackwardCUDAKernelTemplateIddLj64ELj1ELj32ELb1ELb1ELb1EEEvllPKT_S5_PKT0_S8_PS3_S9_,comdat
	.globl	_ZN2at6native12_GLOBAL__N_135GammaBetaBackwardCUDAKernelTemplateIddLj64ELj1ELj32ELb1ELb1ELb1EEEvllPKT_S5_PKT0_S8_PS3_S9_ ; -- Begin function _ZN2at6native12_GLOBAL__N_135GammaBetaBackwardCUDAKernelTemplateIddLj64ELj1ELj32ELb1ELb1ELb1EEEvllPKT_S5_PKT0_S8_PS3_S9_
	.p2align	8
	.type	_ZN2at6native12_GLOBAL__N_135GammaBetaBackwardCUDAKernelTemplateIddLj64ELj1ELj32ELb1ELb1ELb1EEEvllPKT_S5_PKT0_S8_PS3_S9_,@function
_ZN2at6native12_GLOBAL__N_135GammaBetaBackwardCUDAKernelTemplateIddLj64ELj1ELj32ELb1ELb1ELb1EEEvllPKT_S5_PKT0_S8_PS3_S9_: ; @_ZN2at6native12_GLOBAL__N_135GammaBetaBackwardCUDAKernelTemplateIddLj64ELj1ELj32ELb1ELb1ELb1EEEvllPKT_S5_PKT0_S8_PS3_S9_
; %bb.0:
	s_clause 0x1
	s_load_dwordx4 s[0:3], s[4:5], 0x0
	s_load_dwordx2 s[12:13], s[4:5], 0x30
	s_lshl_b32 s14, s7, 5
	s_mov_b32 s15, 0
	v_mov_b32_e32 v10, 0
	v_mov_b32_e32 v11, 0
	s_waitcnt lgkmcnt(0)
	v_cmp_le_i64_e64 s8, s[0:1], s[14:15]
	s_and_b32 vcc_lo, exec_lo, s8
	s_cbranch_vccnz .LBB119_5
; %bb.1:
	s_clause 0x3
	s_load_dword s16, s[4:5], 0x4c
	s_load_dword s17, s[4:5], 0x44
	s_load_dwordx4 s[8:11], s[4:5], 0x10
	s_load_dwordx2 s[18:19], s[4:5], 0x28
	v_lshlrev_b32_e32 v4, 5, v1
	v_mov_b32_e32 v3, 0
	v_lshl_or_b32 v2, s6, 6, v0
	v_mov_b32_e32 v12, 4
	v_mov_b32_e32 v13, 8
	;; [unrolled: 1-line block ×13, first 2 shown]
	s_waitcnt lgkmcnt(0)
	s_and_b32 s16, s16, 0xffff
	v_mov_b32_e32 v25, 56
	v_mad_u32_u24 v5, v1, s16, v0
	v_add_co_u32 v9, s16, v4, s14
	v_add_co_ci_u32_e64 v10, null, 0, 0, s16
	v_and_b32_e32 v8, 31, v5
	v_mul_lo_u32 v6, s3, v9
	v_mad_u64_u32 v[4:5], null, s2, v9, 0
	v_mul_lo_u32 v7, s2, v10
	s_lshl_b32 s16, s17, 5
	v_mov_b32_e32 v26, 60
	s_mul_i32 s20, s3, s16
	s_mul_hi_u32 s21, s2, s16
	v_mov_b32_e32 v27, 64
	v_mov_b32_e32 v28, 0x44
	;; [unrolled: 1-line block ×3, first 2 shown]
	v_add3_u32 v5, v5, v7, v6
	v_mov_b32_e32 v30, 0x4c
	v_mov_b32_e32 v31, 0x50
	;; [unrolled: 1-line block ×4, first 2 shown]
	v_lshlrev_b64 v[6:7], 3, v[4:5]
	v_add_co_u32 v4, vcc_lo, v9, v8
	v_add_co_ci_u32_e64 v5, null, 0, v10, vcc_lo
	v_lshlrev_b64 v[8:9], 3, v[2:3]
	v_mov_b32_e32 v10, 0
	v_mov_b32_e32 v34, 0x5c
	v_lshlrev_b64 v[44:45], 3, v[4:5]
	v_mov_b32_e32 v35, 0x60
	v_mov_b32_e32 v36, 0x64
	v_add_co_u32 v2, vcc_lo, v6, v8
	v_add_co_ci_u32_e64 v43, null, v7, v9, vcc_lo
	v_add_co_u32 v6, vcc_lo, s18, v44
	v_mov_b32_e32 v37, 0x68
	v_mov_b32_e32 v38, 0x6c
	;; [unrolled: 1-line block ×7, first 2 shown]
	v_add_co_ci_u32_e64 v7, null, s19, v45, vcc_lo
	s_mov_b32 s17, s15
	s_add_i32 s21, s21, s20
	s_mul_i32 s20, s2, s16
	s_lshl_b64 s[22:23], s[2:3], 3
	s_lshl_b64 s[18:19], s[20:21], 3
	;; [unrolled: 1-line block ×3, first 2 shown]
	s_branch .LBB119_3
.LBB119_2:                              ;   in Loop: Header=BB119_3 Depth=1
	s_or_b32 exec_lo, exec_lo, s17
	v_add_co_u32 v44, vcc_lo, s8, v2
	v_add_co_ci_u32_e64 v45, null, s9, v43, vcc_lo
	v_add_co_u32 v46, vcc_lo, s10, v2
	v_add_co_ci_u32_e64 v47, null, s11, v43, vcc_lo
	global_load_dwordx2 v[48:49], v[44:45], off
	global_load_dwordx2 v[50:51], v[46:47], off
	v_add_co_u32 v44, vcc_lo, v44, s22
	v_add_co_ci_u32_e64 v45, null, s23, v45, vcc_lo
	v_add_co_u32 v46, vcc_lo, v46, s22
	v_add_co_ci_u32_e64 v47, null, s23, v47, vcc_lo
	global_load_dwordx2 v[52:53], v[44:45], off
	global_load_dwordx2 v[54:55], v[46:47], off
	v_add_co_u32 v44, vcc_lo, v44, s22
	v_add_co_ci_u32_e64 v45, null, s23, v45, vcc_lo
	v_add_co_u32 v46, vcc_lo, v46, s22
	v_add_co_ci_u32_e64 v47, null, s23, v47, vcc_lo
	global_load_dwordx2 v[56:57], v[44:45], off
	v_add_co_u32 v44, vcc_lo, v44, s22
	v_add_co_ci_u32_e64 v45, null, s23, v45, vcc_lo
	v_add_co_u32 v58, vcc_lo, v46, s22
	v_add_co_ci_u32_e64 v59, null, s23, v47, vcc_lo
	global_load_dwordx2 v[46:47], v[46:47], off
	s_add_u32 s14, s14, s16
	s_addc_u32 s15, s15, 0
	v_cmp_lt_i64_e64 s17, s[14:15], s[0:1]
	s_waitcnt vmcnt(4)
	v_mul_f64 v[48:49], v[48:49], v[50:51]
	ds_bpermute_b32 v50, v3, v8
	ds_bpermute_b32 v51, v3, v9
	s_waitcnt vmcnt(2)
	v_mul_f64 v[52:53], v[52:53], v[54:55]
	ds_bpermute_b32 v54, v12, v8
	ds_bpermute_b32 v55, v12, v9
	s_waitcnt lgkmcnt(2)
	v_fma_f64 v[10:11], v[48:49], v[50:51], v[10:11]
	global_load_dwordx2 v[48:49], v[44:45], off
	global_load_dwordx2 v[50:51], v[58:59], off
	v_add_co_u32 v44, vcc_lo, v44, s22
	v_add_co_ci_u32_e64 v45, null, s23, v45, vcc_lo
	s_waitcnt lgkmcnt(0)
	v_fma_f64 v[10:11], v[52:53], v[54:55], v[10:11]
	v_add_co_u32 v52, vcc_lo, v58, s22
	v_add_co_ci_u32_e64 v53, null, s23, v59, vcc_lo
	global_load_dwordx2 v[54:55], v[44:45], off
	v_add_co_u32 v44, vcc_lo, v44, s22
	v_add_co_ci_u32_e64 v45, null, s23, v45, vcc_lo
	v_add_co_u32 v58, vcc_lo, v52, s22
	v_add_co_ci_u32_e64 v59, null, s23, v53, vcc_lo
	global_load_dwordx2 v[52:53], v[52:53], off
	s_waitcnt vmcnt(4)
	v_mul_f64 v[46:47], v[56:57], v[46:47]
	ds_bpermute_b32 v56, v13, v8
	ds_bpermute_b32 v57, v13, v9
	s_waitcnt lgkmcnt(0)
	v_fma_f64 v[10:11], v[46:47], v[56:57], v[10:11]
	global_load_dwordx2 v[46:47], v[44:45], off
	v_add_co_u32 v44, vcc_lo, v44, s22
	v_add_co_ci_u32_e64 v45, null, s23, v45, vcc_lo
	v_add_co_u32 v56, vcc_lo, v58, s22
	v_add_co_ci_u32_e64 v57, null, s23, v59, vcc_lo
	global_load_dwordx2 v[58:59], v[58:59], off
	s_waitcnt vmcnt(4)
	v_mul_f64 v[48:49], v[48:49], v[50:51]
	ds_bpermute_b32 v50, v14, v8
	ds_bpermute_b32 v51, v14, v9
	s_waitcnt lgkmcnt(0)
	v_fma_f64 v[10:11], v[48:49], v[50:51], v[10:11]
	global_load_dwordx2 v[48:49], v[44:45], off
	global_load_dwordx2 v[50:51], v[56:57], off
	v_add_co_u32 v44, vcc_lo, v44, s22
	v_add_co_ci_u32_e64 v45, null, s23, v45, vcc_lo
	s_waitcnt vmcnt(4)
	v_mul_f64 v[52:53], v[54:55], v[52:53]
	ds_bpermute_b32 v54, v15, v8
	ds_bpermute_b32 v55, v15, v9
	s_waitcnt lgkmcnt(0)
	v_fma_f64 v[10:11], v[52:53], v[54:55], v[10:11]
	v_add_co_u32 v52, vcc_lo, v56, s22
	v_add_co_ci_u32_e64 v53, null, s23, v57, vcc_lo
	global_load_dwordx2 v[54:55], v[44:45], off
	v_add_co_u32 v44, vcc_lo, v44, s22
	v_add_co_ci_u32_e64 v45, null, s23, v45, vcc_lo
	v_add_co_u32 v56, vcc_lo, v52, s22
	v_add_co_ci_u32_e64 v57, null, s23, v53, vcc_lo
	global_load_dwordx2 v[52:53], v[52:53], off
	s_waitcnt vmcnt(4)
	v_mul_f64 v[46:47], v[46:47], v[58:59]
	ds_bpermute_b32 v58, v16, v8
	ds_bpermute_b32 v59, v16, v9
	s_waitcnt lgkmcnt(0)
	v_fma_f64 v[10:11], v[46:47], v[58:59], v[10:11]
	global_load_dwordx2 v[46:47], v[44:45], off
	v_add_co_u32 v44, vcc_lo, v44, s22
	v_add_co_ci_u32_e64 v45, null, s23, v45, vcc_lo
	v_add_co_u32 v58, vcc_lo, v56, s22
	v_add_co_ci_u32_e64 v59, null, s23, v57, vcc_lo
	global_load_dwordx2 v[56:57], v[56:57], off
	s_waitcnt vmcnt(4)
	v_mul_f64 v[48:49], v[48:49], v[50:51]
	ds_bpermute_b32 v50, v17, v8
	ds_bpermute_b32 v51, v17, v9
	s_waitcnt lgkmcnt(0)
	v_fma_f64 v[10:11], v[48:49], v[50:51], v[10:11]
	global_load_dwordx2 v[48:49], v[44:45], off
	global_load_dwordx2 v[50:51], v[58:59], off
	v_add_co_u32 v44, vcc_lo, v44, s22
	v_add_co_ci_u32_e64 v45, null, s23, v45, vcc_lo
	s_waitcnt vmcnt(4)
	v_mul_f64 v[52:53], v[54:55], v[52:53]
	ds_bpermute_b32 v54, v18, v8
	ds_bpermute_b32 v55, v18, v9
	;; [unrolled: 36-line block ×5, first 2 shown]
	s_waitcnt lgkmcnt(0)
	v_fma_f64 v[10:11], v[52:53], v[54:55], v[10:11]
	v_add_co_u32 v52, vcc_lo, v56, s22
	v_add_co_ci_u32_e64 v53, null, s23, v57, vcc_lo
	global_load_dwordx2 v[54:55], v[44:45], off
	v_add_co_u32 v44, vcc_lo, v44, s22
	v_add_co_ci_u32_e64 v45, null, s23, v45, vcc_lo
	v_add_co_u32 v56, vcc_lo, v52, s22
	s_waitcnt vmcnt(3)
	v_mul_f64 v[46:47], v[46:47], v[58:59]
	v_add_co_ci_u32_e64 v57, null, s23, v53, vcc_lo
	global_load_dwordx2 v[52:53], v[52:53], off
	ds_bpermute_b32 v58, v28, v8
	ds_bpermute_b32 v59, v28, v9
	s_waitcnt lgkmcnt(0)
	v_fma_f64 v[10:11], v[46:47], v[58:59], v[10:11]
	global_load_dwordx2 v[46:47], v[44:45], off
	v_add_co_u32 v44, vcc_lo, v44, s22
	v_add_co_ci_u32_e64 v45, null, s23, v45, vcc_lo
	v_add_co_u32 v58, vcc_lo, v56, s22
	v_add_co_ci_u32_e64 v59, null, s23, v57, vcc_lo
	global_load_dwordx2 v[56:57], v[56:57], off
	s_waitcnt vmcnt(4)
	v_mul_f64 v[48:49], v[48:49], v[50:51]
	ds_bpermute_b32 v50, v29, v8
	ds_bpermute_b32 v51, v29, v9
	s_waitcnt lgkmcnt(0)
	v_fma_f64 v[10:11], v[48:49], v[50:51], v[10:11]
	global_load_dwordx2 v[48:49], v[44:45], off
	global_load_dwordx2 v[50:51], v[58:59], off
	v_add_co_u32 v44, vcc_lo, v44, s22
	v_add_co_ci_u32_e64 v45, null, s23, v45, vcc_lo
	s_waitcnt vmcnt(4)
	v_mul_f64 v[52:53], v[54:55], v[52:53]
	ds_bpermute_b32 v54, v30, v8
	ds_bpermute_b32 v55, v30, v9
	s_waitcnt lgkmcnt(0)
	v_fma_f64 v[10:11], v[52:53], v[54:55], v[10:11]
	v_add_co_u32 v52, vcc_lo, v58, s22
	v_add_co_ci_u32_e64 v53, null, s23, v59, vcc_lo
	global_load_dwordx2 v[54:55], v[44:45], off
	v_add_co_u32 v44, vcc_lo, v44, s22
	v_add_co_ci_u32_e64 v45, null, s23, v45, vcc_lo
	s_waitcnt vmcnt(3)
	v_mul_f64 v[46:47], v[46:47], v[56:57]
	ds_bpermute_b32 v56, v31, v8
	ds_bpermute_b32 v57, v31, v9
	v_add_co_u32 v58, vcc_lo, v52, s22
	v_add_co_ci_u32_e64 v59, null, s23, v53, vcc_lo
	global_load_dwordx2 v[52:53], v[52:53], off
	s_waitcnt lgkmcnt(0)
	v_fma_f64 v[10:11], v[46:47], v[56:57], v[10:11]
	global_load_dwordx2 v[46:47], v[44:45], off
	v_add_co_u32 v44, vcc_lo, v44, s22
	v_add_co_ci_u32_e64 v45, null, s23, v45, vcc_lo
	v_add_co_u32 v56, vcc_lo, v58, s22
	v_add_co_ci_u32_e64 v57, null, s23, v59, vcc_lo
	global_load_dwordx2 v[58:59], v[58:59], off
	s_waitcnt vmcnt(4)
	v_mul_f64 v[48:49], v[48:49], v[50:51]
	ds_bpermute_b32 v50, v32, v8
	ds_bpermute_b32 v51, v32, v9
	s_waitcnt lgkmcnt(0)
	v_fma_f64 v[10:11], v[48:49], v[50:51], v[10:11]
	global_load_dwordx2 v[48:49], v[44:45], off
	global_load_dwordx2 v[50:51], v[56:57], off
	v_add_co_u32 v44, vcc_lo, v44, s22
	v_add_co_ci_u32_e64 v45, null, s23, v45, vcc_lo
	s_waitcnt vmcnt(4)
	v_mul_f64 v[52:53], v[54:55], v[52:53]
	ds_bpermute_b32 v54, v33, v8
	ds_bpermute_b32 v55, v33, v9
	s_waitcnt lgkmcnt(0)
	v_fma_f64 v[10:11], v[52:53], v[54:55], v[10:11]
	ds_bpermute_b32 v52, v34, v8
	ds_bpermute_b32 v53, v34, v9
	s_waitcnt vmcnt(2)
	v_mul_f64 v[46:47], v[46:47], v[58:59]
	v_add_co_u32 v54, vcc_lo, v56, s22
	v_add_co_ci_u32_e64 v55, null, s23, v57, vcc_lo
	global_load_dwordx2 v[58:59], v[44:45], off
	v_add_co_u32 v44, vcc_lo, v44, s22
	v_add_co_ci_u32_e64 v45, null, s23, v45, vcc_lo
	ds_bpermute_b32 v56, v35, v8
	ds_bpermute_b32 v57, v35, v9
	s_waitcnt lgkmcnt(2)
	v_fma_f64 v[10:11], v[46:47], v[52:53], v[10:11]
	global_load_dwordx2 v[46:47], v[54:55], off
	v_add_co_u32 v52, vcc_lo, v54, s22
	v_add_co_ci_u32_e64 v53, null, s23, v55, vcc_lo
	v_add_co_u32 v54, vcc_lo, v44, s22
	v_add_co_ci_u32_e64 v55, null, s23, v45, vcc_lo
	global_load_dwordx2 v[44:45], v[44:45], off
	s_waitcnt vmcnt(3)
	v_mul_f64 v[48:49], v[48:49], v[50:51]
	v_add_co_u32 v50, vcc_lo, v52, s22
	v_add_co_ci_u32_e64 v51, null, s23, v53, vcc_lo
	global_load_dwordx2 v[52:53], v[52:53], off
	s_waitcnt lgkmcnt(0)
	v_fma_f64 v[10:11], v[48:49], v[56:57], v[10:11]
	global_load_dwordx2 v[48:49], v[54:55], off
	global_load_dwordx2 v[56:57], v[50:51], off
	v_add_co_u32 v54, vcc_lo, v54, s22
	v_add_co_ci_u32_e64 v55, null, s23, v55, vcc_lo
	s_waitcnt vmcnt(4)
	v_mul_f64 v[46:47], v[58:59], v[46:47]
	ds_bpermute_b32 v58, v36, v8
	ds_bpermute_b32 v59, v36, v9
	s_waitcnt lgkmcnt(0)
	v_fma_f64 v[10:11], v[46:47], v[58:59], v[10:11]
	v_add_co_u32 v46, vcc_lo, v50, s22
	v_add_co_ci_u32_e64 v47, null, s23, v51, vcc_lo
	global_load_dwordx2 v[50:51], v[54:55], off
	v_add_co_u32 v54, vcc_lo, v54, s22
	v_add_co_ci_u32_e64 v55, null, s23, v55, vcc_lo
	v_add_co_u32 v58, vcc_lo, v46, s22
	v_add_co_ci_u32_e64 v59, null, s23, v47, vcc_lo
	global_load_dwordx2 v[46:47], v[46:47], off
	s_waitcnt vmcnt(4)
	v_mul_f64 v[44:45], v[44:45], v[52:53]
	ds_bpermute_b32 v52, v37, v8
	ds_bpermute_b32 v53, v37, v9
	s_waitcnt vmcnt(2)
	v_mul_f64 v[48:49], v[48:49], v[56:57]
	ds_bpermute_b32 v56, v38, v8
	ds_bpermute_b32 v57, v38, v9
	s_waitcnt lgkmcnt(2)
	v_fma_f64 v[10:11], v[44:45], v[52:53], v[10:11]
	v_add_co_u32 v52, vcc_lo, v54, s22
	global_load_dwordx2 v[44:45], v[54:55], off
	v_add_co_ci_u32_e64 v53, null, s23, v55, vcc_lo
	v_add_co_u32 v54, vcc_lo, v58, s22
	v_add_co_ci_u32_e64 v55, null, s23, v59, vcc_lo
	global_load_dwordx2 v[58:59], v[58:59], off
	s_waitcnt lgkmcnt(0)
	v_fma_f64 v[10:11], v[48:49], v[56:57], v[10:11]
	global_load_dwordx2 v[48:49], v[52:53], off
	v_add_co_u32 v52, vcc_lo, v52, s22
	v_add_co_ci_u32_e64 v53, null, s23, v53, vcc_lo
	v_add_co_u32 v56, vcc_lo, v54, s22
	v_add_co_ci_u32_e64 v57, null, s23, v55, vcc_lo
	global_load_dwordx2 v[54:55], v[54:55], off
	global_load_dwordx2 v[52:53], v[52:53], off
	;; [unrolled: 1-line block ×3, first 2 shown]
	v_add_co_u32 v2, vcc_lo, v2, s18
	v_add_co_ci_u32_e64 v43, null, s19, v43, vcc_lo
	v_add_co_u32 v6, vcc_lo, v6, s20
	v_add_co_ci_u32_e64 v7, null, s21, v7, vcc_lo
	;; [unrolled: 2-line block ×3, first 2 shown]
	s_and_b32 vcc_lo, exec_lo, s17
	s_waitcnt vmcnt(6)
	v_mul_f64 v[46:47], v[50:51], v[46:47]
	ds_bpermute_b32 v50, v39, v8
	ds_bpermute_b32 v51, v39, v9
	s_waitcnt lgkmcnt(0)
	v_fma_f64 v[10:11], v[46:47], v[50:51], v[10:11]
	ds_bpermute_b32 v46, v40, v8
	ds_bpermute_b32 v47, v40, v9
	s_waitcnt vmcnt(4)
	v_mul_f64 v[44:45], v[44:45], v[58:59]
	s_waitcnt vmcnt(2)
	v_mul_f64 v[48:49], v[48:49], v[54:55]
	s_waitcnt lgkmcnt(0)
	v_fma_f64 v[10:11], v[44:45], v[46:47], v[10:11]
	ds_bpermute_b32 v44, v41, v8
	ds_bpermute_b32 v45, v41, v9
	ds_bpermute_b32 v8, v42, v8
	ds_bpermute_b32 v9, v42, v9
	s_waitcnt lgkmcnt(2)
	v_fma_f64 v[10:11], v[48:49], v[44:45], v[10:11]
	s_waitcnt vmcnt(0)
	v_mul_f64 v[44:45], v[52:53], v[56:57]
	s_waitcnt lgkmcnt(0)
	v_fma_f64 v[10:11], v[44:45], v[8:9], v[10:11]
	s_cbranch_vccz .LBB119_5
.LBB119_3:                              ; =>This Inner Loop Header: Depth=1
	v_mov_b32_e32 v8, 0
	v_mov_b32_e32 v9, 0
	s_mov_b32 s17, exec_lo
	v_cmpx_gt_i64_e64 s[0:1], v[4:5]
	s_cbranch_execz .LBB119_2
; %bb.4:                                ;   in Loop: Header=BB119_3 Depth=1
	global_load_dwordx2 v[8:9], v[6:7], off
	s_branch .LBB119_2
.LBB119_5:
	s_cmp_eq_u64 s[12:13], 0
	s_cbranch_scc1 .LBB119_7
; %bb.6:
	s_load_dword s0, s[4:5], 0x4c
	v_mov_b32_e32 v2, 0
	v_lshlrev_b32_e32 v0, 3, v0
	s_waitcnt lgkmcnt(0)
	s_lshr_b32 s0, s0, 16
	v_mad_u64_u32 v[1:2], null, s0, s7, v[1:2]
	s_mov_b32 s7, 0
	s_lshl_b64 s[0:1], s[6:7], 9
	v_mul_lo_u32 v3, v2, s2
	v_mul_lo_u32 v4, v1, s3
	v_mad_u64_u32 v[1:2], null, v1, s2, 0
	v_add3_u32 v2, v2, v4, v3
	v_lshlrev_b64 v[1:2], 3, v[1:2]
	v_add_co_u32 v1, vcc_lo, s12, v1
	v_add_co_ci_u32_e64 v2, null, s13, v2, vcc_lo
	v_add_co_u32 v1, vcc_lo, v1, s0
	v_add_co_ci_u32_e64 v2, null, s1, v2, vcc_lo
	;; [unrolled: 2-line block ×3, first 2 shown]
	global_store_dwordx2 v[0:1], v[10:11], off
.LBB119_7:
	s_endpgm
	.section	.rodata,"a",@progbits
	.p2align	6, 0x0
	.amdhsa_kernel _ZN2at6native12_GLOBAL__N_135GammaBetaBackwardCUDAKernelTemplateIddLj64ELj1ELj32ELb1ELb1ELb1EEEvllPKT_S5_PKT0_S8_PS3_S9_
		.amdhsa_group_segment_fixed_size 0
		.amdhsa_private_segment_fixed_size 0
		.amdhsa_kernarg_size 320
		.amdhsa_user_sgpr_count 6
		.amdhsa_user_sgpr_private_segment_buffer 1
		.amdhsa_user_sgpr_dispatch_ptr 0
		.amdhsa_user_sgpr_queue_ptr 0
		.amdhsa_user_sgpr_kernarg_segment_ptr 1
		.amdhsa_user_sgpr_dispatch_id 0
		.amdhsa_user_sgpr_flat_scratch_init 0
		.amdhsa_user_sgpr_private_segment_size 0
		.amdhsa_wavefront_size32 1
		.amdhsa_uses_dynamic_stack 0
		.amdhsa_system_sgpr_private_segment_wavefront_offset 0
		.amdhsa_system_sgpr_workgroup_id_x 1
		.amdhsa_system_sgpr_workgroup_id_y 1
		.amdhsa_system_sgpr_workgroup_id_z 0
		.amdhsa_system_sgpr_workgroup_info 0
		.amdhsa_system_vgpr_workitem_id 1
		.amdhsa_next_free_vgpr 60
		.amdhsa_next_free_sgpr 24
		.amdhsa_reserve_vcc 1
		.amdhsa_reserve_flat_scratch 0
		.amdhsa_float_round_mode_32 0
		.amdhsa_float_round_mode_16_64 0
		.amdhsa_float_denorm_mode_32 3
		.amdhsa_float_denorm_mode_16_64 3
		.amdhsa_dx10_clamp 1
		.amdhsa_ieee_mode 1
		.amdhsa_fp16_overflow 0
		.amdhsa_workgroup_processor_mode 1
		.amdhsa_memory_ordered 1
		.amdhsa_forward_progress 1
		.amdhsa_shared_vgpr_count 0
		.amdhsa_exception_fp_ieee_invalid_op 0
		.amdhsa_exception_fp_denorm_src 0
		.amdhsa_exception_fp_ieee_div_zero 0
		.amdhsa_exception_fp_ieee_overflow 0
		.amdhsa_exception_fp_ieee_underflow 0
		.amdhsa_exception_fp_ieee_inexact 0
		.amdhsa_exception_int_div_zero 0
	.end_amdhsa_kernel
	.section	.text._ZN2at6native12_GLOBAL__N_135GammaBetaBackwardCUDAKernelTemplateIddLj64ELj1ELj32ELb1ELb1ELb1EEEvllPKT_S5_PKT0_S8_PS3_S9_,"axG",@progbits,_ZN2at6native12_GLOBAL__N_135GammaBetaBackwardCUDAKernelTemplateIddLj64ELj1ELj32ELb1ELb1ELb1EEEvllPKT_S5_PKT0_S8_PS3_S9_,comdat
.Lfunc_end119:
	.size	_ZN2at6native12_GLOBAL__N_135GammaBetaBackwardCUDAKernelTemplateIddLj64ELj1ELj32ELb1ELb1ELb1EEEvllPKT_S5_PKT0_S8_PS3_S9_, .Lfunc_end119-_ZN2at6native12_GLOBAL__N_135GammaBetaBackwardCUDAKernelTemplateIddLj64ELj1ELj32ELb1ELb1ELb1EEEvllPKT_S5_PKT0_S8_PS3_S9_
                                        ; -- End function
	.set _ZN2at6native12_GLOBAL__N_135GammaBetaBackwardCUDAKernelTemplateIddLj64ELj1ELj32ELb1ELb1ELb1EEEvllPKT_S5_PKT0_S8_PS3_S9_.num_vgpr, 60
	.set _ZN2at6native12_GLOBAL__N_135GammaBetaBackwardCUDAKernelTemplateIddLj64ELj1ELj32ELb1ELb1ELb1EEEvllPKT_S5_PKT0_S8_PS3_S9_.num_agpr, 0
	.set _ZN2at6native12_GLOBAL__N_135GammaBetaBackwardCUDAKernelTemplateIddLj64ELj1ELj32ELb1ELb1ELb1EEEvllPKT_S5_PKT0_S8_PS3_S9_.numbered_sgpr, 24
	.set _ZN2at6native12_GLOBAL__N_135GammaBetaBackwardCUDAKernelTemplateIddLj64ELj1ELj32ELb1ELb1ELb1EEEvllPKT_S5_PKT0_S8_PS3_S9_.num_named_barrier, 0
	.set _ZN2at6native12_GLOBAL__N_135GammaBetaBackwardCUDAKernelTemplateIddLj64ELj1ELj32ELb1ELb1ELb1EEEvllPKT_S5_PKT0_S8_PS3_S9_.private_seg_size, 0
	.set _ZN2at6native12_GLOBAL__N_135GammaBetaBackwardCUDAKernelTemplateIddLj64ELj1ELj32ELb1ELb1ELb1EEEvllPKT_S5_PKT0_S8_PS3_S9_.uses_vcc, 1
	.set _ZN2at6native12_GLOBAL__N_135GammaBetaBackwardCUDAKernelTemplateIddLj64ELj1ELj32ELb1ELb1ELb1EEEvllPKT_S5_PKT0_S8_PS3_S9_.uses_flat_scratch, 0
	.set _ZN2at6native12_GLOBAL__N_135GammaBetaBackwardCUDAKernelTemplateIddLj64ELj1ELj32ELb1ELb1ELb1EEEvllPKT_S5_PKT0_S8_PS3_S9_.has_dyn_sized_stack, 0
	.set _ZN2at6native12_GLOBAL__N_135GammaBetaBackwardCUDAKernelTemplateIddLj64ELj1ELj32ELb1ELb1ELb1EEEvllPKT_S5_PKT0_S8_PS3_S9_.has_recursion, 0
	.set _ZN2at6native12_GLOBAL__N_135GammaBetaBackwardCUDAKernelTemplateIddLj64ELj1ELj32ELb1ELb1ELb1EEEvllPKT_S5_PKT0_S8_PS3_S9_.has_indirect_call, 0
	.section	.AMDGPU.csdata,"",@progbits
; Kernel info:
; codeLenInByte = 3560
; TotalNumSgprs: 26
; NumVgprs: 60
; ScratchSize: 0
; MemoryBound: 0
; FloatMode: 240
; IeeeMode: 1
; LDSByteSize: 0 bytes/workgroup (compile time only)
; SGPRBlocks: 0
; VGPRBlocks: 7
; NumSGPRsForWavesPerEU: 26
; NumVGPRsForWavesPerEU: 60
; Occupancy: 16
; WaveLimiterHint : 0
; COMPUTE_PGM_RSRC2:SCRATCH_EN: 0
; COMPUTE_PGM_RSRC2:USER_SGPR: 6
; COMPUTE_PGM_RSRC2:TRAP_HANDLER: 0
; COMPUTE_PGM_RSRC2:TGID_X_EN: 1
; COMPUTE_PGM_RSRC2:TGID_Y_EN: 1
; COMPUTE_PGM_RSRC2:TGID_Z_EN: 0
; COMPUTE_PGM_RSRC2:TIDIG_COMP_CNT: 1
	.section	.text._ZN2at6native12_GLOBAL__N_135GammaBetaBackwardCUDAKernelTemplateIddLj64ELj1ELj32ELb1ELb0ELb1EEEvllPKT_S5_PKT0_S8_PS3_S9_,"axG",@progbits,_ZN2at6native12_GLOBAL__N_135GammaBetaBackwardCUDAKernelTemplateIddLj64ELj1ELj32ELb1ELb0ELb1EEEvllPKT_S5_PKT0_S8_PS3_S9_,comdat
	.globl	_ZN2at6native12_GLOBAL__N_135GammaBetaBackwardCUDAKernelTemplateIddLj64ELj1ELj32ELb1ELb0ELb1EEEvllPKT_S5_PKT0_S8_PS3_S9_ ; -- Begin function _ZN2at6native12_GLOBAL__N_135GammaBetaBackwardCUDAKernelTemplateIddLj64ELj1ELj32ELb1ELb0ELb1EEEvllPKT_S5_PKT0_S8_PS3_S9_
	.p2align	8
	.type	_ZN2at6native12_GLOBAL__N_135GammaBetaBackwardCUDAKernelTemplateIddLj64ELj1ELj32ELb1ELb0ELb1EEEvllPKT_S5_PKT0_S8_PS3_S9_,@function
_ZN2at6native12_GLOBAL__N_135GammaBetaBackwardCUDAKernelTemplateIddLj64ELj1ELj32ELb1ELb0ELb1EEEvllPKT_S5_PKT0_S8_PS3_S9_: ; @_ZN2at6native12_GLOBAL__N_135GammaBetaBackwardCUDAKernelTemplateIddLj64ELj1ELj32ELb1ELb0ELb1EEEvllPKT_S5_PKT0_S8_PS3_S9_
; %bb.0:
	s_mov_b64 s[38:39], s[2:3]
	s_mov_b64 s[36:37], s[0:1]
	s_mov_b32 s0, s7
	s_add_u32 s36, s36, s8
	s_addc_u32 s37, s37, 0
	s_lshl_b32 s7, s6, 6
	buffer_store_dword v1, off, s[36:39], 0 offset:348 ; 4-byte Folded Spill
	buffer_store_dword v2, off, s[36:39], 0 offset:352 ; 4-byte Folded Spill
	;; [unrolled: 1-line block ×3, first 2 shown]
	s_clause 0x1
	s_load_dwordx8 s[8:15], s[4:5], 0x0
	s_load_dwordx2 s[16:17], s[4:5], 0x28
	s_mov_b32 s19, 0
	s_or_b32 s18, s7, 63
	s_waitcnt lgkmcnt(0)
	v_cmp_le_i64_e64 s1, s[10:11], s[18:19]
	s_lshl_b32 s18, s0, 5
	v_cmp_gt_i64_e64 s26, s[8:9], s[18:19]
	s_and_b32 vcc_lo, exec_lo, s1
	v_cndmask_b32_e64 v0, 0, 1, s26
	v_cmp_ne_u32_e64 s1, 1, v0
	s_cbranch_vccz .LBB120_140
; %bb.1:
	v_mov_b32_e32 v126, 0
	v_mov_b32_e32 v127, 0
	s_and_b32 vcc_lo, exec_lo, s1
	s_cbranch_vccnz .LBB120_141
; %bb.2:
	s_clause 0x2
	buffer_load_dword v0, off, s[36:39], 0 offset:348
	buffer_load_dword v1, off, s[36:39], 0 offset:352
	;; [unrolled: 1-line block ×3, first 2 shown]
	v_mov_b32_e32 v3, 0
	s_load_dword s2, s[4:5], 0x44
	s_add_u32 s20, s4, 64
	s_addc_u32 s21, s5, 0
	v_mov_b32_e32 v126, 0
	v_mov_b32_e32 v137, v3
	;; [unrolled: 1-line block ×3, first 2 shown]
	s_mov_b64 s[24:25], s[18:19]
	s_waitcnt lgkmcnt(0)
	s_lshl_b32 s27, s2, 5
	s_mul_i32 s2, s11, s27
	s_mul_hi_u32 s3, s10, s27
	s_mul_i32 s22, s10, s27
	s_add_i32 s23, s3, s2
	s_waitcnt vmcnt(2)
	v_lshlrev_b32_e32 v136, 5, v0
	s_waitcnt vmcnt(0)
	v_add_nc_u32_e32 v2, s7, v2
	v_add_co_u32 v0, s1, v136, s18
	v_add_co_ci_u32_e64 v1, null, 0, 0, s1
	v_cmp_gt_i64_e64 s1, s[10:11], v[2:3]
	v_mul_lo_u32 v8, s11, v0
	v_mad_u64_u32 v[6:7], null, s10, v0, 0
	v_mul_lo_u32 v9, s10, v1
	v_lshlrev_b64 v[4:5], 3, v[2:3]
	v_add_co_u32 v2, vcc_lo, v0, 31
	v_add_co_ci_u32_e64 v10, null, 0, v1, vcc_lo
	v_add_co_u32 v12, vcc_lo, v0, 30
	v_add3_u32 v7, v7, v9, v8
	v_add_co_ci_u32_e64 v13, null, 0, v1, vcc_lo
	v_mul_lo_u32 v14, s11, v2
	v_mul_lo_u32 v15, s10, v10
	v_lshlrev_b64 v[8:9], 3, v[6:7]
	v_mad_u64_u32 v[10:11], null, s10, v2, 0
	v_mul_lo_u32 v16, s11, v12
	v_mul_lo_u32 v17, s10, v13
	v_mad_u64_u32 v[12:13], null, s10, v12, 0
	v_add_co_u32 v2, vcc_lo, s12, v8
	v_add_co_ci_u32_e64 v138, null, s13, v9, vcc_lo
	v_add_co_u32 v139, vcc_lo, s14, v8
	v_add3_u32 v11, v11, v15, v14
	v_add_co_ci_u32_e64 v140, null, s15, v9, vcc_lo
	v_add_co_u32 v14, vcc_lo, v0, 29
	v_add3_u32 v13, v13, v17, v16
	v_add_co_ci_u32_e64 v15, null, 0, v1, vcc_lo
	v_lshlrev_b64 v[8:9], 3, v[10:11]
	v_mul_lo_u32 v16, s11, v14
	v_lshlrev_b64 v[10:11], 3, v[12:13]
	v_mul_lo_u32 v15, s10, v15
	v_mad_u64_u32 v[12:13], null, s10, v14, 0
	v_add_co_u32 v141, vcc_lo, s12, v8
	v_add_co_ci_u32_e64 v142, null, s13, v9, vcc_lo
	v_add_co_u32 v143, vcc_lo, s14, v8
	v_add3_u32 v13, v13, v15, v16
	v_add_co_ci_u32_e64 v144, null, s15, v9, vcc_lo
	v_add_co_u32 v145, vcc_lo, s12, v10
	v_add_co_ci_u32_e64 v146, null, s13, v11, vcc_lo
	v_add_co_u32 v14, vcc_lo, v0, 28
	v_add_co_u32 v147, s2, s14, v10
	v_lshlrev_b64 v[8:9], 3, v[12:13]
	v_add_co_ci_u32_e64 v10, null, 0, v1, vcc_lo
	v_add_co_u32 v12, vcc_lo, v0, 27
	v_add_co_ci_u32_e64 v13, null, 0, v1, vcc_lo
	v_add_co_ci_u32_e64 v148, null, s15, v11, s2
	v_mul_lo_u32 v15, s11, v14
	v_mul_lo_u32 v16, s10, v10
	v_mad_u64_u32 v[10:11], null, s10, v14, 0
	v_mul_lo_u32 v14, s11, v12
	v_mul_lo_u32 v17, s10, v13
	v_mad_u64_u32 v[12:13], null, s10, v12, 0
	v_add_co_u32 v149, vcc_lo, s12, v8
	v_add_co_ci_u32_e64 v150, null, s13, v9, vcc_lo
	v_add_co_u32 v151, vcc_lo, s14, v8
	v_add_co_ci_u32_e64 v152, null, s15, v9, vcc_lo
	v_add3_u32 v13, v13, v17, v14
	v_add_co_u32 v14, vcc_lo, v0, 26
	v_add3_u32 v11, v11, v16, v15
	v_add_co_ci_u32_e64 v15, null, 0, v1, vcc_lo
	v_mul_lo_u32 v16, s11, v14
	v_lshlrev_b64 v[8:9], 3, v[10:11]
	v_lshlrev_b64 v[10:11], 3, v[12:13]
	v_mul_lo_u32 v15, s10, v15
	v_mad_u64_u32 v[12:13], null, s10, v14, 0
	v_add_co_u32 v153, vcc_lo, s12, v8
	v_add_co_ci_u32_e64 v154, null, s13, v9, vcc_lo
	v_add_co_u32 v155, vcc_lo, s14, v8
	v_add3_u32 v13, v13, v15, v16
	v_add_co_ci_u32_e64 v156, null, s15, v9, vcc_lo
	v_add_co_u32 v157, vcc_lo, s12, v10
	v_add_co_ci_u32_e64 v158, null, s13, v11, vcc_lo
	v_add_co_u32 v14, vcc_lo, v0, 25
	v_add_co_u32 v159, s2, s14, v10
	v_lshlrev_b64 v[8:9], 3, v[12:13]
	v_add_co_ci_u32_e64 v10, null, 0, v1, vcc_lo
	v_add_co_u32 v12, vcc_lo, v0, 24
	v_add_co_ci_u32_e64 v13, null, 0, v1, vcc_lo
	v_add_co_ci_u32_e64 v160, null, s15, v11, s2
	v_mul_lo_u32 v15, s11, v14
	v_mul_lo_u32 v16, s10, v10
	v_mad_u64_u32 v[10:11], null, s10, v14, 0
	v_mul_lo_u32 v14, s11, v12
	v_mul_lo_u32 v17, s10, v13
	v_mad_u64_u32 v[12:13], null, s10, v12, 0
	v_add_co_u32 v161, vcc_lo, s12, v8
	v_add_co_ci_u32_e64 v162, null, s13, v9, vcc_lo
	v_add_co_u32 v163, vcc_lo, s14, v8
	v_add_co_ci_u32_e64 v164, null, s15, v9, vcc_lo
	v_add3_u32 v13, v13, v17, v14
	v_add_co_u32 v14, vcc_lo, v0, 23
	v_add3_u32 v11, v11, v16, v15
	v_add_co_ci_u32_e64 v15, null, 0, v1, vcc_lo
	v_mul_lo_u32 v16, s11, v14
	v_lshlrev_b64 v[8:9], 3, v[10:11]
	;; [unrolled: 33-line block ×6, first 2 shown]
	v_lshlrev_b64 v[10:11], 3, v[12:13]
	v_mul_lo_u32 v15, s10, v15
	v_mad_u64_u32 v[12:13], null, s10, v14, 0
	v_add_co_u32 v213, vcc_lo, s12, v8
	v_add_co_ci_u32_e64 v214, null, s13, v9, vcc_lo
	v_add_co_u32 v215, vcc_lo, s14, v8
	v_add3_u32 v13, v13, v15, v16
	v_add_co_ci_u32_e64 v216, null, s15, v9, vcc_lo
	v_add_co_u32 v217, vcc_lo, s12, v10
	v_add_co_ci_u32_e64 v218, null, s13, v11, vcc_lo
	v_add_co_u32 v14, vcc_lo, v0, 10
	v_add_co_u32 v219, s2, s14, v10
	v_lshlrev_b64 v[8:9], 3, v[12:13]
	v_add_co_ci_u32_e64 v10, null, 0, v1, vcc_lo
	v_add_co_u32 v12, vcc_lo, v0, 9
	v_add_co_ci_u32_e64 v13, null, 0, v1, vcc_lo
	v_add_co_ci_u32_e64 v220, null, s15, v11, s2
	v_mul_lo_u32 v15, s11, v14
	v_mul_lo_u32 v16, s10, v10
	v_mad_u64_u32 v[10:11], null, s10, v14, 0
	v_mul_lo_u32 v14, s11, v12
	v_mul_lo_u32 v17, s10, v13
	v_mad_u64_u32 v[12:13], null, s10, v12, 0
	v_add_co_u32 v221, vcc_lo, s12, v8
	v_add_co_ci_u32_e64 v222, null, s13, v9, vcc_lo
	v_add_co_u32 v223, vcc_lo, s14, v8
	v_add3_u32 v11, v11, v16, v15
	v_add_co_ci_u32_e64 v224, null, s15, v9, vcc_lo
	v_add3_u32 v13, v13, v17, v14
	v_add_co_u32 v14, vcc_lo, v0, 8
	v_add_co_ci_u32_e64 v15, null, 0, v1, vcc_lo
	v_lshlrev_b64 v[8:9], 3, v[10:11]
	v_lshlrev_b64 v[10:11], 3, v[12:13]
	v_mul_lo_u32 v16, s11, v14
	v_mul_lo_u32 v15, s10, v15
	v_mad_u64_u32 v[12:13], null, s10, v14, 0
	v_add_co_u32 v225, vcc_lo, s12, v8
	v_add_co_ci_u32_e64 v226, null, s13, v9, vcc_lo
	v_add_co_u32 v227, vcc_lo, s14, v8
	v_add_co_ci_u32_e64 v228, null, s15, v9, vcc_lo
	v_add_co_u32 v229, vcc_lo, s12, v10
	v_add3_u32 v13, v13, v15, v16
	v_add_co_ci_u32_e64 v230, null, s13, v11, vcc_lo
	v_add_co_u32 v14, vcc_lo, v0, 7
	v_add_co_u32 v231, s2, s14, v10
	v_add_co_ci_u32_e64 v10, null, 0, v1, vcc_lo
	v_lshlrev_b64 v[8:9], 3, v[12:13]
	v_add_co_u32 v12, vcc_lo, v0, 6
	v_add_co_ci_u32_e64 v13, null, 0, v1, vcc_lo
	v_add_co_ci_u32_e64 v232, null, s15, v11, s2
	v_mul_lo_u32 v15, s11, v14
	v_mul_lo_u32 v16, s10, v10
	v_mad_u64_u32 v[10:11], null, s10, v14, 0
	v_mul_lo_u32 v14, s11, v12
	v_mul_lo_u32 v17, s10, v13
	v_mad_u64_u32 v[12:13], null, s10, v12, 0
	v_add_co_u32 v233, vcc_lo, s12, v8
	v_add3_u32 v11, v11, v16, v15
	v_add_co_ci_u32_e64 v234, null, s13, v9, vcc_lo
	v_add_co_u32 v235, vcc_lo, s14, v8
	v_add_co_ci_u32_e64 v236, null, s15, v9, vcc_lo
	v_add3_u32 v13, v13, v17, v14
	v_add_co_u32 v14, vcc_lo, v0, 5
	v_lshlrev_b64 v[8:9], 3, v[10:11]
	v_add_co_ci_u32_e64 v15, null, 0, v1, vcc_lo
	v_lshlrev_b64 v[10:11], 3, v[12:13]
	v_mul_lo_u32 v16, s11, v14
	v_mad_u64_u32 v[12:13], null, s10, v14, 0
	v_add_co_u32 v237, vcc_lo, s12, v8
	v_mul_lo_u32 v15, s10, v15
	v_add_co_ci_u32_e64 v238, null, s13, v9, vcc_lo
	v_add_co_u32 v239, vcc_lo, s14, v8
	v_add_co_ci_u32_e64 v240, null, s15, v9, vcc_lo
	v_add_co_u32 v241, vcc_lo, s12, v10
	;; [unrolled: 2-line block ×3, first 2 shown]
	v_add3_u32 v13, v13, v15, v16
	v_add_co_u32 v243, s2, s14, v10
	v_add_co_ci_u32_e64 v10, null, 0, v1, vcc_lo
	v_add_co_ci_u32_e64 v244, null, s15, v11, s2
	v_lshlrev_b64 v[8:9], 3, v[12:13]
	v_mul_lo_u32 v15, s11, v14
	v_add_co_u32 v12, vcc_lo, v0, 3
	v_mul_lo_u32 v16, s10, v10
	v_mad_u64_u32 v[10:11], null, s10, v14, 0
	v_add_co_ci_u32_e64 v13, null, 0, v1, vcc_lo
	v_mul_lo_u32 v14, s11, v12
	v_add_co_u32 v245, vcc_lo, s12, v8
	v_mul_lo_u32 v17, s10, v13
	v_mad_u64_u32 v[12:13], null, s10, v12, 0
	v_add3_u32 v11, v11, v16, v15
	v_add_co_ci_u32_e64 v246, null, s13, v9, vcc_lo
	v_add_co_u32 v247, vcc_lo, s14, v8
	v_add_co_ci_u32_e64 v248, null, s15, v9, vcc_lo
	v_lshlrev_b64 v[8:9], 3, v[10:11]
	v_add_co_u32 v10, vcc_lo, v0, 2
	v_add3_u32 v13, v13, v17, v14
	v_add_co_ci_u32_e64 v11, null, 0, v1, vcc_lo
	v_add_co_u32 v249, vcc_lo, s12, v8
	v_lshlrev_b64 v[0:1], 3, v[12:13]
	v_mul_lo_u32 v13, s11, v10
	v_mul_lo_u32 v14, s10, v11
	v_mad_u64_u32 v[11:12], null, s10, v10, 0
	v_add_co_ci_u32_e64 v250, null, s13, v9, vcc_lo
	v_add_co_u32 v251, vcc_lo, s14, v8
	v_add_co_ci_u32_e64 v252, null, s15, v9, vcc_lo
	v_add_co_u32 v253, vcc_lo, s12, v0
	v_add_co_ci_u32_e64 v254, null, s13, v1, vcc_lo
	v_add3_u32 v12, v12, v14, v13
	v_add_co_u32 v255, vcc_lo, s14, v0
	v_add_co_ci_u32_e64 v10, null, s15, v1, vcc_lo
	v_add_co_u32 v6, vcc_lo, v6, s10
	v_add_co_ci_u32_e64 v7, null, s11, v7, vcc_lo
	v_lshlrev_b64 v[0:1], 3, v[11:12]
	s_lshl_b64 s[2:3], s[22:23], 3
	s_mov_b64 s[22:23], 31
	v_lshlrev_b64 v[6:7], 3, v[6:7]
	v_add_co_u32 v11, vcc_lo, s12, v0
	v_add_co_ci_u32_e64 v12, null, s13, v1, vcc_lo
	v_add_co_u32 v13, vcc_lo, s14, v0
	v_add_co_ci_u32_e64 v14, null, s15, v1, vcc_lo
	;; [unrolled: 2-line block ×4, first 2 shown]
	s_branch .LBB120_5
.LBB120_3:                              ;   in Loop: Header=BB120_5 Depth=1
	s_or_b32 exec_lo, exec_lo, s28
	s_waitcnt vmcnt(0)
	v_mul_f64 v[8:9], v[134:135], v[8:9]
	ds_bpermute_b32 v134, v3, v6
	ds_bpermute_b32 v135, v3, v7
	v_mul_f64 v[23:24], v[23:24], v[26:27]
	v_mul_f64 v[0:1], v[0:1], v[130:131]
	s_waitcnt lgkmcnt(0)
	v_fma_f64 v[8:9], v[8:9], v[134:135], v[126:127]
	s_clause 0x3
	buffer_load_dword v19, off, s[36:39], 0 offset:12
	buffer_load_dword v20, off, s[36:39], 0 offset:16
	;; [unrolled: 1-line block ×4, first 2 shown]
	s_waitcnt vmcnt(0)
	v_mul_f64 v[126:127], v[19:20], v[126:127]
	s_clause 0x3
	buffer_load_dword v19, off, s[36:39], 0
	buffer_load_dword v20, off, s[36:39], 0 offset:4
	buffer_load_dword v134, off, s[36:39], 0 offset:28
	;; [unrolled: 1-line block ×3, first 2 shown]
	s_waitcnt vmcnt(0)
	v_mul_f64 v[19:20], v[19:20], v[134:135]
	ds_bpermute_b32 v134, v3, v6 offset:4
	ds_bpermute_b32 v135, v3, v7 offset:4
	s_waitcnt lgkmcnt(0)
	v_fma_f64 v[8:9], v[126:127], v[134:135], v[8:9]
	s_clause 0x1
	buffer_load_dword v134, off, s[36:39], 0 offset:36
	buffer_load_dword v135, off, s[36:39], 0 offset:40
	ds_bpermute_b32 v126, v3, v6 offset:8
	ds_bpermute_b32 v127, v3, v7 offset:8
	s_waitcnt lgkmcnt(0)
	v_fma_f64 v[8:9], v[19:20], v[126:127], v[8:9]
	ds_bpermute_b32 v19, v3, v6 offset:12
	ds_bpermute_b32 v20, v3, v7 offset:12
	s_waitcnt vmcnt(0)
	v_mul_f64 v[21:22], v[21:22], v[134:135]
	s_waitcnt lgkmcnt(0)
	v_fma_f64 v[8:9], v[21:22], v[19:20], v[8:9]
	ds_bpermute_b32 v19, v3, v6 offset:16
	ds_bpermute_b32 v20, v3, v7 offset:16
	v_mul_f64 v[21:22], v[30:31], v[32:33]
	s_waitcnt lgkmcnt(0)
	v_fma_f64 v[8:9], v[23:24], v[19:20], v[8:9]
	ds_bpermute_b32 v19, v3, v6 offset:20
	ds_bpermute_b32 v20, v3, v7 offset:20
	;; [unrolled: 5-line block ×25, first 2 shown]
	s_waitcnt lgkmcnt(0)
	v_fma_f64 v[8:9], v[23:24], v[19:20], v[8:9]
	ds_bpermute_b32 v19, v3, v6 offset:116
	ds_bpermute_b32 v20, v3, v7 offset:116
	s_waitcnt lgkmcnt(0)
	v_fma_f64 v[0:1], v[0:1], v[19:20], v[8:9]
	v_mul_f64 v[8:9], v[128:129], v[132:133]
	ds_bpermute_b32 v19, v3, v6 offset:120
	ds_bpermute_b32 v20, v3, v7 offset:120
	s_waitcnt lgkmcnt(0)
	v_fma_f64 v[0:1], v[8:9], v[19:20], v[0:1]
	ds_bpermute_b32 v8, v3, v6 offset:124
	ds_bpermute_b32 v9, v3, v7 offset:124
.LBB120_4:                              ;   in Loop: Header=BB120_5 Depth=1
	v_add_co_u32 v2, vcc_lo, v2, s2
	v_add_co_ci_u32_e64 v138, null, s3, v138, vcc_lo
	v_add_co_u32 v139, vcc_lo, v139, s2
	v_add_co_ci_u32_e64 v140, null, s3, v140, vcc_lo
	;; [unrolled: 2-line block ×56, first 2 shown]
	v_add_co_u32 v249, vcc_lo, v249, s2
	s_waitcnt lgkmcnt(0)
	v_fma_f64 v[126:127], v[80:81], v[8:9], v[0:1]
	v_add_co_ci_u32_e64 v250, null, s3, v250, vcc_lo
	v_add_co_u32 v251, vcc_lo, v251, s2
	v_add_co_ci_u32_e64 v252, null, s3, v252, vcc_lo
	v_add_co_u32 v253, vcc_lo, v253, s2
	v_add_co_ci_u32_e64 v254, null, s3, v254, vcc_lo
	v_add_co_u32 v255, vcc_lo, v255, s2
	v_add_co_ci_u32_e64 v10, null, s3, v10, vcc_lo
	v_add_co_u32 v11, vcc_lo, v11, s2
	v_add_co_ci_u32_e64 v12, null, s3, v12, vcc_lo
	v_add_co_u32 v13, vcc_lo, v13, s2
	s_add_u32 s24, s24, s27
	v_add_co_ci_u32_e64 v14, null, s3, v14, vcc_lo
	v_add_co_u32 v15, vcc_lo, v15, s2
	s_addc_u32 s25, s25, 0
	v_add_co_ci_u32_e64 v16, null, s3, v16, vcc_lo
	v_add_co_u32 v17, vcc_lo, v17, s2
	v_cmp_lt_i64_e64 s28, s[24:25], s[8:9]
	v_add_co_ci_u32_e64 v18, null, s3, v18, vcc_lo
	v_add_co_u32 v136, vcc_lo, v136, s27
	v_add_co_ci_u32_e64 v137, null, 0, v137, vcc_lo
	s_add_u32 s22, s22, s27
	s_addc_u32 s23, 0, s23
	s_and_b32 vcc_lo, exec_lo, s28
	s_cbranch_vccz .LBB120_141
.LBB120_5:                              ; =>This Inner Loop Header: Depth=1
	s_add_u32 s28, s18, s22
	s_addc_u32 s29, 0, s23
	v_add_co_u32 v6, vcc_lo, s18, v136
	v_cmp_ge_i64_e64 s28, s[28:29], s[8:9]
	v_add_co_ci_u32_e64 v7, null, 0, v137, vcc_lo
                                        ; implicit-def: $vgpr0_vgpr1
                                        ; implicit-def: $vgpr80_vgpr81
                                        ; implicit-def: $vgpr8
	s_and_b32 vcc_lo, exec_lo, s28
	s_mov_b32 s28, -1
	s_cbranch_vccz .LBB120_73
; %bb.6:                                ;   in Loop: Header=BB120_5 Depth=1
	s_load_dword s28, s[20:21], 0xc
	s_clause 0x2
	buffer_load_dword v0, off, s[36:39], 0 offset:348
	buffer_load_dword v1, off, s[36:39], 0 offset:352
	buffer_load_dword v1, off, s[36:39], 0 offset:8
	v_mov_b32_e32 v21, 0
	v_mov_b32_e32 v8, 0
	;; [unrolled: 1-line block ×4, first 2 shown]
	s_waitcnt lgkmcnt(0)
	s_and_b32 s28, s28, 0xffff
	s_waitcnt vmcnt(0)
	v_mad_u32_u24 v0, v0, s28, v1
	s_mov_b32 s28, exec_lo
	v_and_b32_e32 v0, 31, v0
	v_add_co_u32 v0, vcc_lo, v6, v0
	v_add_co_ci_u32_e64 v1, null, 0, v7, vcc_lo
	v_cmpx_gt_i64_e64 s[8:9], v[0:1]
	s_cbranch_execz .LBB120_8
; %bb.7:                                ;   in Loop: Header=BB120_5 Depth=1
	v_lshlrev_b64 v[0:1], 3, v[0:1]
	v_add_co_u32 v0, vcc_lo, s16, v0
	v_add_co_ci_u32_e64 v1, null, s17, v1, vcc_lo
	global_load_dwordx2 v[8:9], v[0:1], off
.LBB120_8:                              ;   in Loop: Header=BB120_5 Depth=1
	s_or_b32 exec_lo, exec_lo, s28
	v_cmp_gt_i64_e32 vcc_lo, s[8:9], v[6:7]
	v_mov_b32_e32 v23, 0
	v_mov_b32_e32 v24, 0
	s_and_b32 s29, s1, vcc_lo
	s_and_saveexec_b32 s28, s29
	s_cbranch_execz .LBB120_10
; %bb.9:                                ;   in Loop: Header=BB120_5 Depth=1
	v_add_co_u32 v0, vcc_lo, v2, v4
	v_add_co_ci_u32_e64 v1, null, v138, v5, vcc_lo
	v_add_co_u32 v19, vcc_lo, v139, v4
	v_add_co_ci_u32_e64 v20, null, v140, v5, vcc_lo
	global_load_dwordx2 v[21:22], v[0:1], off
	global_load_dwordx2 v[23:24], v[19:20], off
.LBB120_10:                             ;   in Loop: Header=BB120_5 Depth=1
	s_or_b32 exec_lo, exec_lo, s28
	v_add_co_u32 v0, vcc_lo, v6, 1
	v_add_co_ci_u32_e64 v1, null, 0, v7, vcc_lo
	v_cmp_gt_i64_e32 vcc_lo, s[8:9], v[0:1]
	v_mov_b32_e32 v0, 0
	v_mov_b32_e32 v1, 0
	buffer_store_dword v0, off, s[36:39], 0 ; 4-byte Folded Spill
	buffer_store_dword v1, off, s[36:39], 0 offset:4 ; 4-byte Folded Spill
	v_mov_b32_e32 v0, 0
	v_mov_b32_e32 v1, 0
	s_and_b32 s29, s1, vcc_lo
	buffer_store_dword v0, off, s[36:39], 0 offset:12 ; 4-byte Folded Spill
	buffer_store_dword v1, off, s[36:39], 0 offset:16 ; 4-byte Folded Spill
	v_mov_b32_e32 v0, 0
	v_mov_b32_e32 v1, 0
	buffer_store_dword v0, off, s[36:39], 0 offset:20 ; 4-byte Folded Spill
	buffer_store_dword v1, off, s[36:39], 0 offset:24 ; 4-byte Folded Spill
	s_and_saveexec_b32 s28, s29
	s_cbranch_execz .LBB120_12
; %bb.11:                               ;   in Loop: Header=BB120_5 Depth=1
	v_add_co_u32 v0, vcc_lo, v15, v4
	v_add_co_ci_u32_e64 v1, null, v16, v5, vcc_lo
	v_add_co_u32 v19, vcc_lo, v17, v4
	v_add_co_ci_u32_e64 v20, null, v18, v5, vcc_lo
	global_load_dwordx2 v[0:1], v[0:1], off
	s_waitcnt vmcnt(0)
	buffer_store_dword v0, off, s[36:39], 0 offset:12 ; 4-byte Folded Spill
	buffer_store_dword v1, off, s[36:39], 0 offset:16 ; 4-byte Folded Spill
	global_load_dwordx2 v[0:1], v[19:20], off
	s_waitcnt vmcnt(0)
	buffer_store_dword v0, off, s[36:39], 0 offset:20 ; 4-byte Folded Spill
	buffer_store_dword v1, off, s[36:39], 0 offset:24 ; 4-byte Folded Spill
.LBB120_12:                             ;   in Loop: Header=BB120_5 Depth=1
	s_or_b32 exec_lo, exec_lo, s28
	v_add_co_u32 v0, vcc_lo, v6, 2
	v_add_co_ci_u32_e64 v1, null, 0, v7, vcc_lo
	v_mov_b32_e32 v19, 0
	v_mov_b32_e32 v20, 0
	v_cmp_gt_i64_e32 vcc_lo, s[8:9], v[0:1]
	s_and_b32 s29, s1, vcc_lo
	s_and_saveexec_b32 s28, s29
	s_cbranch_execz .LBB120_14
; %bb.13:                               ;   in Loop: Header=BB120_5 Depth=1
	v_add_co_u32 v0, vcc_lo, v11, v4
	v_add_co_ci_u32_e64 v1, null, v12, v5, vcc_lo
	v_add_co_u32 v19, vcc_lo, v13, v4
	v_add_co_ci_u32_e64 v20, null, v14, v5, vcc_lo
	global_load_dwordx2 v[0:1], v[0:1], off
	s_waitcnt vmcnt(0)
	buffer_store_dword v0, off, s[36:39], 0 ; 4-byte Folded Spill
	buffer_store_dword v1, off, s[36:39], 0 offset:4 ; 4-byte Folded Spill
	global_load_dwordx2 v[19:20], v[19:20], off
.LBB120_14:                             ;   in Loop: Header=BB120_5 Depth=1
	s_or_b32 exec_lo, exec_lo, s28
	v_add_co_u32 v0, vcc_lo, v6, 3
	v_add_co_ci_u32_e64 v1, null, 0, v7, vcc_lo
	v_cmp_gt_i64_e32 vcc_lo, s[8:9], v[0:1]
	v_mov_b32_e32 v0, 0
	v_mov_b32_e32 v1, 0
	buffer_store_dword v0, off, s[36:39], 0 offset:28 ; 4-byte Folded Spill
	buffer_store_dword v1, off, s[36:39], 0 offset:32 ; 4-byte Folded Spill
	v_mov_b32_e32 v0, 0
	v_mov_b32_e32 v1, 0
	s_and_b32 s29, s1, vcc_lo
	buffer_store_dword v0, off, s[36:39], 0 offset:36 ; 4-byte Folded Spill
	buffer_store_dword v1, off, s[36:39], 0 offset:40 ; 4-byte Folded Spill
	v_mov_b32_e32 v0, 0
	v_mov_b32_e32 v1, 0
	buffer_store_dword v0, off, s[36:39], 0 offset:44 ; 4-byte Folded Spill
	buffer_store_dword v1, off, s[36:39], 0 offset:48 ; 4-byte Folded Spill
	s_and_saveexec_b32 s28, s29
	s_cbranch_execz .LBB120_16
; %bb.15:                               ;   in Loop: Header=BB120_5 Depth=1
	v_add_co_u32 v0, vcc_lo, v253, v4
	v_add_co_ci_u32_e64 v1, null, v254, v5, vcc_lo
	v_add_co_u32 v26, vcc_lo, v255, v4
	v_add_co_ci_u32_e64 v27, null, v10, v5, vcc_lo
	global_load_dwordx2 v[0:1], v[0:1], off
	s_waitcnt vmcnt(0)
	buffer_store_dword v0, off, s[36:39], 0 offset:36 ; 4-byte Folded Spill
	buffer_store_dword v1, off, s[36:39], 0 offset:40 ; 4-byte Folded Spill
	global_load_dwordx2 v[0:1], v[26:27], off
	s_waitcnt vmcnt(0)
	buffer_store_dword v0, off, s[36:39], 0 offset:44 ; 4-byte Folded Spill
	buffer_store_dword v1, off, s[36:39], 0 offset:48 ; 4-byte Folded Spill
.LBB120_16:                             ;   in Loop: Header=BB120_5 Depth=1
	s_or_b32 exec_lo, exec_lo, s28
	v_add_co_u32 v0, vcc_lo, v6, 4
	v_add_co_ci_u32_e64 v1, null, 0, v7, vcc_lo
	v_mov_b32_e32 v29, 0
	v_mov_b32_e32 v30, 0
	v_cmp_gt_i64_e32 vcc_lo, s[8:9], v[0:1]
	s_and_b32 s29, s1, vcc_lo
	s_and_saveexec_b32 s28, s29
	s_cbranch_execz .LBB120_18
; %bb.17:                               ;   in Loop: Header=BB120_5 Depth=1
	v_add_co_u32 v0, vcc_lo, v249, v4
	v_add_co_ci_u32_e64 v1, null, v250, v5, vcc_lo
	v_add_co_u32 v28, vcc_lo, v251, v4
	v_add_co_ci_u32_e64 v29, null, v252, v5, vcc_lo
	global_load_dwordx2 v[0:1], v[0:1], off
	s_waitcnt vmcnt(0)
	buffer_store_dword v0, off, s[36:39], 0 offset:28 ; 4-byte Folded Spill
	buffer_store_dword v1, off, s[36:39], 0 offset:32 ; 4-byte Folded Spill
	global_load_dwordx2 v[29:30], v[28:29], off
.LBB120_18:                             ;   in Loop: Header=BB120_5 Depth=1
	s_or_b32 exec_lo, exec_lo, s28
	v_add_co_u32 v0, vcc_lo, v6, 5
	v_add_co_ci_u32_e64 v1, null, 0, v7, vcc_lo
	v_mov_b32_e32 v31, 0
	v_mov_b32_e32 v34, 0
	;; [unrolled: 1-line block ×3, first 2 shown]
	v_cmp_gt_i64_e32 vcc_lo, s[8:9], v[0:1]
	v_mov_b32_e32 v0, 0
	v_mov_b32_e32 v1, 0
	;; [unrolled: 1-line block ×3, first 2 shown]
	buffer_store_dword v0, off, s[36:39], 0 offset:52 ; 4-byte Folded Spill
	buffer_store_dword v1, off, s[36:39], 0 offset:56 ; 4-byte Folded Spill
	s_and_b32 s29, s1, vcc_lo
	s_and_saveexec_b32 s28, s29
	s_cbranch_execz .LBB120_20
; %bb.19:                               ;   in Loop: Header=BB120_5 Depth=1
	v_add_co_u32 v0, vcc_lo, v245, v4
	v_add_co_ci_u32_e64 v1, null, v246, v5, vcc_lo
	v_add_co_u32 v34, vcc_lo, v247, v4
	v_add_co_ci_u32_e64 v35, null, v248, v5, vcc_lo
	global_load_dwordx2 v[0:1], v[0:1], off
	s_waitcnt vmcnt(0)
	buffer_store_dword v0, off, s[36:39], 0 offset:52 ; 4-byte Folded Spill
	buffer_store_dword v1, off, s[36:39], 0 offset:56 ; 4-byte Folded Spill
	global_load_dwordx2 v[34:35], v[34:35], off
.LBB120_20:                             ;   in Loop: Header=BB120_5 Depth=1
	s_or_b32 exec_lo, exec_lo, s28
	v_add_co_u32 v0, vcc_lo, v6, 6
	v_add_co_ci_u32_e64 v1, null, 0, v7, vcc_lo
	v_mov_b32_e32 v36, 0
	v_mov_b32_e32 v37, 0
	v_cmp_gt_i64_e32 vcc_lo, s[8:9], v[0:1]
	s_and_b32 s29, s1, vcc_lo
	s_and_saveexec_b32 s28, s29
	s_cbranch_execz .LBB120_22
; %bb.21:                               ;   in Loop: Header=BB120_5 Depth=1
	v_add_co_u32 v0, vcc_lo, v241, v4
	v_add_co_ci_u32_e64 v1, null, v242, v5, vcc_lo
	v_add_co_u32 v36, vcc_lo, v243, v4
	v_add_co_ci_u32_e64 v37, null, v244, v5, vcc_lo
	global_load_dwordx2 v[31:32], v[0:1], off
	global_load_dwordx2 v[36:37], v[36:37], off
.LBB120_22:                             ;   in Loop: Header=BB120_5 Depth=1
	s_or_b32 exec_lo, exec_lo, s28
	v_add_co_u32 v0, vcc_lo, v6, 7
	v_add_co_ci_u32_e64 v1, null, 0, v7, vcc_lo
	v_mov_b32_e32 v38, 0
	v_mov_b32_e32 v40, 0
	v_mov_b32_e32 v42, 0
	v_cmp_gt_i64_e32 vcc_lo, s[8:9], v[0:1]
	v_mov_b32_e32 v39, 0
	v_mov_b32_e32 v41, 0
	v_mov_b32_e32 v43, 0
	s_and_b32 s29, s1, vcc_lo
	s_and_saveexec_b32 s28, s29
	s_cbranch_execz .LBB120_24
; %bb.23:                               ;   in Loop: Header=BB120_5 Depth=1
	v_add_co_u32 v0, vcc_lo, v237, v4
	v_add_co_ci_u32_e64 v1, null, v238, v5, vcc_lo
	v_add_co_u32 v42, vcc_lo, v239, v4
	v_add_co_ci_u32_e64 v43, null, v240, v5, vcc_lo
	global_load_dwordx2 v[40:41], v[0:1], off
	global_load_dwordx2 v[42:43], v[42:43], off
.LBB120_24:                             ;   in Loop: Header=BB120_5 Depth=1
	s_or_b32 exec_lo, exec_lo, s28
	v_add_co_u32 v0, vcc_lo, v6, 8
	v_add_co_ci_u32_e64 v1, null, 0, v7, vcc_lo
	v_mov_b32_e32 v44, 0
	v_mov_b32_e32 v45, 0
	v_cmp_gt_i64_e32 vcc_lo, s[8:9], v[0:1]
	s_and_b32 s29, s1, vcc_lo
	s_and_saveexec_b32 s28, s29
	s_cbranch_execz .LBB120_26
; %bb.25:                               ;   in Loop: Header=BB120_5 Depth=1
	v_add_co_u32 v0, vcc_lo, v233, v4
	v_add_co_ci_u32_e64 v1, null, v234, v5, vcc_lo
	v_add_co_u32 v44, vcc_lo, v235, v4
	v_add_co_ci_u32_e64 v45, null, v236, v5, vcc_lo
	global_load_dwordx2 v[38:39], v[0:1], off
	global_load_dwordx2 v[44:45], v[44:45], off
.LBB120_26:                             ;   in Loop: Header=BB120_5 Depth=1
	s_or_b32 exec_lo, exec_lo, s28
	v_add_co_u32 v0, vcc_lo, v6, 9
	v_add_co_ci_u32_e64 v1, null, 0, v7, vcc_lo
	v_mov_b32_e32 v46, 0
	v_mov_b32_e32 v48, 0
	v_mov_b32_e32 v50, 0
	v_cmp_gt_i64_e32 vcc_lo, s[8:9], v[0:1]
	v_mov_b32_e32 v47, 0
	v_mov_b32_e32 v49, 0
	v_mov_b32_e32 v51, 0
	s_and_b32 s29, s1, vcc_lo
	s_and_saveexec_b32 s28, s29
	s_cbranch_execz .LBB120_28
; %bb.27:                               ;   in Loop: Header=BB120_5 Depth=1
	v_add_co_u32 v0, vcc_lo, v229, v4
	v_add_co_ci_u32_e64 v1, null, v230, v5, vcc_lo
	v_add_co_u32 v50, vcc_lo, v231, v4
	v_add_co_ci_u32_e64 v51, null, v232, v5, vcc_lo
	global_load_dwordx2 v[48:49], v[0:1], off
	global_load_dwordx2 v[50:51], v[50:51], off
.LBB120_28:                             ;   in Loop: Header=BB120_5 Depth=1
	;; [unrolled: 38-line block ×12, first 2 shown]
	s_or_b32 exec_lo, exec_lo, s28
	v_add_co_u32 v80, vcc_lo, v6, 30
	v_add_co_ci_u32_e64 v81, null, 0, v7, vcc_lo
	v_mov_b32_e32 v134, 0
	v_mov_b32_e32 v135, 0
	v_cmp_gt_i64_e32 vcc_lo, s[8:9], v[80:81]
	s_and_b32 s29, s1, vcc_lo
	s_and_saveexec_b32 s28, s29
	s_cbranch_execz .LBB120_70
; %bb.69:                               ;   in Loop: Header=BB120_5 Depth=1
	v_add_co_u32 v80, vcc_lo, v145, v4
	v_add_co_ci_u32_e64 v81, null, v146, v5, vcc_lo
	v_add_co_u32 v134, vcc_lo, v147, v4
	v_add_co_ci_u32_e64 v135, null, v148, v5, vcc_lo
	global_load_dwordx2 v[130:131], v[80:81], off
	global_load_dwordx2 v[134:135], v[134:135], off
.LBB120_70:                             ;   in Loop: Header=BB120_5 Depth=1
	s_or_b32 exec_lo, exec_lo, s28
	v_add_co_u32 v80, vcc_lo, v6, 31
	v_add_co_ci_u32_e64 v81, null, 0, v7, vcc_lo
	s_waitcnt vmcnt(0)
	v_mov_b32_e32 v26, v20
	v_mov_b32_e32 v25, v19
	v_cmp_gt_i64_e32 vcc_lo, s[8:9], v[80:81]
	v_mov_b32_e32 v80, 0
	v_mov_b32_e32 v81, 0
	s_and_b32 s29, s1, vcc_lo
	s_and_saveexec_b32 s28, s29
	s_cbranch_execz .LBB120_72
; %bb.71:                               ;   in Loop: Header=BB120_5 Depth=1
	v_add_co_u32 v80, vcc_lo, v141, v4
	v_add_co_ci_u32_e64 v81, null, v142, v5, vcc_lo
	v_add_co_u32 v19, vcc_lo, v143, v4
	v_add_co_ci_u32_e64 v20, null, v144, v5, vcc_lo
	global_load_dwordx2 v[80:81], v[80:81], off
	global_load_dwordx2 v[19:20], v[19:20], off
	s_waitcnt vmcnt(0)
	v_mul_f64 v[80:81], v[80:81], v[19:20]
.LBB120_72:                             ;   in Loop: Header=BB120_5 Depth=1
	s_or_b32 exec_lo, exec_lo, s28
	v_mul_f64 v[19:20], v[21:22], v[23:24]
	s_clause 0x3
	buffer_load_dword v21, off, s[36:39], 0 offset:12
	buffer_load_dword v22, off, s[36:39], 0 offset:16
	;; [unrolled: 1-line block ×4, first 2 shown]
	v_mul_f64 v[0:1], v[132:133], v[0:1]
	s_mov_b32 s28, 0
	s_waitcnt vmcnt(0)
	v_mul_f64 v[21:22], v[21:22], v[23:24]
	ds_bpermute_b32 v23, v3, v8
	ds_bpermute_b32 v24, v3, v9
	s_waitcnt lgkmcnt(0)
	v_fma_f64 v[19:20], v[19:20], v[23:24], v[126:127]
	ds_bpermute_b32 v23, v3, v8 offset:4
	ds_bpermute_b32 v24, v3, v9 offset:4
	s_waitcnt lgkmcnt(0)
	v_fma_f64 v[19:20], v[21:22], v[23:24], v[19:20]
	s_clause 0x1
	buffer_load_dword v21, off, s[36:39], 0
	buffer_load_dword v22, off, s[36:39], 0 offset:4
	ds_bpermute_b32 v23, v3, v8 offset:8
	ds_bpermute_b32 v24, v3, v9 offset:8
	s_waitcnt vmcnt(0)
	v_mul_f64 v[21:22], v[21:22], v[25:26]
	s_clause 0x3
	buffer_load_dword v25, off, s[36:39], 0 offset:36
	buffer_load_dword v26, off, s[36:39], 0 offset:40
	;; [unrolled: 1-line block ×4, first 2 shown]
	s_waitcnt lgkmcnt(0)
	v_fma_f64 v[19:20], v[21:22], v[23:24], v[19:20]
	s_clause 0x1
	buffer_load_dword v23, off, s[36:39], 0 offset:28
	buffer_load_dword v24, off, s[36:39], 0 offset:32
	ds_bpermute_b32 v21, v3, v8 offset:12
	ds_bpermute_b32 v22, v3, v9 offset:12
	s_waitcnt vmcnt(2)
	v_mul_f64 v[25:26], v[25:26], v[27:28]
	s_waitcnt lgkmcnt(0)
	v_fma_f64 v[19:20], v[25:26], v[21:22], v[19:20]
	s_clause 0x1
	buffer_load_dword v25, off, s[36:39], 0 offset:52
	buffer_load_dword v26, off, s[36:39], 0 offset:56
	s_waitcnt vmcnt(2)
	v_mul_f64 v[23:24], v[23:24], v[29:30]
	ds_bpermute_b32 v21, v3, v8 offset:16
	ds_bpermute_b32 v22, v3, v9 offset:16
	s_waitcnt lgkmcnt(0)
	v_fma_f64 v[19:20], v[23:24], v[21:22], v[19:20]
	ds_bpermute_b32 v21, v3, v8 offset:20
	ds_bpermute_b32 v22, v3, v9 offset:20
	v_mul_f64 v[23:24], v[31:32], v[36:37]
	s_waitcnt vmcnt(0)
	v_mul_f64 v[25:26], v[25:26], v[34:35]
	s_waitcnt lgkmcnt(0)
	v_fma_f64 v[19:20], v[25:26], v[21:22], v[19:20]
	ds_bpermute_b32 v21, v3, v8 offset:24
	ds_bpermute_b32 v22, v3, v9 offset:24
	v_mul_f64 v[25:26], v[40:41], v[42:43]
	s_waitcnt lgkmcnt(0)
	v_fma_f64 v[19:20], v[23:24], v[21:22], v[19:20]
	ds_bpermute_b32 v21, v3, v8 offset:28
	ds_bpermute_b32 v22, v3, v9 offset:28
	;; [unrolled: 5-line block ×23, first 2 shown]
	s_waitcnt lgkmcnt(0)
	v_fma_f64 v[19:20], v[23:24], v[21:22], v[19:20]
	ds_bpermute_b32 v21, v3, v8 offset:116
	ds_bpermute_b32 v22, v3, v9 offset:116
	s_waitcnt lgkmcnt(0)
	v_fma_f64 v[0:1], v[0:1], v[21:22], v[19:20]
	v_mul_f64 v[19:20], v[130:131], v[134:135]
	ds_bpermute_b32 v21, v3, v8 offset:120
	ds_bpermute_b32 v22, v3, v9 offset:120
	;; [unrolled: 1-line block ×4, first 2 shown]
	s_waitcnt lgkmcnt(2)
	v_fma_f64 v[0:1], v[19:20], v[21:22], v[0:1]
.LBB120_73:                             ;   in Loop: Header=BB120_5 Depth=1
	s_and_b32 vcc_lo, exec_lo, s28
	s_cbranch_vccz .LBB120_4
; %bb.74:                               ;   in Loop: Header=BB120_5 Depth=1
	s_load_dword s28, s[20:21], 0x0
	v_mov_b32_e32 v134, 0
	v_mov_b32_e32 v135, 0
	s_waitcnt lgkmcnt(0)
	s_cmp_lt_u32 s6, s28
	s_cselect_b32 s28, 12, 18
	s_add_u32 s28, s20, s28
	s_addc_u32 s29, s21, 0
	global_load_ushort v0, v3, s[28:29]
	s_clause 0x2
	buffer_load_dword v8, off, s[36:39], 0 offset:348
	buffer_load_dword v9, off, s[36:39], 0 offset:352
	;; [unrolled: 1-line block ×3, first 2 shown]
	s_mov_b32 s28, exec_lo
	s_waitcnt vmcnt(0)
	v_mad_u32_u24 v0, v8, v0, v1
	v_and_b32_e32 v0, 31, v0
	v_add_co_u32 v0, vcc_lo, v6, v0
	v_add_co_ci_u32_e64 v1, null, 0, v7, vcc_lo
	v_mov_b32_e32 v6, 0
	v_mov_b32_e32 v7, 0
	v_cmpx_gt_i64_e64 s[8:9], v[0:1]
	s_cbranch_execz .LBB120_76
; %bb.75:                               ;   in Loop: Header=BB120_5 Depth=1
	v_lshlrev_b64 v[0:1], 3, v[0:1]
	v_add_co_u32 v0, vcc_lo, s16, v0
	v_add_co_ci_u32_e64 v1, null, s17, v1, vcc_lo
	global_load_dwordx2 v[6:7], v[0:1], off
.LBB120_76:                             ;   in Loop: Header=BB120_5 Depth=1
	s_or_b32 exec_lo, exec_lo, s28
	v_mov_b32_e32 v8, 0
	v_mov_b32_e32 v9, 0
	s_and_saveexec_b32 s28, s1
	s_cbranch_execz .LBB120_78
; %bb.77:                               ;   in Loop: Header=BB120_5 Depth=1
	v_add_co_u32 v0, vcc_lo, v2, v4
	v_add_co_ci_u32_e64 v1, null, v138, v5, vcc_lo
	v_add_co_u32 v8, vcc_lo, v139, v4
	v_add_co_ci_u32_e64 v9, null, v140, v5, vcc_lo
	global_load_dwordx2 v[134:135], v[0:1], off
	global_load_dwordx2 v[8:9], v[8:9], off
.LBB120_78:                             ;   in Loop: Header=BB120_5 Depth=1
	s_or_b32 exec_lo, exec_lo, s28
	v_mov_b32_e32 v0, 0
	v_mov_b32_e32 v1, 0
	buffer_store_dword v0, off, s[36:39], 0 ; 4-byte Folded Spill
	buffer_store_dword v1, off, s[36:39], 0 offset:4 ; 4-byte Folded Spill
	v_mov_b32_e32 v0, 0
	v_mov_b32_e32 v1, 0
	buffer_store_dword v0, off, s[36:39], 0 offset:12 ; 4-byte Folded Spill
	buffer_store_dword v1, off, s[36:39], 0 offset:16 ; 4-byte Folded Spill
	v_mov_b32_e32 v0, 0
	v_mov_b32_e32 v1, 0
	buffer_store_dword v0, off, s[36:39], 0 offset:20 ; 4-byte Folded Spill
	buffer_store_dword v1, off, s[36:39], 0 offset:24 ; 4-byte Folded Spill
	s_and_saveexec_b32 s28, s1
	s_cbranch_execz .LBB120_80
; %bb.79:                               ;   in Loop: Header=BB120_5 Depth=1
	v_add_co_u32 v0, vcc_lo, v15, v4
	v_add_co_ci_u32_e64 v1, null, v16, v5, vcc_lo
	s_waitcnt vmcnt(0)
	v_mov_b32_e32 v20, v9
	v_mov_b32_e32 v19, v8
	v_add_co_u32 v8, vcc_lo, v17, v4
	global_load_dwordx2 v[0:1], v[0:1], off
	v_add_co_ci_u32_e64 v9, null, v18, v5, vcc_lo
	s_waitcnt vmcnt(0)
	buffer_store_dword v0, off, s[36:39], 0 offset:12 ; 4-byte Folded Spill
	buffer_store_dword v1, off, s[36:39], 0 offset:16 ; 4-byte Folded Spill
	global_load_dwordx2 v[0:1], v[8:9], off
	v_mov_b32_e32 v8, v19
	v_mov_b32_e32 v9, v20
	s_waitcnt vmcnt(0)
	buffer_store_dword v0, off, s[36:39], 0 offset:20 ; 4-byte Folded Spill
	buffer_store_dword v1, off, s[36:39], 0 offset:24 ; 4-byte Folded Spill
.LBB120_80:                             ;   in Loop: Header=BB120_5 Depth=1
	s_or_b32 exec_lo, exec_lo, s28
	v_mov_b32_e32 v0, 0
	v_mov_b32_e32 v1, 0
	buffer_store_dword v0, off, s[36:39], 0 offset:28 ; 4-byte Folded Spill
	buffer_store_dword v1, off, s[36:39], 0 offset:32 ; 4-byte Folded Spill
	s_and_saveexec_b32 s28, s1
	s_cbranch_execz .LBB120_82
; %bb.81:                               ;   in Loop: Header=BB120_5 Depth=1
	v_add_co_u32 v0, vcc_lo, v11, v4
	v_add_co_ci_u32_e64 v1, null, v12, v5, vcc_lo
	v_add_co_u32 v19, vcc_lo, v13, v4
	v_add_co_ci_u32_e64 v20, null, v14, v5, vcc_lo
	global_load_dwordx2 v[0:1], v[0:1], off
	s_waitcnt vmcnt(0)
	buffer_store_dword v0, off, s[36:39], 0 ; 4-byte Folded Spill
	buffer_store_dword v1, off, s[36:39], 0 offset:4 ; 4-byte Folded Spill
	global_load_dwordx2 v[0:1], v[19:20], off
	s_waitcnt vmcnt(0)
	buffer_store_dword v0, off, s[36:39], 0 offset:28 ; 4-byte Folded Spill
	buffer_store_dword v1, off, s[36:39], 0 offset:32 ; 4-byte Folded Spill
.LBB120_82:                             ;   in Loop: Header=BB120_5 Depth=1
	s_or_b32 exec_lo, exec_lo, s28
	v_mov_b32_e32 v19, 0
	v_mov_b32_e32 v21, 0
	;; [unrolled: 1-line block ×6, first 2 shown]
	buffer_store_dword v0, off, s[36:39], 0 offset:36 ; 4-byte Folded Spill
	buffer_store_dword v1, off, s[36:39], 0 offset:40 ; 4-byte Folded Spill
	s_and_saveexec_b32 s28, s1
	s_cbranch_execz .LBB120_84
; %bb.83:                               ;   in Loop: Header=BB120_5 Depth=1
	v_add_co_u32 v0, vcc_lo, v253, v4
	v_add_co_ci_u32_e64 v1, null, v254, v5, vcc_lo
	v_add_co_u32 v24, vcc_lo, v255, v4
	v_add_co_ci_u32_e64 v25, null, v10, v5, vcc_lo
	global_load_dwordx2 v[21:22], v[0:1], off
	global_load_dwordx2 v[0:1], v[24:25], off
	s_waitcnt vmcnt(0)
	buffer_store_dword v0, off, s[36:39], 0 offset:36 ; 4-byte Folded Spill
	buffer_store_dword v1, off, s[36:39], 0 offset:40 ; 4-byte Folded Spill
.LBB120_84:                             ;   in Loop: Header=BB120_5 Depth=1
	s_or_b32 exec_lo, exec_lo, s28
	v_mov_b32_e32 v26, 0
	v_mov_b32_e32 v27, 0
	s_and_saveexec_b32 s28, s1
	s_cbranch_execz .LBB120_86
; %bb.85:                               ;   in Loop: Header=BB120_5 Depth=1
	v_add_co_u32 v0, vcc_lo, v249, v4
	v_add_co_ci_u32_e64 v1, null, v250, v5, vcc_lo
	v_add_co_u32 v26, vcc_lo, v251, v4
	v_add_co_ci_u32_e64 v27, null, v252, v5, vcc_lo
	global_load_dwordx2 v[19:20], v[0:1], off
	global_load_dwordx2 v[26:27], v[26:27], off
.LBB120_86:                             ;   in Loop: Header=BB120_5 Depth=1
	s_or_b32 exec_lo, exec_lo, s28
	v_mov_b32_e32 v28, 0
	v_mov_b32_e32 v30, 0
	v_mov_b32_e32 v32, 0
	v_mov_b32_e32 v29, 0
	v_mov_b32_e32 v31, 0
	v_mov_b32_e32 v33, 0
	s_and_saveexec_b32 s28, s1
	s_cbranch_execz .LBB120_88
; %bb.87:                               ;   in Loop: Header=BB120_5 Depth=1
	v_add_co_u32 v0, vcc_lo, v245, v4
	v_add_co_ci_u32_e64 v1, null, v246, v5, vcc_lo
	v_add_co_u32 v32, vcc_lo, v247, v4
	v_add_co_ci_u32_e64 v33, null, v248, v5, vcc_lo
	global_load_dwordx2 v[30:31], v[0:1], off
	global_load_dwordx2 v[32:33], v[32:33], off
.LBB120_88:                             ;   in Loop: Header=BB120_5 Depth=1
	s_or_b32 exec_lo, exec_lo, s28
	v_mov_b32_e32 v34, 0
	v_mov_b32_e32 v35, 0
	s_and_saveexec_b32 s28, s1
	s_cbranch_execz .LBB120_90
; %bb.89:                               ;   in Loop: Header=BB120_5 Depth=1
	v_add_co_u32 v0, vcc_lo, v241, v4
	v_add_co_ci_u32_e64 v1, null, v242, v5, vcc_lo
	v_add_co_u32 v34, vcc_lo, v243, v4
	v_add_co_ci_u32_e64 v35, null, v244, v5, vcc_lo
	global_load_dwordx2 v[28:29], v[0:1], off
	global_load_dwordx2 v[34:35], v[34:35], off
.LBB120_90:                             ;   in Loop: Header=BB120_5 Depth=1
	s_or_b32 exec_lo, exec_lo, s28
	v_mov_b32_e32 v36, 0
	v_mov_b32_e32 v38, 0
	v_mov_b32_e32 v40, 0
	v_mov_b32_e32 v37, 0
	v_mov_b32_e32 v39, 0
	v_mov_b32_e32 v41, 0
	s_and_saveexec_b32 s28, s1
	s_cbranch_execz .LBB120_92
; %bb.91:                               ;   in Loop: Header=BB120_5 Depth=1
	v_add_co_u32 v0, vcc_lo, v237, v4
	v_add_co_ci_u32_e64 v1, null, v238, v5, vcc_lo
	v_add_co_u32 v40, vcc_lo, v239, v4
	v_add_co_ci_u32_e64 v41, null, v240, v5, vcc_lo
	global_load_dwordx2 v[38:39], v[0:1], off
	global_load_dwordx2 v[40:41], v[40:41], off
.LBB120_92:                             ;   in Loop: Header=BB120_5 Depth=1
	;; [unrolled: 30-line block ×3, first 2 shown]
	s_or_b32 exec_lo, exec_lo, s28
	v_mov_b32_e32 v50, 0
	v_mov_b32_e32 v51, 0
	s_and_saveexec_b32 s28, s1
	s_cbranch_execz .LBB120_98
; %bb.97:                               ;   in Loop: Header=BB120_5 Depth=1
	v_add_co_u32 v0, vcc_lo, v225, v4
	v_add_co_ci_u32_e64 v1, null, v226, v5, vcc_lo
	v_add_co_u32 v50, vcc_lo, v227, v4
	v_add_co_ci_u32_e64 v51, null, v228, v5, vcc_lo
	global_load_dwordx2 v[44:45], v[0:1], off
	global_load_dwordx2 v[50:51], v[50:51], off
.LBB120_98:                             ;   in Loop: Header=BB120_5 Depth=1
	s_or_b32 exec_lo, exec_lo, s28
	v_mov_b32_e32 v52, 0
	v_mov_b32_e32 v54, 0
	v_mov_b32_e32 v56, 0
	v_mov_b32_e32 v53, 0
	v_mov_b32_e32 v55, 0
	v_mov_b32_e32 v57, 0
	s_and_saveexec_b32 s28, s1
	s_cbranch_execz .LBB120_100
; %bb.99:                               ;   in Loop: Header=BB120_5 Depth=1
	v_add_co_u32 v0, vcc_lo, v221, v4
	v_add_co_ci_u32_e64 v1, null, v222, v5, vcc_lo
	v_add_co_u32 v56, vcc_lo, v223, v4
	v_add_co_ci_u32_e64 v57, null, v224, v5, vcc_lo
	global_load_dwordx2 v[54:55], v[0:1], off
	global_load_dwordx2 v[56:57], v[56:57], off
.LBB120_100:                            ;   in Loop: Header=BB120_5 Depth=1
	s_or_b32 exec_lo, exec_lo, s28
	v_mov_b32_e32 v58, 0
	v_mov_b32_e32 v59, 0
	s_and_saveexec_b32 s28, s1
	s_cbranch_execz .LBB120_102
; %bb.101:                              ;   in Loop: Header=BB120_5 Depth=1
	v_add_co_u32 v0, vcc_lo, v217, v4
	v_add_co_ci_u32_e64 v1, null, v218, v5, vcc_lo
	v_add_co_u32 v58, vcc_lo, v219, v4
	v_add_co_ci_u32_e64 v59, null, v220, v5, vcc_lo
	global_load_dwordx2 v[52:53], v[0:1], off
	global_load_dwordx2 v[58:59], v[58:59], off
.LBB120_102:                            ;   in Loop: Header=BB120_5 Depth=1
	s_or_b32 exec_lo, exec_lo, s28
	v_mov_b32_e32 v60, 0
	v_mov_b32_e32 v62, 0
	v_mov_b32_e32 v64, 0
	v_mov_b32_e32 v61, 0
	v_mov_b32_e32 v63, 0
	v_mov_b32_e32 v65, 0
	s_and_saveexec_b32 s28, s1
	s_cbranch_execz .LBB120_104
; %bb.103:                              ;   in Loop: Header=BB120_5 Depth=1
	v_add_co_u32 v0, vcc_lo, v213, v4
	v_add_co_ci_u32_e64 v1, null, v214, v5, vcc_lo
	v_add_co_u32 v64, vcc_lo, v215, v4
	v_add_co_ci_u32_e64 v65, null, v216, v5, vcc_lo
	global_load_dwordx2 v[62:63], v[0:1], off
	global_load_dwordx2 v[64:65], v[64:65], off
.LBB120_104:                            ;   in Loop: Header=BB120_5 Depth=1
	s_or_b32 exec_lo, exec_lo, s28
	v_mov_b32_e32 v66, 0
	v_mov_b32_e32 v67, 0
	s_and_saveexec_b32 s28, s1
	s_cbranch_execz .LBB120_106
; %bb.105:                              ;   in Loop: Header=BB120_5 Depth=1
	v_add_co_u32 v0, vcc_lo, v209, v4
	v_add_co_ci_u32_e64 v1, null, v210, v5, vcc_lo
	v_add_co_u32 v66, vcc_lo, v211, v4
	v_add_co_ci_u32_e64 v67, null, v212, v5, vcc_lo
	global_load_dwordx2 v[60:61], v[0:1], off
	global_load_dwordx2 v[66:67], v[66:67], off
.LBB120_106:                            ;   in Loop: Header=BB120_5 Depth=1
	s_or_b32 exec_lo, exec_lo, s28
	v_mov_b32_e32 v68, 0
	v_mov_b32_e32 v70, 0
	v_mov_b32_e32 v72, 0
	v_mov_b32_e32 v69, 0
	v_mov_b32_e32 v71, 0
	v_mov_b32_e32 v73, 0
	s_and_saveexec_b32 s28, s1
	s_cbranch_execz .LBB120_108
; %bb.107:                              ;   in Loop: Header=BB120_5 Depth=1
	v_add_co_u32 v0, vcc_lo, v205, v4
	v_add_co_ci_u32_e64 v1, null, v206, v5, vcc_lo
	v_add_co_u32 v72, vcc_lo, v207, v4
	v_add_co_ci_u32_e64 v73, null, v208, v5, vcc_lo
	global_load_dwordx2 v[70:71], v[0:1], off
	global_load_dwordx2 v[72:73], v[72:73], off
.LBB120_108:                            ;   in Loop: Header=BB120_5 Depth=1
	;; [unrolled: 30-line block ×9, first 2 shown]
	s_or_b32 exec_lo, exec_lo, s28
	v_mov_b32_e32 v132, 0
	v_mov_b32_e32 v133, 0
	s_and_saveexec_b32 s28, s1
	s_cbranch_execz .LBB120_138
; %bb.137:                              ;   in Loop: Header=BB120_5 Depth=1
	v_add_co_u32 v80, vcc_lo, v145, v4
	v_add_co_ci_u32_e64 v81, null, v146, v5, vcc_lo
	v_add_co_u32 v132, vcc_lo, v147, v4
	v_add_co_ci_u32_e64 v133, null, v148, v5, vcc_lo
	global_load_dwordx2 v[128:129], v[80:81], off
	global_load_dwordx2 v[132:133], v[132:133], off
.LBB120_138:                            ;   in Loop: Header=BB120_5 Depth=1
	s_or_b32 exec_lo, exec_lo, s28
	s_waitcnt vmcnt(1)
	v_mov_b32_e32 v24, v20
	v_mov_b32_e32 v80, 0
	;; [unrolled: 1-line block ×4, first 2 shown]
	s_and_saveexec_b32 s28, s1
	s_cbranch_execz .LBB120_3
; %bb.139:                              ;   in Loop: Header=BB120_5 Depth=1
	v_add_co_u32 v80, vcc_lo, v141, v4
	v_mov_b32_e32 v19, v134
	v_mov_b32_e32 v20, v135
	s_waitcnt vmcnt(0)
	v_mov_b32_e32 v135, v9
	v_add_co_ci_u32_e64 v81, null, v142, v5, vcc_lo
	v_mov_b32_e32 v134, v8
	v_add_co_u32 v8, vcc_lo, v143, v4
	v_add_co_ci_u32_e64 v9, null, v144, v5, vcc_lo
	global_load_dwordx2 v[80:81], v[80:81], off
	global_load_dwordx2 v[8:9], v[8:9], off
	s_waitcnt vmcnt(0)
	v_mul_f64 v[80:81], v[80:81], v[8:9]
	v_mov_b32_e32 v8, v134
	v_mov_b32_e32 v9, v135
	;; [unrolled: 1-line block ×4, first 2 shown]
	s_branch .LBB120_3
.LBB120_140:
                                        ; implicit-def: $vgpr126_vgpr127
	s_load_dwordx2 s[2:3], s[4:5], 0x30
	s_branch .LBB120_142
.LBB120_141:
	s_load_dwordx2 s[2:3], s[4:5], 0x30
	s_cbranch_execnz .LBB120_218
.LBB120_142:
	v_mov_b32_e32 v126, 0
	v_mov_b32_e32 v127, 0
	s_andn2_b32 vcc_lo, exec_lo, s26
	s_cbranch_vccnz .LBB120_218
; %bb.143:
	s_clause 0x1
	buffer_load_dword v0, off, s[36:39], 0 offset:348
	buffer_load_dword v1, off, s[36:39], 0 offset:352
	s_add_u32 s20, s4, 64
	s_addc_u32 s21, s5, 0
	s_lshl_b64 s[22:23], s[18:19], 3
	s_waitcnt vmcnt(0)
	v_lshlrev_b32_e32 v1, 5, v0
	v_lshlrev_b32_e32 v2, 8, v0
	v_add_co_u32 v0, s1, v1, s18
	buffer_store_dword v1, off, s[36:39], 0 ; 4-byte Folded Spill
	v_add_co_ci_u32_e64 v1, null, 0, 0, s1
	v_add_co_u32 v122, s1, v2, s22
	v_add_co_ci_u32_e64 v123, null, 0, s23, s1
	v_mul_lo_u32 v12, s11, v0
	v_add_co_u32 v20, vcc_lo, v122, 8
	v_add_co_ci_u32_e64 v4, null, 0, v123, vcc_lo
	v_add_co_u32 v22, vcc_lo, v122, 16
	v_add_co_ci_u32_e64 v6, null, 0, v123, vcc_lo
	;; [unrolled: 2-line block ×5, first 2 shown]
	v_add_co_u32 v38, vcc_lo, v122, 48
	v_mad_u64_u32 v[2:3], null, s10, v20, s[12:13]
	v_mul_lo_u32 v36, s10, v14
	v_add_co_ci_u32_e64 v14, null, 0, v123, vcc_lo
	v_add_co_u32 v39, vcc_lo, v122, 56
	v_add_co_ci_u32_e64 v16, null, 0, v123, vcc_lo
	v_add_co_u32 v43, vcc_lo, v122, 64
	;; [unrolled: 2-line block ×3, first 2 shown]
	v_add_co_ci_u32_e64 v21, null, 0, v123, vcc_lo
	v_mul_lo_u32 v24, s10, v4
	v_mul_lo_u32 v25, s11, v20
	v_mad_u64_u32 v[4:5], null, s10, v22, s[12:13]
	v_mul_lo_u32 v27, s10, v6
	v_mul_lo_u32 v28, s11, v22
	;; [unrolled: 1-line block ×3, first 2 shown]
	v_mad_u64_u32 v[20:21], null, s10, v20, s[14:15]
	v_mad_u64_u32 v[22:23], null, s10, v22, s[14:15]
	;; [unrolled: 1-line block ×3, first 2 shown]
	v_mul_lo_u32 v32, s10, v8
	v_mul_lo_u32 v33, s11, v26
	v_mad_u64_u32 v[8:9], null, s10, v29, s[12:13]
	v_mul_lo_u32 v34, s10, v10
	v_mul_lo_u32 v35, s11, v29
	v_add3_u32 v3, v25, v3, v24
	v_add3_u32 v5, v28, v5, v27
	;; [unrolled: 1-line block ×4, first 2 shown]
	v_mad_u64_u32 v[24:25], null, s10, v26, s[14:15]
	v_mad_u64_u32 v[26:27], null, s10, v29, s[14:15]
	v_mul_lo_u32 v13, s10, v1
	v_mad_u64_u32 v[126:127], null, s10, v0, 0
	v_mad_u64_u32 v[10:11], null, s10, v30, s[12:13]
	v_mul_lo_u32 v37, s11, v30
	v_add3_u32 v9, v35, v9, v34
	v_mul_lo_u32 v40, s10, v14
	v_mad_u64_u32 v[14:15], null, s10, v39, s[12:13]
	v_mul_lo_u32 v42, s10, v16
	v_mul_lo_u32 v44, s11, v39
	v_mad_u64_u32 v[28:29], null, s10, v30, s[14:15]
	v_add3_u32 v27, v35, v27, v34
	v_mad_u64_u32 v[34:35], null, s10, v39, s[14:15]
	v_add_co_u32 v50, vcc_lo, 0x50, v122
	v_add_co_ci_u32_e64 v51, null, 0, v123, vcc_lo
	v_add3_u32 v127, v127, v13, v12
	v_add3_u32 v7, v33, v7, v32
	v_mad_u64_u32 v[12:13], null, s10, v38, s[12:13]
	v_mul_lo_u32 v41, s11, v38
	v_mul_lo_u32 v46, s10, v18
	v_mad_u64_u32 v[18:19], null, s10, v45, s[12:13]
	v_mul_lo_u32 v49, s11, v45
	v_add3_u32 v25, v33, v25, v32
	v_mad_u64_u32 v[32:33], null, s10, v38, s[14:15]
	v_mad_u64_u32 v[38:39], null, s10, v45, s[14:15]
	v_add3_u32 v11, v37, v11, v36
	v_mad_u64_u32 v[16:17], null, s10, v43, s[12:13]
	v_mul_lo_u32 v47, s11, v43
	v_add3_u32 v15, v44, v15, v42
	v_mad_u64_u32 v[30:31], null, s10, v50, s[12:13]
	v_mul_lo_u32 v51, s10, v51
	v_mul_lo_u32 v52, s11, v50
	v_add3_u32 v29, v37, v29, v36
	v_add_co_u32 v53, vcc_lo, 0x58, v122
	v_mad_u64_u32 v[36:37], null, s10, v43, s[14:15]
	v_add3_u32 v35, v44, v35, v42
	v_mad_u64_u32 v[42:43], null, s10, v50, s[14:15]
	v_add_co_ci_u32_e64 v54, null, 0, v123, vcc_lo
	v_add3_u32 v19, v49, v19, v48
	v_add3_u32 v39, v49, v39, v48
	v_add_co_u32 v48, vcc_lo, 0x60, v122
	v_add3_u32 v13, v41, v13, v40
	v_add3_u32 v33, v41, v33, v40
	v_mad_u64_u32 v[40:41], null, s10, v53, s[12:13]
	v_mul_lo_u32 v54, s10, v54
	v_mul_lo_u32 v55, s11, v53
	v_mad_u64_u32 v[44:45], null, s10, v53, s[14:15]
	v_add3_u32 v31, v52, v31, v51
	v_add_co_ci_u32_e64 v49, null, 0, v123, vcc_lo
	v_add3_u32 v43, v52, v43, v51
	v_add_co_u32 v52, vcc_lo, 0x68, v122
	v_add_co_ci_u32_e64 v50, null, 0, v123, vcc_lo
	v_add_co_u32 v58, vcc_lo, 0x70, v122
	v_add_co_ci_u32_e64 v59, null, 0, v123, vcc_lo
	v_add3_u32 v17, v47, v17, v46
	v_add3_u32 v37, v47, v37, v46
	;; [unrolled: 1-line block ×3, first 2 shown]
	v_mad_u64_u32 v[46:47], null, s10, v48, s[12:13]
	v_mul_lo_u32 v56, s10, v49
	v_add3_u32 v45, v55, v45, v54
	v_mul_lo_u32 v54, s11, v48
	v_mad_u64_u32 v[48:49], null, s10, v48, s[14:15]
	v_mul_lo_u32 v55, s10, v50
	v_mul_lo_u32 v57, s11, v52
	v_mad_u64_u32 v[50:51], null, s10, v52, s[12:13]
	v_mad_u64_u32 v[52:53], null, s10, v52, s[14:15]
	v_add_co_u32 v60, vcc_lo, 0x78, v122
	v_mul_lo_u32 v62, s10, v59
	v_add_co_ci_u32_e64 v59, null, 0, v123, vcc_lo
	v_add_co_u32 v66, vcc_lo, 0x80, v122
	v_add_co_ci_u32_e64 v67, null, 0, v123, vcc_lo
	v_add3_u32 v47, v54, v47, v56
	v_add3_u32 v49, v54, v49, v56
	v_add3_u32 v51, v57, v51, v55
	v_add3_u32 v53, v57, v53, v55
	v_mul_lo_u32 v63, s11, v58
	v_mad_u64_u32 v[54:55], null, s10, v58, s[12:13]
	v_mad_u64_u32 v[56:57], null, s10, v58, s[14:15]
	v_mul_lo_u32 v64, s10, v59
	v_mul_lo_u32 v65, s11, v60
	v_mad_u64_u32 v[58:59], null, s10, v60, s[12:13]
	v_mad_u64_u32 v[60:61], null, s10, v60, s[14:15]
	v_add_co_u32 v68, vcc_lo, 0x88, v122
	v_mul_lo_u32 v70, s10, v67
	v_add_co_ci_u32_e64 v67, null, 0, v123, vcc_lo
	v_add_co_u32 v74, vcc_lo, 0x90, v122
	v_add_co_ci_u32_e64 v75, null, 0, v123, vcc_lo
	v_add3_u32 v55, v63, v55, v62
	v_add3_u32 v57, v63, v57, v62
	v_add3_u32 v59, v65, v59, v64
	v_add3_u32 v61, v65, v61, v64
	v_mul_lo_u32 v71, s11, v66
	v_mad_u64_u32 v[62:63], null, s10, v66, s[12:13]
	;; [unrolled: 16-line block ×6, first 2 shown]
	v_mad_u64_u32 v[96:97], null, s10, v98, s[14:15]
	v_mul_lo_u32 v104, s10, v99
	v_mul_lo_u32 v105, s11, v100
	v_mad_u64_u32 v[98:99], null, s10, v100, s[12:13]
	v_mad_u64_u32 v[100:101], null, s10, v100, s[14:15]
	v_add_co_u32 v108, vcc_lo, 0xd8, v122
	v_mul_lo_u32 v110, s10, v107
	v_add_co_ci_u32_e64 v107, null, 0, v123, vcc_lo
	v_add3_u32 v95, v103, v95, v102
	v_add3_u32 v97, v103, v97, v102
	;; [unrolled: 1-line block ×4, first 2 shown]
	v_mul_lo_u32 v111, s11, v106
	v_mad_u64_u32 v[102:103], null, s10, v106, s[12:13]
	v_mad_u64_u32 v[104:105], null, s10, v106, s[14:15]
	v_mul_lo_u32 v112, s10, v107
	v_mul_lo_u32 v113, s11, v108
	v_mad_u64_u32 v[106:107], null, s10, v108, s[12:13]
	v_mad_u64_u32 v[108:109], null, s10, v108, s[14:15]
	v_add_co_u32 v114, vcc_lo, 0xe0, v122
	v_add_co_ci_u32_e64 v115, null, 0, v123, vcc_lo
	v_add3_u32 v103, v111, v103, v110
	v_add3_u32 v105, v111, v105, v110
	;; [unrolled: 1-line block ×4, first 2 shown]
	v_mul_lo_u32 v115, s10, v115
	v_mul_lo_u32 v116, s11, v114
	v_mad_u64_u32 v[110:111], null, s10, v114, s[12:13]
	v_mad_u64_u32 v[112:113], null, s10, v114, s[14:15]
	s_load_dword s1, s[4:5], 0x44
	s_mov_b64 s[22:23], s[18:19]
	v_add3_u32 v111, v116, v111, v115
	v_add3_u32 v113, v116, v113, v115
	v_add_co_u32 v116, vcc_lo, 0xe8, v122
	v_add_co_ci_u32_e64 v114, null, 0, v123, vcc_lo
	v_add_co_u32 v120, vcc_lo, 0xf0, v122
	v_mul_lo_u32 v119, s11, v116
	v_mul_lo_u32 v118, s10, v114
	v_mad_u64_u32 v[114:115], null, s10, v116, s[12:13]
	v_mad_u64_u32 v[116:117], null, s10, v116, s[14:15]
	v_mul_lo_u32 v125, s11, v120
	s_waitcnt lgkmcnt(0)
	s_lshl_b32 s1, s1, 5
	v_add3_u32 v115, v119, v115, v118
	v_add3_u32 v117, v119, v117, v118
	v_add_co_ci_u32_e64 v118, null, 0, v123, vcc_lo
	v_mul_lo_u32 v124, s10, v118
	v_mad_u64_u32 v[118:119], null, s10, v120, s[12:13]
	v_mad_u64_u32 v[120:121], null, s10, v120, s[14:15]
	v_add3_u32 v119, v125, v119, v124
	v_add3_u32 v121, v125, v121, v124
	v_add_co_u32 v124, vcc_lo, 0xf8, v122
	v_add_co_ci_u32_e64 v122, null, 0, v123, vcc_lo
	v_mul_lo_u32 v129, s11, v124
	v_mul_lo_u32 v128, s10, v122
	v_mad_u64_u32 v[122:123], null, s10, v124, s[12:13]
	v_mad_u64_u32 v[124:125], null, s10, v124, s[14:15]
	v_add3_u32 v123, v129, v123, v128
	v_add3_u32 v125, v129, v125, v128
	v_add_co_u32 v128, vcc_lo, v0, 31
	v_add_co_ci_u32_e64 v129, null, 0, v1, vcc_lo
	v_mul_lo_u32 v131, s11, v128
	v_mul_lo_u32 v130, s10, v129
	v_mad_u64_u32 v[128:129], null, s10, v128, 0
	v_add3_u32 v129, v129, v130, v131
	v_add_co_u32 v130, vcc_lo, v0, 30
	v_add_co_ci_u32_e64 v131, null, 0, v1, vcc_lo
	v_mul_lo_u32 v133, s11, v130
	v_mul_lo_u32 v132, s10, v131
	v_mad_u64_u32 v[130:131], null, s10, v130, 0
	;; [unrolled: 6-line block ×4, first 2 shown]
	v_add3_u32 v135, v135, v136, v137
	v_add_co_u32 v136, vcc_lo, v0, 27
	v_add_co_ci_u32_e64 v137, null, 0, v1, vcc_lo
	v_mul_lo_u32 v138, s11, v136
	v_mad_u64_u32 v[141:142], null, s10, v136, 0
	v_mul_lo_u32 v137, s10, v137
	v_add_co_u32 v136, vcc_lo, v0, 26
	v_mad_u64_u32 v[143:144], null, s10, v136, 0
	v_add3_u32 v142, v142, v137, v138
	v_add_co_ci_u32_e64 v137, null, 0, v1, vcc_lo
	v_mul_lo_u32 v138, s11, v136
	v_add_co_u32 v136, vcc_lo, v0, 25
	v_mul_lo_u32 v137, s10, v137
	v_mad_u64_u32 v[145:146], null, s10, v136, 0
	v_add3_u32 v144, v144, v137, v138
	v_add_co_ci_u32_e64 v137, null, 0, v1, vcc_lo
	v_mul_lo_u32 v138, s11, v136
	v_add_co_u32 v136, vcc_lo, v0, 24
	v_mul_lo_u32 v137, s10, v137
	;; [unrolled: 6-line block ×24, first 2 shown]
	v_add_co_ci_u32_e64 v1, null, 0, v1, vcc_lo
	v_add_co_u32 v199, vcc_lo, v126, s10
	v_add_co_ci_u32_e64 v200, null, s11, v127, vcc_lo
	v_mul_lo_u32 v136, s10, v1
	v_add3_u32 v192, v192, v137, v138
	v_mul_lo_u32 v137, s11, v0
	v_mad_u64_u32 v[0:1], null, s10, v0, 0
	v_lshlrev_b64 v[126:127], 3, v[126:127]
	v_add3_u32 v1, v1, v136, v137
	v_add_co_u32 v137, vcc_lo, s12, v126
	v_add_co_ci_u32_e64 v138, null, s13, v127, vcc_lo
	v_add_co_u32 v139, vcc_lo, s14, v126
	v_add_co_ci_u32_e64 v140, null, s15, v127, vcc_lo
	v_lshlrev_b64 v[126:127], 3, v[128:129]
	v_lshlrev_b64 v[0:1], 3, v[0:1]
	v_add_co_u32 v128, vcc_lo, s12, v126
	buffer_store_dword v128, off, s[36:39], 0 offset:12 ; 4-byte Folded Spill
	v_add_co_ci_u32_e64 v128, null, s13, v127, vcc_lo
	v_add_co_u32 v126, vcc_lo, s14, v126
	buffer_store_dword v128, off, s[36:39], 0 offset:20 ; 4-byte Folded Spill
	buffer_store_dword v126, off, s[36:39], 0 offset:28 ; 4-byte Folded Spill
	v_add_co_ci_u32_e64 v126, null, s15, v127, vcc_lo
	buffer_store_dword v126, off, s[36:39], 0 offset:36 ; 4-byte Folded Spill
	v_lshlrev_b64 v[126:127], 3, v[130:131]
	v_add_co_u32 v128, vcc_lo, s12, v126
	buffer_store_dword v128, off, s[36:39], 0 offset:44 ; 4-byte Folded Spill
	v_add_co_ci_u32_e64 v128, null, s13, v127, vcc_lo
	v_add_co_u32 v126, vcc_lo, s14, v126
	buffer_store_dword v128, off, s[36:39], 0 offset:52 ; 4-byte Folded Spill
	buffer_store_dword v126, off, s[36:39], 0 offset:60 ; 4-byte Folded Spill
	v_add_co_ci_u32_e64 v126, null, s15, v127, vcc_lo
	buffer_store_dword v126, off, s[36:39], 0 offset:64 ; 4-byte Folded Spill
	;; [unrolled: 9-line block ×9, first 2 shown]
	v_lshlrev_b64 v[126:127], 3, v[151:152]
	v_mov_b32_e32 v150, 0
	v_mov_b32_e32 v151, 0
	v_add_co_u32 v128, vcc_lo, s12, v126
	buffer_store_dword v128, off, s[36:39], 0 offset:180 ; 4-byte Folded Spill
	v_add_co_ci_u32_e64 v128, null, s13, v127, vcc_lo
	v_add_co_u32 v126, vcc_lo, s14, v126
	buffer_store_dword v128, off, s[36:39], 0 offset:184 ; 4-byte Folded Spill
	buffer_store_dword v126, off, s[36:39], 0 offset:188 ; 4-byte Folded Spill
	v_add_co_ci_u32_e64 v126, null, s15, v127, vcc_lo
	buffer_store_dword v126, off, s[36:39], 0 offset:192 ; 4-byte Folded Spill
	v_lshlrev_b64 v[126:127], 3, v[153:154]
	v_add_co_u32 v128, vcc_lo, s12, v126
	buffer_store_dword v128, off, s[36:39], 0 offset:196 ; 4-byte Folded Spill
	v_add_co_ci_u32_e64 v128, null, s13, v127, vcc_lo
	v_add_co_u32 v126, vcc_lo, s14, v126
	buffer_store_dword v128, off, s[36:39], 0 offset:200 ; 4-byte Folded Spill
	buffer_store_dword v126, off, s[36:39], 0 offset:204 ; 4-byte Folded Spill
	v_add_co_ci_u32_e64 v126, null, s15, v127, vcc_lo
	buffer_store_dword v126, off, s[36:39], 0 offset:208 ; 4-byte Folded Spill
	v_lshlrev_b64 v[126:127], 3, v[155:156]
	;; [unrolled: 9-line block ×10, first 2 shown]
	v_add_co_u32 v128, vcc_lo, s12, v126
	buffer_store_dword v128, off, s[36:39], 0 offset:340 ; 4-byte Folded Spill
	v_add_co_ci_u32_e64 v128, null, s13, v127, vcc_lo
	v_add_co_u32 v158, vcc_lo, s14, v126
	v_add_co_ci_u32_e64 v159, null, s15, v127, vcc_lo
	v_lshlrev_b64 v[126:127], 3, v[173:174]
	buffer_store_dword v128, off, s[36:39], 0 offset:344 ; 4-byte Folded Spill
	v_mov_b32_e32 v128, 0
	v_add_co_u32 v160, vcc_lo, s12, v126
	v_add_co_ci_u32_e64 v161, null, s13, v127, vcc_lo
	v_add_co_u32 v162, vcc_lo, s14, v126
	v_add_co_ci_u32_e64 v163, null, s15, v127, vcc_lo
	v_lshlrev_b64 v[126:127], 3, v[175:176]
	v_mov_b32_e32 v143, v128
	v_add_co_u32 v164, vcc_lo, s12, v126
	v_add_co_ci_u32_e64 v165, null, s13, v127, vcc_lo
	v_add_co_u32 v166, vcc_lo, s14, v126
	v_add_co_ci_u32_e64 v167, null, s15, v127, vcc_lo
	v_lshlrev_b64 v[126:127], 3, v[177:178]
	v_add_co_u32 v168, vcc_lo, s12, v126
	v_add_co_ci_u32_e64 v169, null, s13, v127, vcc_lo
	v_add_co_u32 v170, vcc_lo, s14, v126
	v_add_co_ci_u32_e64 v171, null, s15, v127, vcc_lo
	v_lshlrev_b64 v[126:127], 3, v[179:180]
	;; [unrolled: 5-line block ×7, first 2 shown]
	v_add_co_u32 v191, vcc_lo, s12, v126
	v_add_co_ci_u32_e64 v192, null, s13, v127, vcc_lo
	v_add_co_u32 v193, vcc_lo, s14, v126
	v_add_co_ci_u32_e64 v194, null, s15, v127, vcc_lo
	;; [unrolled: 2-line block ×4, first 2 shown]
	v_lshlrev_b64 v[0:1], 3, v[199:200]
	v_add_co_u32 v199, vcc_lo, s12, v0
	v_add_co_ci_u32_e64 v200, null, s13, v1, vcc_lo
	v_add_co_u32 v141, vcc_lo, s14, v0
	buffer_load_dword v0, off, s[36:39], 0 offset:8 ; 4-byte Folded Reload
	s_mul_i32 s12, s11, s1
	s_mul_hi_u32 s13, s10, s1
	v_add_co_ci_u32_e64 v142, null, s15, v1, vcc_lo
	s_add_i32 s13, s13, s12
	s_mul_i32 s12, s10, s1
	s_mov_b64 s[14:15], 31
	s_lshl_b64 s[12:13], s[12:13], 3
	s_waitcnt vmcnt(0)
	v_add_nc_u32_e32 v127, s7, v0
	v_lshlrev_b64 v[129:130], 3, v[127:128]
.LBB120_144:                            ; =>This Inner Loop Header: Depth=1
	buffer_load_dword v0, off, s[36:39], 0  ; 4-byte Folded Reload
	s_add_u32 s24, s18, s14
	s_addc_u32 s25, 0, s15
                                        ; implicit-def: $vgpr126_vgpr127
	v_cmp_ge_i64_e64 s7, s[24:25], s[8:9]
	s_waitcnt vmcnt(0)
	v_add_co_u32 v133, vcc_lo, s18, v0
	v_add_co_ci_u32_e64 v134, null, 0, v143, vcc_lo
	s_and_b32 vcc_lo, exec_lo, s7
	s_mov_b32 s7, -1
	s_cbranch_vccz .LBB120_212
; %bb.145:                              ;   in Loop: Header=BB120_144 Depth=1
	s_load_dword s7, s[20:21], 0xc
	s_clause 0x2
	buffer_load_dword v0, off, s[36:39], 0 offset:348
	buffer_load_dword v1, off, s[36:39], 0 offset:352
	;; [unrolled: 1-line block ×3, first 2 shown]
	v_mov_b32_e32 v126, 0
	v_mov_b32_e32 v127, 0
	buffer_store_dword v126, off, s[36:39], 0 offset:356 ; 4-byte Folded Spill
	buffer_store_dword v127, off, s[36:39], 0 offset:360 ; 4-byte Folded Spill
	v_mov_b32_e32 v126, 0
	v_mov_b32_e32 v127, 0
	s_waitcnt lgkmcnt(0)
	s_and_b32 s7, s7, 0xffff
	s_waitcnt vmcnt(0)
	v_mad_u32_u24 v0, v0, s7, v1
	s_mov_b32 s7, exec_lo
	v_and_b32_e32 v0, 31, v0
	v_add_co_u32 v0, vcc_lo, v133, v0
	v_add_co_ci_u32_e64 v1, null, 0, v134, vcc_lo
	v_cmpx_gt_i64_e64 s[8:9], v[0:1]
	s_cbranch_execz .LBB120_147
; %bb.146:                              ;   in Loop: Header=BB120_144 Depth=1
	v_lshlrev_b64 v[0:1], 3, v[0:1]
	v_add_co_u32 v0, vcc_lo, s16, v0
	v_add_co_ci_u32_e64 v1, null, s17, v1, vcc_lo
	global_load_dwordx2 v[126:127], v[0:1], off
.LBB120_147:                            ;   in Loop: Header=BB120_144 Depth=1
	s_or_b32 exec_lo, exec_lo, s7
	v_mov_b32_e32 v148, 0
	v_mov_b32_e32 v149, 0
	s_mov_b32 s7, exec_lo
	v_cmpx_gt_i64_e64 s[8:9], v[133:134]
	s_cbranch_execz .LBB120_149
; %bb.148:                              ;   in Loop: Header=BB120_144 Depth=1
	v_add_co_u32 v0, vcc_lo, v137, v129
	v_add_co_ci_u32_e64 v1, null, v138, v130, vcc_lo
	v_add_co_u32 v131, vcc_lo, v139, v129
	v_add_co_ci_u32_e64 v132, null, v140, v130, vcc_lo
	global_load_dwordx2 v[0:1], v[0:1], off
	s_waitcnt vmcnt(0)
	buffer_store_dword v0, off, s[36:39], 0 offset:356 ; 4-byte Folded Spill
	buffer_store_dword v1, off, s[36:39], 0 offset:360 ; 4-byte Folded Spill
	global_load_dwordx2 v[148:149], v[131:132], off
.LBB120_149:                            ;   in Loop: Header=BB120_144 Depth=1
	s_or_b32 exec_lo, exec_lo, s7
	v_add_co_u32 v0, vcc_lo, v133, 1
	v_add_co_ci_u32_e64 v1, null, 0, v134, vcc_lo
	v_mov_b32_e32 v152, 0
	v_mov_b32_e32 v144, 0
	;; [unrolled: 1-line block ×3, first 2 shown]
	v_cmp_gt_i64_e32 vcc_lo, s[8:9], v[0:1]
	v_mov_b32_e32 v0, 0
	v_mov_b32_e32 v145, 0
	;; [unrolled: 1-line block ×3, first 2 shown]
	buffer_store_dword v0, off, s[36:39], 0 offset:364 ; 4-byte Folded Spill
	buffer_store_dword v1, off, s[36:39], 0 offset:368 ; 4-byte Folded Spill
	s_and_saveexec_b32 s7, vcc_lo
	s_cbranch_execz .LBB120_151
; %bb.150:                              ;   in Loop: Header=BB120_144 Depth=1
	v_add_co_u32 v0, vcc_lo, v199, v129
	v_add_co_ci_u32_e64 v1, null, v200, v130, vcc_lo
	v_add_co_u32 v131, vcc_lo, v141, v129
	v_add_co_ci_u32_e64 v132, null, v142, v130, vcc_lo
	global_load_dwordx2 v[144:145], v[0:1], off
	global_load_dwordx2 v[0:1], v[131:132], off
	s_waitcnt vmcnt(0)
	buffer_store_dword v0, off, s[36:39], 0 offset:364 ; 4-byte Folded Spill
	buffer_store_dword v1, off, s[36:39], 0 offset:368 ; 4-byte Folded Spill
.LBB120_151:                            ;   in Loop: Header=BB120_144 Depth=1
	s_or_b32 exec_lo, exec_lo, s7
	v_add_co_u32 v0, vcc_lo, v133, 2
	v_add_co_ci_u32_e64 v1, null, 0, v134, vcc_lo
	v_cmp_gt_i64_e32 vcc_lo, s[8:9], v[0:1]
	v_mov_b32_e32 v0, 0
	v_mov_b32_e32 v1, 0
	buffer_store_dword v0, off, s[36:39], 0 offset:372 ; 4-byte Folded Spill
	buffer_store_dword v1, off, s[36:39], 0 offset:376 ; 4-byte Folded Spill
	s_and_saveexec_b32 s7, vcc_lo
	s_cbranch_execz .LBB120_153
; %bb.152:                              ;   in Loop: Header=BB120_144 Depth=1
	v_add_co_u32 v0, vcc_lo, v195, v129
	v_add_co_ci_u32_e64 v1, null, v196, v130, vcc_lo
	v_add_co_u32 v131, vcc_lo, v197, v129
	v_add_co_ci_u32_e64 v132, null, v198, v130, vcc_lo
	global_load_dwordx2 v[152:153], v[0:1], off
	global_load_dwordx2 v[0:1], v[131:132], off
	s_waitcnt vmcnt(0)
	buffer_store_dword v0, off, s[36:39], 0 offset:372 ; 4-byte Folded Spill
	buffer_store_dword v1, off, s[36:39], 0 offset:376 ; 4-byte Folded Spill
.LBB120_153:                            ;   in Loop: Header=BB120_144 Depth=1
	s_or_b32 exec_lo, exec_lo, s7
	v_add_co_u32 v0, vcc_lo, v133, 3
	v_mov_b32_e32 v131, 0
	v_mov_b32_e32 v132, 0
	v_add_co_ci_u32_e64 v1, null, 0, v134, vcc_lo
	buffer_store_dword v131, off, s[36:39], 0 offset:380 ; 4-byte Folded Spill
	buffer_store_dword v132, off, s[36:39], 0 offset:384 ; 4-byte Folded Spill
	v_mov_b32_e32 v131, 0
	v_cmp_gt_i64_e32 vcc_lo, s[8:9], v[0:1]
	v_mov_b32_e32 v0, 0
	v_mov_b32_e32 v132, 0
	;; [unrolled: 1-line block ×3, first 2 shown]
	buffer_store_dword v131, off, s[36:39], 0 offset:388 ; 4-byte Folded Spill
	buffer_store_dword v132, off, s[36:39], 0 offset:392 ; 4-byte Folded Spill
	;; [unrolled: 1-line block ×4, first 2 shown]
	s_and_saveexec_b32 s7, vcc_lo
	s_cbranch_execz .LBB120_155
; %bb.154:                              ;   in Loop: Header=BB120_144 Depth=1
	v_add_co_u32 v0, vcc_lo, v191, v129
	v_add_co_ci_u32_e64 v1, null, v192, v130, vcc_lo
	v_add_co_u32 v131, vcc_lo, v193, v129
	v_add_co_ci_u32_e64 v132, null, v194, v130, vcc_lo
	global_load_dwordx2 v[0:1], v[0:1], off
	s_waitcnt vmcnt(0)
	buffer_store_dword v0, off, s[36:39], 0 offset:388 ; 4-byte Folded Spill
	buffer_store_dword v1, off, s[36:39], 0 offset:392 ; 4-byte Folded Spill
	global_load_dwordx2 v[0:1], v[131:132], off
	s_waitcnt vmcnt(0)
	buffer_store_dword v0, off, s[36:39], 0 offset:396 ; 4-byte Folded Spill
	buffer_store_dword v1, off, s[36:39], 0 offset:400 ; 4-byte Folded Spill
.LBB120_155:                            ;   in Loop: Header=BB120_144 Depth=1
	s_or_b32 exec_lo, exec_lo, s7
	v_add_co_u32 v0, vcc_lo, v133, 4
	v_add_co_ci_u32_e64 v1, null, 0, v134, vcc_lo
	v_cmp_gt_i64_e32 vcc_lo, s[8:9], v[0:1]
	v_mov_b32_e32 v0, 0
	v_mov_b32_e32 v1, 0
	buffer_store_dword v0, off, s[36:39], 0 offset:404 ; 4-byte Folded Spill
	buffer_store_dword v1, off, s[36:39], 0 offset:408 ; 4-byte Folded Spill
	s_and_saveexec_b32 s7, vcc_lo
	s_cbranch_execz .LBB120_157
; %bb.156:                              ;   in Loop: Header=BB120_144 Depth=1
	v_add_co_u32 v0, vcc_lo, v187, v129
	v_add_co_ci_u32_e64 v1, null, v188, v130, vcc_lo
	v_add_co_u32 v131, vcc_lo, v189, v129
	v_add_co_ci_u32_e64 v132, null, v190, v130, vcc_lo
	global_load_dwordx2 v[0:1], v[0:1], off
	s_waitcnt vmcnt(0)
	buffer_store_dword v0, off, s[36:39], 0 offset:380 ; 4-byte Folded Spill
	buffer_store_dword v1, off, s[36:39], 0 offset:384 ; 4-byte Folded Spill
	global_load_dwordx2 v[0:1], v[131:132], off
	s_waitcnt vmcnt(0)
	buffer_store_dword v0, off, s[36:39], 0 offset:404 ; 4-byte Folded Spill
	buffer_store_dword v1, off, s[36:39], 0 offset:408 ; 4-byte Folded Spill
.LBB120_157:                            ;   in Loop: Header=BB120_144 Depth=1
	s_or_b32 exec_lo, exec_lo, s7
	v_add_co_u32 v0, vcc_lo, v133, 5
	v_add_co_ci_u32_e64 v1, null, 0, v134, vcc_lo
	v_mov_b32_e32 v156, 0
	v_mov_b32_e32 v201, 0
	;; [unrolled: 1-line block ×3, first 2 shown]
	v_cmp_gt_i64_e32 vcc_lo, s[8:9], v[0:1]
	v_mov_b32_e32 v0, 0
	v_mov_b32_e32 v202, 0
	;; [unrolled: 1-line block ×3, first 2 shown]
	buffer_store_dword v0, off, s[36:39], 0 offset:412 ; 4-byte Folded Spill
	buffer_store_dword v1, off, s[36:39], 0 offset:416 ; 4-byte Folded Spill
	s_and_saveexec_b32 s7, vcc_lo
	s_cbranch_execz .LBB120_159
; %bb.158:                              ;   in Loop: Header=BB120_144 Depth=1
	v_add_co_u32 v0, vcc_lo, v183, v129
	v_add_co_ci_u32_e64 v1, null, v184, v130, vcc_lo
	v_add_co_u32 v131, vcc_lo, v185, v129
	v_add_co_ci_u32_e64 v132, null, v186, v130, vcc_lo
	global_load_dwordx2 v[201:202], v[0:1], off
	global_load_dwordx2 v[0:1], v[131:132], off
	s_waitcnt vmcnt(0)
	buffer_store_dword v0, off, s[36:39], 0 offset:412 ; 4-byte Folded Spill
	buffer_store_dword v1, off, s[36:39], 0 offset:416 ; 4-byte Folded Spill
.LBB120_159:                            ;   in Loop: Header=BB120_144 Depth=1
	s_or_b32 exec_lo, exec_lo, s7
	v_add_co_u32 v0, vcc_lo, v133, 6
	v_add_co_ci_u32_e64 v1, null, 0, v134, vcc_lo
	v_cmp_gt_i64_e32 vcc_lo, s[8:9], v[0:1]
	v_mov_b32_e32 v0, 0
	v_mov_b32_e32 v1, 0
	buffer_store_dword v0, off, s[36:39], 0 offset:420 ; 4-byte Folded Spill
	buffer_store_dword v1, off, s[36:39], 0 offset:424 ; 4-byte Folded Spill
	s_and_saveexec_b32 s7, vcc_lo
	s_cbranch_execz .LBB120_161
; %bb.160:                              ;   in Loop: Header=BB120_144 Depth=1
	v_add_co_u32 v0, vcc_lo, v179, v129
	v_add_co_ci_u32_e64 v1, null, v180, v130, vcc_lo
	v_add_co_u32 v131, vcc_lo, v181, v129
	v_add_co_ci_u32_e64 v132, null, v182, v130, vcc_lo
	global_load_dwordx2 v[156:157], v[0:1], off
	global_load_dwordx2 v[0:1], v[131:132], off
	s_waitcnt vmcnt(0)
	buffer_store_dword v0, off, s[36:39], 0 offset:420 ; 4-byte Folded Spill
	buffer_store_dword v1, off, s[36:39], 0 offset:424 ; 4-byte Folded Spill
.LBB120_161:                            ;   in Loop: Header=BB120_144 Depth=1
	s_or_b32 exec_lo, exec_lo, s7
	v_add_co_u32 v0, vcc_lo, v133, 7
	v_mov_b32_e32 v131, 0
	v_mov_b32_e32 v132, 0
	v_add_co_ci_u32_e64 v1, null, 0, v134, vcc_lo
	buffer_store_dword v131, off, s[36:39], 0 offset:428 ; 4-byte Folded Spill
	buffer_store_dword v132, off, s[36:39], 0 offset:432 ; 4-byte Folded Spill
	v_mov_b32_e32 v131, 0
	v_cmp_gt_i64_e32 vcc_lo, s[8:9], v[0:1]
	v_mov_b32_e32 v0, 0
	v_mov_b32_e32 v132, 0
	v_mov_b32_e32 v1, 0
	buffer_store_dword v131, off, s[36:39], 0 offset:436 ; 4-byte Folded Spill
	buffer_store_dword v132, off, s[36:39], 0 offset:440 ; 4-byte Folded Spill
	;; [unrolled: 1-line block ×4, first 2 shown]
	s_and_saveexec_b32 s7, vcc_lo
	s_cbranch_execz .LBB120_163
; %bb.162:                              ;   in Loop: Header=BB120_144 Depth=1
	v_add_co_u32 v0, vcc_lo, v175, v129
	v_add_co_ci_u32_e64 v1, null, v176, v130, vcc_lo
	v_add_co_u32 v131, vcc_lo, v177, v129
	v_add_co_ci_u32_e64 v132, null, v178, v130, vcc_lo
	global_load_dwordx2 v[0:1], v[0:1], off
	s_waitcnt vmcnt(0)
	buffer_store_dword v0, off, s[36:39], 0 offset:436 ; 4-byte Folded Spill
	buffer_store_dword v1, off, s[36:39], 0 offset:440 ; 4-byte Folded Spill
	global_load_dwordx2 v[0:1], v[131:132], off
	s_waitcnt vmcnt(0)
	buffer_store_dword v0, off, s[36:39], 0 offset:444 ; 4-byte Folded Spill
	buffer_store_dword v1, off, s[36:39], 0 offset:448 ; 4-byte Folded Spill
.LBB120_163:                            ;   in Loop: Header=BB120_144 Depth=1
	s_or_b32 exec_lo, exec_lo, s7
	v_add_co_u32 v0, vcc_lo, v133, 8
	v_add_co_ci_u32_e64 v1, null, 0, v134, vcc_lo
	v_cmp_gt_i64_e32 vcc_lo, s[8:9], v[0:1]
	v_mov_b32_e32 v0, 0
	v_mov_b32_e32 v1, 0
	buffer_store_dword v0, off, s[36:39], 0 offset:452 ; 4-byte Folded Spill
	buffer_store_dword v1, off, s[36:39], 0 offset:456 ; 4-byte Folded Spill
	s_and_saveexec_b32 s7, vcc_lo
	s_cbranch_execz .LBB120_165
; %bb.164:                              ;   in Loop: Header=BB120_144 Depth=1
	v_add_co_u32 v0, vcc_lo, v172, v129
	v_add_co_ci_u32_e64 v1, null, v255, v130, vcc_lo
	v_add_co_u32 v131, vcc_lo, v173, v129
	v_add_co_ci_u32_e64 v132, null, v174, v130, vcc_lo
	global_load_dwordx2 v[0:1], v[0:1], off
	s_waitcnt vmcnt(0)
	buffer_store_dword v0, off, s[36:39], 0 offset:428 ; 4-byte Folded Spill
	buffer_store_dword v1, off, s[36:39], 0 offset:432 ; 4-byte Folded Spill
	global_load_dwordx2 v[0:1], v[131:132], off
	s_waitcnt vmcnt(0)
	buffer_store_dword v0, off, s[36:39], 0 offset:452 ; 4-byte Folded Spill
	buffer_store_dword v1, off, s[36:39], 0 offset:456 ; 4-byte Folded Spill
.LBB120_165:                            ;   in Loop: Header=BB120_144 Depth=1
	s_or_b32 exec_lo, exec_lo, s7
	v_add_co_u32 v0, vcc_lo, v133, 9
	v_mov_b32_e32 v131, 0
	v_mov_b32_e32 v132, 0
	v_add_co_ci_u32_e64 v1, null, 0, v134, vcc_lo
	buffer_store_dword v131, off, s[36:39], 0 offset:460 ; 4-byte Folded Spill
	buffer_store_dword v132, off, s[36:39], 0 offset:464 ; 4-byte Folded Spill
	v_mov_b32_e32 v131, 0
	v_cmp_gt_i64_e32 vcc_lo, s[8:9], v[0:1]
	v_mov_b32_e32 v0, 0
	v_mov_b32_e32 v132, 0
	;; [unrolled: 1-line block ×3, first 2 shown]
	buffer_store_dword v131, off, s[36:39], 0 offset:468 ; 4-byte Folded Spill
	buffer_store_dword v132, off, s[36:39], 0 offset:472 ; 4-byte Folded Spill
	;; [unrolled: 1-line block ×4, first 2 shown]
	s_and_saveexec_b32 s7, vcc_lo
	s_cbranch_execz .LBB120_167
; %bb.166:                              ;   in Loop: Header=BB120_144 Depth=1
	v_add_co_u32 v0, vcc_lo, v168, v129
	v_add_co_ci_u32_e64 v1, null, v169, v130, vcc_lo
	v_add_co_u32 v131, vcc_lo, v170, v129
	v_add_co_ci_u32_e64 v132, null, v171, v130, vcc_lo
	global_load_dwordx2 v[0:1], v[0:1], off
	s_waitcnt vmcnt(0)
	buffer_store_dword v0, off, s[36:39], 0 offset:468 ; 4-byte Folded Spill
	buffer_store_dword v1, off, s[36:39], 0 offset:472 ; 4-byte Folded Spill
	global_load_dwordx2 v[0:1], v[131:132], off
	s_waitcnt vmcnt(0)
	buffer_store_dword v0, off, s[36:39], 0 offset:476 ; 4-byte Folded Spill
	buffer_store_dword v1, off, s[36:39], 0 offset:480 ; 4-byte Folded Spill
.LBB120_167:                            ;   in Loop: Header=BB120_144 Depth=1
	s_or_b32 exec_lo, exec_lo, s7
	v_add_co_u32 v0, vcc_lo, v133, 10
	v_add_co_ci_u32_e64 v1, null, 0, v134, vcc_lo
	v_cmp_gt_i64_e32 vcc_lo, s[8:9], v[0:1]
	v_mov_b32_e32 v0, 0
	v_mov_b32_e32 v1, 0
	buffer_store_dword v0, off, s[36:39], 0 offset:484 ; 4-byte Folded Spill
	buffer_store_dword v1, off, s[36:39], 0 offset:488 ; 4-byte Folded Spill
	s_and_saveexec_b32 s7, vcc_lo
	s_cbranch_execz .LBB120_169
; %bb.168:                              ;   in Loop: Header=BB120_144 Depth=1
	v_add_co_u32 v0, vcc_lo, v164, v129
	v_add_co_ci_u32_e64 v1, null, v165, v130, vcc_lo
	v_add_co_u32 v131, vcc_lo, v166, v129
	v_add_co_ci_u32_e64 v132, null, v167, v130, vcc_lo
	global_load_dwordx2 v[0:1], v[0:1], off
	s_waitcnt vmcnt(0)
	buffer_store_dword v0, off, s[36:39], 0 offset:460 ; 4-byte Folded Spill
	buffer_store_dword v1, off, s[36:39], 0 offset:464 ; 4-byte Folded Spill
	global_load_dwordx2 v[0:1], v[131:132], off
	s_waitcnt vmcnt(0)
	buffer_store_dword v0, off, s[36:39], 0 offset:484 ; 4-byte Folded Spill
	buffer_store_dword v1, off, s[36:39], 0 offset:488 ; 4-byte Folded Spill
.LBB120_169:                            ;   in Loop: Header=BB120_144 Depth=1
	s_or_b32 exec_lo, exec_lo, s7
	v_add_co_u32 v0, vcc_lo, v133, 11
	v_mov_b32_e32 v131, 0
	v_mov_b32_e32 v132, 0
	v_add_co_ci_u32_e64 v1, null, 0, v134, vcc_lo
	buffer_store_dword v131, off, s[36:39], 0 offset:492 ; 4-byte Folded Spill
	buffer_store_dword v132, off, s[36:39], 0 offset:496 ; 4-byte Folded Spill
	v_mov_b32_e32 v131, 0
	v_cmp_gt_i64_e32 vcc_lo, s[8:9], v[0:1]
	v_mov_b32_e32 v0, 0
	v_mov_b32_e32 v132, 0
	;; [unrolled: 1-line block ×3, first 2 shown]
	buffer_store_dword v131, off, s[36:39], 0 offset:500 ; 4-byte Folded Spill
	buffer_store_dword v132, off, s[36:39], 0 offset:504 ; 4-byte Folded Spill
	;; [unrolled: 1-line block ×4, first 2 shown]
	s_and_saveexec_b32 s7, vcc_lo
	s_cbranch_execz .LBB120_171
; %bb.170:                              ;   in Loop: Header=BB120_144 Depth=1
	v_add_co_u32 v0, vcc_lo, v160, v129
	v_add_co_ci_u32_e64 v1, null, v161, v130, vcc_lo
	v_add_co_u32 v131, vcc_lo, v162, v129
	v_add_co_ci_u32_e64 v132, null, v163, v130, vcc_lo
	global_load_dwordx2 v[0:1], v[0:1], off
	s_waitcnt vmcnt(0)
	buffer_store_dword v0, off, s[36:39], 0 offset:500 ; 4-byte Folded Spill
	buffer_store_dword v1, off, s[36:39], 0 offset:504 ; 4-byte Folded Spill
	global_load_dwordx2 v[0:1], v[131:132], off
	s_waitcnt vmcnt(0)
	buffer_store_dword v0, off, s[36:39], 0 offset:508 ; 4-byte Folded Spill
	buffer_store_dword v1, off, s[36:39], 0 offset:512 ; 4-byte Folded Spill
.LBB120_171:                            ;   in Loop: Header=BB120_144 Depth=1
	s_or_b32 exec_lo, exec_lo, s7
	v_add_co_u32 v0, vcc_lo, v133, 12
	v_add_co_ci_u32_e64 v1, null, 0, v134, vcc_lo
	v_cmp_gt_i64_e32 vcc_lo, s[8:9], v[0:1]
	v_mov_b32_e32 v0, 0
	v_mov_b32_e32 v1, 0
	buffer_store_dword v0, off, s[36:39], 0 offset:516 ; 4-byte Folded Spill
	buffer_store_dword v1, off, s[36:39], 0 offset:520 ; 4-byte Folded Spill
	s_and_saveexec_b32 s7, vcc_lo
	s_cbranch_execz .LBB120_173
; %bb.172:                              ;   in Loop: Header=BB120_144 Depth=1
	s_clause 0x1
	buffer_load_dword v0, off, s[36:39], 0 offset:340
	buffer_load_dword v1, off, s[36:39], 0 offset:344
	s_waitcnt vmcnt(1)
	v_add_co_u32 v0, vcc_lo, v0, v129
	s_waitcnt vmcnt(0)
	v_add_co_ci_u32_e64 v1, null, v1, v130, vcc_lo
	v_add_co_u32 v131, vcc_lo, v158, v129
	v_add_co_ci_u32_e64 v132, null, v159, v130, vcc_lo
	global_load_dwordx2 v[0:1], v[0:1], off
	s_waitcnt vmcnt(0)
	buffer_store_dword v0, off, s[36:39], 0 offset:492 ; 4-byte Folded Spill
	buffer_store_dword v1, off, s[36:39], 0 offset:496 ; 4-byte Folded Spill
	global_load_dwordx2 v[0:1], v[131:132], off
	s_waitcnt vmcnt(0)
	buffer_store_dword v0, off, s[36:39], 0 offset:516 ; 4-byte Folded Spill
	buffer_store_dword v1, off, s[36:39], 0 offset:520 ; 4-byte Folded Spill
.LBB120_173:                            ;   in Loop: Header=BB120_144 Depth=1
	s_or_b32 exec_lo, exec_lo, s7
	v_add_co_u32 v0, vcc_lo, v133, 13
	v_mov_b32_e32 v131, 0
	v_mov_b32_e32 v132, 0
	v_add_co_ci_u32_e64 v1, null, 0, v134, vcc_lo
	buffer_store_dword v131, off, s[36:39], 0 offset:524 ; 4-byte Folded Spill
	buffer_store_dword v132, off, s[36:39], 0 offset:528 ; 4-byte Folded Spill
	v_mov_b32_e32 v131, 0
	v_cmp_gt_i64_e32 vcc_lo, s[8:9], v[0:1]
	v_mov_b32_e32 v0, 0
	v_mov_b32_e32 v132, 0
	;; [unrolled: 1-line block ×3, first 2 shown]
	buffer_store_dword v131, off, s[36:39], 0 offset:532 ; 4-byte Folded Spill
	buffer_store_dword v132, off, s[36:39], 0 offset:536 ; 4-byte Folded Spill
	;; [unrolled: 1-line block ×4, first 2 shown]
	s_and_saveexec_b32 s7, vcc_lo
	s_cbranch_execz .LBB120_175
; %bb.174:                              ;   in Loop: Header=BB120_144 Depth=1
	s_clause 0x3
	buffer_load_dword v0, off, s[36:39], 0 offset:324
	buffer_load_dword v1, off, s[36:39], 0 offset:328
	;; [unrolled: 1-line block ×4, first 2 shown]
	s_waitcnt vmcnt(3)
	v_add_co_u32 v0, vcc_lo, v0, v129
	s_waitcnt vmcnt(2)
	v_add_co_ci_u32_e64 v1, null, v1, v130, vcc_lo
	s_waitcnt vmcnt(1)
	v_add_co_u32 v131, vcc_lo, v131, v129
	s_waitcnt vmcnt(0)
	v_add_co_ci_u32_e64 v132, null, v132, v130, vcc_lo
	global_load_dwordx2 v[0:1], v[0:1], off
	s_waitcnt vmcnt(0)
	buffer_store_dword v0, off, s[36:39], 0 offset:532 ; 4-byte Folded Spill
	buffer_store_dword v1, off, s[36:39], 0 offset:536 ; 4-byte Folded Spill
	global_load_dwordx2 v[0:1], v[131:132], off
	s_waitcnt vmcnt(0)
	buffer_store_dword v0, off, s[36:39], 0 offset:540 ; 4-byte Folded Spill
	buffer_store_dword v1, off, s[36:39], 0 offset:544 ; 4-byte Folded Spill
.LBB120_175:                            ;   in Loop: Header=BB120_144 Depth=1
	s_or_b32 exec_lo, exec_lo, s7
	v_add_co_u32 v0, vcc_lo, v133, 14
	v_add_co_ci_u32_e64 v1, null, 0, v134, vcc_lo
	v_cmp_gt_i64_e32 vcc_lo, s[8:9], v[0:1]
	v_mov_b32_e32 v0, 0
	v_mov_b32_e32 v1, 0
	buffer_store_dword v0, off, s[36:39], 0 offset:548 ; 4-byte Folded Spill
	buffer_store_dword v1, off, s[36:39], 0 offset:552 ; 4-byte Folded Spill
	s_and_saveexec_b32 s7, vcc_lo
	s_cbranch_execz .LBB120_177
; %bb.176:                              ;   in Loop: Header=BB120_144 Depth=1
	s_clause 0x3
	buffer_load_dword v0, off, s[36:39], 0 offset:308
	buffer_load_dword v1, off, s[36:39], 0 offset:312
	;; [unrolled: 1-line block ×4, first 2 shown]
	s_waitcnt vmcnt(3)
	v_add_co_u32 v0, vcc_lo, v0, v129
	s_waitcnt vmcnt(2)
	v_add_co_ci_u32_e64 v1, null, v1, v130, vcc_lo
	s_waitcnt vmcnt(1)
	v_add_co_u32 v131, vcc_lo, v131, v129
	s_waitcnt vmcnt(0)
	v_add_co_ci_u32_e64 v132, null, v132, v130, vcc_lo
	global_load_dwordx2 v[0:1], v[0:1], off
	s_waitcnt vmcnt(0)
	buffer_store_dword v0, off, s[36:39], 0 offset:524 ; 4-byte Folded Spill
	buffer_store_dword v1, off, s[36:39], 0 offset:528 ; 4-byte Folded Spill
	global_load_dwordx2 v[0:1], v[131:132], off
	s_waitcnt vmcnt(0)
	buffer_store_dword v0, off, s[36:39], 0 offset:548 ; 4-byte Folded Spill
	buffer_store_dword v1, off, s[36:39], 0 offset:552 ; 4-byte Folded Spill
.LBB120_177:                            ;   in Loop: Header=BB120_144 Depth=1
	s_or_b32 exec_lo, exec_lo, s7
	v_add_co_u32 v0, vcc_lo, v133, 15
	v_mov_b32_e32 v131, 0
	v_mov_b32_e32 v132, 0
	v_add_co_ci_u32_e64 v1, null, 0, v134, vcc_lo
	buffer_store_dword v131, off, s[36:39], 0 offset:556 ; 4-byte Folded Spill
	buffer_store_dword v132, off, s[36:39], 0 offset:560 ; 4-byte Folded Spill
	v_mov_b32_e32 v131, 0
	v_cmp_gt_i64_e32 vcc_lo, s[8:9], v[0:1]
	v_mov_b32_e32 v0, 0
	v_mov_b32_e32 v132, 0
	;; [unrolled: 1-line block ×3, first 2 shown]
	buffer_store_dword v131, off, s[36:39], 0 offset:564 ; 4-byte Folded Spill
	buffer_store_dword v132, off, s[36:39], 0 offset:568 ; 4-byte Folded Spill
	;; [unrolled: 1-line block ×4, first 2 shown]
	s_and_saveexec_b32 s7, vcc_lo
	s_cbranch_execz .LBB120_179
; %bb.178:                              ;   in Loop: Header=BB120_144 Depth=1
	s_clause 0x3
	buffer_load_dword v0, off, s[36:39], 0 offset:292
	buffer_load_dword v1, off, s[36:39], 0 offset:296
	;; [unrolled: 1-line block ×4, first 2 shown]
	s_waitcnt vmcnt(3)
	v_add_co_u32 v0, vcc_lo, v0, v129
	s_waitcnt vmcnt(2)
	v_add_co_ci_u32_e64 v1, null, v1, v130, vcc_lo
	s_waitcnt vmcnt(1)
	v_add_co_u32 v131, vcc_lo, v131, v129
	s_waitcnt vmcnt(0)
	v_add_co_ci_u32_e64 v132, null, v132, v130, vcc_lo
	global_load_dwordx2 v[0:1], v[0:1], off
	s_waitcnt vmcnt(0)
	buffer_store_dword v0, off, s[36:39], 0 offset:564 ; 4-byte Folded Spill
	buffer_store_dword v1, off, s[36:39], 0 offset:568 ; 4-byte Folded Spill
	global_load_dwordx2 v[0:1], v[131:132], off
	s_waitcnt vmcnt(0)
	buffer_store_dword v0, off, s[36:39], 0 offset:572 ; 4-byte Folded Spill
	buffer_store_dword v1, off, s[36:39], 0 offset:576 ; 4-byte Folded Spill
.LBB120_179:                            ;   in Loop: Header=BB120_144 Depth=1
	s_or_b32 exec_lo, exec_lo, s7
	v_add_co_u32 v0, vcc_lo, v133, 16
	v_add_co_ci_u32_e64 v1, null, 0, v134, vcc_lo
	v_cmp_gt_i64_e32 vcc_lo, s[8:9], v[0:1]
	v_mov_b32_e32 v0, 0
	v_mov_b32_e32 v1, 0
	buffer_store_dword v0, off, s[36:39], 0 offset:580 ; 4-byte Folded Spill
	buffer_store_dword v1, off, s[36:39], 0 offset:584 ; 4-byte Folded Spill
	s_and_saveexec_b32 s7, vcc_lo
	s_cbranch_execz .LBB120_181
; %bb.180:                              ;   in Loop: Header=BB120_144 Depth=1
	s_clause 0x3
	buffer_load_dword v0, off, s[36:39], 0 offset:276
	buffer_load_dword v1, off, s[36:39], 0 offset:280
	;; [unrolled: 1-line block ×4, first 2 shown]
	s_waitcnt vmcnt(3)
	v_add_co_u32 v0, vcc_lo, v0, v129
	s_waitcnt vmcnt(2)
	v_add_co_ci_u32_e64 v1, null, v1, v130, vcc_lo
	s_waitcnt vmcnt(1)
	v_add_co_u32 v131, vcc_lo, v131, v129
	s_waitcnt vmcnt(0)
	v_add_co_ci_u32_e64 v132, null, v132, v130, vcc_lo
	global_load_dwordx2 v[0:1], v[0:1], off
	s_waitcnt vmcnt(0)
	buffer_store_dword v0, off, s[36:39], 0 offset:556 ; 4-byte Folded Spill
	buffer_store_dword v1, off, s[36:39], 0 offset:560 ; 4-byte Folded Spill
	global_load_dwordx2 v[0:1], v[131:132], off
	s_waitcnt vmcnt(0)
	buffer_store_dword v0, off, s[36:39], 0 offset:580 ; 4-byte Folded Spill
	buffer_store_dword v1, off, s[36:39], 0 offset:584 ; 4-byte Folded Spill
.LBB120_181:                            ;   in Loop: Header=BB120_144 Depth=1
	s_or_b32 exec_lo, exec_lo, s7
	v_add_co_u32 v0, vcc_lo, v133, 17
	v_mov_b32_e32 v203, 0
	v_mov_b32_e32 v205, 0
	v_mov_b32_e32 v207, 0
	v_add_co_ci_u32_e64 v1, null, 0, v134, vcc_lo
	v_mov_b32_e32 v204, 0
	v_mov_b32_e32 v206, 0
	v_mov_b32_e32 v208, 0
	s_mov_b32 s7, exec_lo
	v_cmpx_gt_i64_e64 s[8:9], v[0:1]
	s_cbranch_execz .LBB120_183
; %bb.182:                              ;   in Loop: Header=BB120_144 Depth=1
	s_clause 0x3
	buffer_load_dword v0, off, s[36:39], 0 offset:260
	buffer_load_dword v1, off, s[36:39], 0 offset:264
	buffer_load_dword v131, off, s[36:39], 0 offset:268
	buffer_load_dword v132, off, s[36:39], 0 offset:272
	s_waitcnt vmcnt(3)
	v_add_co_u32 v0, vcc_lo, v0, v129
	s_waitcnt vmcnt(2)
	v_add_co_ci_u32_e64 v1, null, v1, v130, vcc_lo
	s_waitcnt vmcnt(1)
	v_add_co_u32 v131, vcc_lo, v131, v129
	s_waitcnt vmcnt(0)
	v_add_co_ci_u32_e64 v132, null, v132, v130, vcc_lo
	global_load_dwordx2 v[205:206], v[0:1], off
	global_load_dwordx2 v[207:208], v[131:132], off
.LBB120_183:                            ;   in Loop: Header=BB120_144 Depth=1
	s_or_b32 exec_lo, exec_lo, s7
	v_add_co_u32 v0, vcc_lo, v133, 18
	v_mov_b32_e32 v209, 0
	v_add_co_ci_u32_e64 v1, null, 0, v134, vcc_lo
	v_mov_b32_e32 v210, 0
	s_mov_b32 s7, exec_lo
	v_cmpx_gt_i64_e64 s[8:9], v[0:1]
	s_cbranch_execz .LBB120_185
; %bb.184:                              ;   in Loop: Header=BB120_144 Depth=1
	s_clause 0x3
	buffer_load_dword v0, off, s[36:39], 0 offset:244
	buffer_load_dword v1, off, s[36:39], 0 offset:248
	buffer_load_dword v131, off, s[36:39], 0 offset:252
	buffer_load_dword v132, off, s[36:39], 0 offset:256
	s_waitcnt vmcnt(3)
	v_add_co_u32 v0, vcc_lo, v0, v129
	s_waitcnt vmcnt(2)
	v_add_co_ci_u32_e64 v1, null, v1, v130, vcc_lo
	s_waitcnt vmcnt(1)
	v_add_co_u32 v131, vcc_lo, v131, v129
	s_waitcnt vmcnt(0)
	v_add_co_ci_u32_e64 v132, null, v132, v130, vcc_lo
	global_load_dwordx2 v[203:204], v[0:1], off
	global_load_dwordx2 v[209:210], v[131:132], off
.LBB120_185:                            ;   in Loop: Header=BB120_144 Depth=1
	s_or_b32 exec_lo, exec_lo, s7
	v_add_co_u32 v0, vcc_lo, v133, 19
	v_mov_b32_e32 v211, 0
	v_mov_b32_e32 v213, 0
	v_mov_b32_e32 v215, 0
	v_add_co_ci_u32_e64 v1, null, 0, v134, vcc_lo
	v_mov_b32_e32 v212, 0
	v_mov_b32_e32 v214, 0
	v_mov_b32_e32 v216, 0
	s_mov_b32 s7, exec_lo
	v_cmpx_gt_i64_e64 s[8:9], v[0:1]
	s_cbranch_execz .LBB120_187
; %bb.186:                              ;   in Loop: Header=BB120_144 Depth=1
	s_clause 0x3
	buffer_load_dword v0, off, s[36:39], 0 offset:228
	buffer_load_dword v1, off, s[36:39], 0 offset:232
	buffer_load_dword v131, off, s[36:39], 0 offset:236
	buffer_load_dword v132, off, s[36:39], 0 offset:240
	s_waitcnt vmcnt(3)
	v_add_co_u32 v0, vcc_lo, v0, v129
	s_waitcnt vmcnt(2)
	v_add_co_ci_u32_e64 v1, null, v1, v130, vcc_lo
	s_waitcnt vmcnt(1)
	v_add_co_u32 v131, vcc_lo, v131, v129
	s_waitcnt vmcnt(0)
	v_add_co_ci_u32_e64 v132, null, v132, v130, vcc_lo
	global_load_dwordx2 v[213:214], v[0:1], off
	global_load_dwordx2 v[215:216], v[131:132], off
.LBB120_187:                            ;   in Loop: Header=BB120_144 Depth=1
	s_or_b32 exec_lo, exec_lo, s7
	v_add_co_u32 v0, vcc_lo, v133, 20
	v_mov_b32_e32 v217, 0
	v_add_co_ci_u32_e64 v1, null, 0, v134, vcc_lo
	v_mov_b32_e32 v218, 0
	s_mov_b32 s7, exec_lo
	v_cmpx_gt_i64_e64 s[8:9], v[0:1]
	s_cbranch_execz .LBB120_189
; %bb.188:                              ;   in Loop: Header=BB120_144 Depth=1
	s_clause 0x3
	buffer_load_dword v0, off, s[36:39], 0 offset:212
	buffer_load_dword v1, off, s[36:39], 0 offset:216
	buffer_load_dword v131, off, s[36:39], 0 offset:220
	buffer_load_dword v132, off, s[36:39], 0 offset:224
	s_waitcnt vmcnt(3)
	v_add_co_u32 v0, vcc_lo, v0, v129
	s_waitcnt vmcnt(2)
	v_add_co_ci_u32_e64 v1, null, v1, v130, vcc_lo
	s_waitcnt vmcnt(1)
	v_add_co_u32 v131, vcc_lo, v131, v129
	s_waitcnt vmcnt(0)
	v_add_co_ci_u32_e64 v132, null, v132, v130, vcc_lo
	global_load_dwordx2 v[211:212], v[0:1], off
	global_load_dwordx2 v[217:218], v[131:132], off
.LBB120_189:                            ;   in Loop: Header=BB120_144 Depth=1
	;; [unrolled: 54-line block ×6, first 2 shown]
	s_or_b32 exec_lo, exec_lo, s7
	v_add_co_u32 v0, vcc_lo, v133, 29
	v_mov_b32_e32 v251, 0
	v_mov_b32_e32 v253, 0
	;; [unrolled: 1-line block ×3, first 2 shown]
	v_add_co_ci_u32_e64 v1, null, 0, v134, vcc_lo
	v_mov_b32_e32 v252, 0
	v_mov_b32_e32 v254, 0
	;; [unrolled: 1-line block ×3, first 2 shown]
	s_mov_b32 s7, exec_lo
	v_cmpx_gt_i64_e64 s[8:9], v[0:1]
	s_cbranch_execz .LBB120_207
; %bb.206:                              ;   in Loop: Header=BB120_144 Depth=1
	s_clause 0x3
	buffer_load_dword v0, off, s[36:39], 0 offset:68
	buffer_load_dword v1, off, s[36:39], 0 offset:72
	;; [unrolled: 1-line block ×4, first 2 shown]
	s_waitcnt vmcnt(3)
	v_add_co_u32 v0, vcc_lo, v0, v129
	s_waitcnt vmcnt(2)
	v_add_co_ci_u32_e64 v1, null, v1, v130, vcc_lo
	s_waitcnt vmcnt(1)
	v_add_co_u32 v131, vcc_lo, v131, v129
	s_waitcnt vmcnt(0)
	v_add_co_ci_u32_e64 v132, null, v132, v130, vcc_lo
	global_load_dwordx2 v[253:254], v[0:1], off
	global_load_dwordx2 v[131:132], v[131:132], off
.LBB120_207:                            ;   in Loop: Header=BB120_144 Depth=1
	s_or_b32 exec_lo, exec_lo, s7
	v_add_co_u32 v0, vcc_lo, v133, 30
	v_add_co_ci_u32_e64 v1, null, 0, v134, vcc_lo
	v_cmp_gt_i64_e32 vcc_lo, s[8:9], v[0:1]
	v_mov_b32_e32 v0, 0
	v_mov_b32_e32 v1, 0
	s_and_saveexec_b32 s7, vcc_lo
	s_cbranch_execz .LBB120_209
; %bb.208:                              ;   in Loop: Header=BB120_144 Depth=1
	s_clause 0x3
	buffer_load_dword v0, off, s[36:39], 0 offset:44
	buffer_load_dword v1, off, s[36:39], 0 offset:52
	;; [unrolled: 1-line block ×4, first 2 shown]
	s_waitcnt vmcnt(3)
	v_add_co_u32 v0, vcc_lo, v0, v129
	s_waitcnt vmcnt(2)
	v_add_co_ci_u32_e64 v1, null, v1, v130, vcc_lo
	s_waitcnt vmcnt(1)
	v_add_co_u32 v135, vcc_lo, v135, v129
	s_waitcnt vmcnt(0)
	v_add_co_ci_u32_e64 v136, null, v136, v130, vcc_lo
	global_load_dwordx2 v[251:252], v[0:1], off
	global_load_dwordx2 v[0:1], v[135:136], off
.LBB120_209:                            ;   in Loop: Header=BB120_144 Depth=1
	s_or_b32 exec_lo, exec_lo, s7
	v_add_co_u32 v135, vcc_lo, v133, 31
	v_add_co_ci_u32_e64 v136, null, 0, v134, vcc_lo
	v_mov_b32_e32 v147, v145
	v_mov_b32_e32 v146, v144
	v_cmp_gt_i64_e32 vcc_lo, s[8:9], v[135:136]
	v_mov_b32_e32 v135, 0
	v_mov_b32_e32 v136, 0
	s_and_saveexec_b32 s7, vcc_lo
	s_cbranch_execz .LBB120_211
; %bb.210:                              ;   in Loop: Header=BB120_144 Depth=1
	s_clause 0x3
	buffer_load_dword v135, off, s[36:39], 0 offset:12
	buffer_load_dword v136, off, s[36:39], 0 offset:20
	;; [unrolled: 1-line block ×4, first 2 shown]
	s_waitcnt vmcnt(3)
	v_add_co_u32 v135, vcc_lo, v135, v129
	s_waitcnt vmcnt(2)
	v_add_co_ci_u32_e64 v136, null, v136, v130, vcc_lo
	s_waitcnt vmcnt(1)
	v_add_co_u32 v144, vcc_lo, v144, v129
	s_waitcnt vmcnt(0)
	v_add_co_ci_u32_e64 v145, null, v145, v130, vcc_lo
	global_load_dwordx2 v[135:136], v[135:136], off
	global_load_dwordx2 v[144:145], v[144:145], off
	s_waitcnt vmcnt(0)
	v_mul_f64 v[135:136], v[135:136], v[144:145]
.LBB120_211:                            ;   in Loop: Header=BB120_144 Depth=1
	s_or_b32 exec_lo, exec_lo, s7
	s_clause 0x1
	buffer_load_dword v144, off, s[36:39], 0 offset:356
	buffer_load_dword v145, off, s[36:39], 0 offset:360
	s_waitcnt vmcnt(2)
	v_mul_f64 v[131:132], v[253:254], v[131:132]
	v_mul_f64 v[0:1], v[251:252], v[0:1]
	s_mov_b32 s7, 0
	s_waitcnt vmcnt(0)
	v_mul_f64 v[144:145], v[144:145], v[148:149]
	s_clause 0x1
	buffer_load_dword v148, off, s[36:39], 0 offset:364
	buffer_load_dword v149, off, s[36:39], 0 offset:368
	s_waitcnt vmcnt(0)
	v_mul_f64 v[146:147], v[146:147], v[148:149]
	ds_bpermute_b32 v148, v128, v126
	ds_bpermute_b32 v149, v128, v127
	s_waitcnt lgkmcnt(0)
	v_fma_f64 v[144:145], v[144:145], v[148:149], v[150:151]
	ds_bpermute_b32 v148, v128, v126 offset:4
	ds_bpermute_b32 v149, v128, v127 offset:4
	s_waitcnt lgkmcnt(0)
	v_fma_f64 v[144:145], v[146:147], v[148:149], v[144:145]
	s_clause 0x1
	buffer_load_dword v146, off, s[36:39], 0 offset:372
	buffer_load_dword v147, off, s[36:39], 0 offset:376
	s_waitcnt vmcnt(0)
	v_mul_f64 v[146:147], v[152:153], v[146:147]
	s_clause 0x3
	buffer_load_dword v148, off, s[36:39], 0 offset:388
	buffer_load_dword v149, off, s[36:39], 0 offset:392
	;; [unrolled: 1-line block ×4, first 2 shown]
	s_waitcnt vmcnt(0)
	v_mul_f64 v[148:149], v[148:149], v[152:153]
	v_mov_b32_e32 v153, v151
	v_mov_b32_e32 v152, v150
	ds_bpermute_b32 v150, v128, v126 offset:8
	ds_bpermute_b32 v151, v128, v127 offset:8
	s_waitcnt lgkmcnt(0)
	v_fma_f64 v[144:145], v[146:147], v[150:151], v[144:145]
	s_clause 0x3
	buffer_load_dword v150, off, s[36:39], 0 offset:380
	buffer_load_dword v151, off, s[36:39], 0 offset:384
	;; [unrolled: 1-line block ×4, first 2 shown]
	ds_bpermute_b32 v146, v128, v126 offset:12
	ds_bpermute_b32 v147, v128, v127 offset:12
	s_waitcnt lgkmcnt(0)
	v_fma_f64 v[144:145], v[148:149], v[146:147], v[144:145]
	s_clause 0x1
	buffer_load_dword v148, off, s[36:39], 0 offset:412
	buffer_load_dword v149, off, s[36:39], 0 offset:416
	ds_bpermute_b32 v146, v128, v126 offset:16
	ds_bpermute_b32 v147, v128, v127 offset:16
	s_waitcnt vmcnt(2)
	v_mul_f64 v[150:151], v[150:151], v[154:155]
	s_waitcnt lgkmcnt(0)
	v_fma_f64 v[144:145], v[150:151], v[146:147], v[144:145]
	s_waitcnt vmcnt(0)
	v_mul_f64 v[148:149], v[201:202], v[148:149]
	s_clause 0x1
	buffer_load_dword v150, off, s[36:39], 0 offset:420
	buffer_load_dword v151, off, s[36:39], 0 offset:424
	ds_bpermute_b32 v146, v128, v126 offset:20
	ds_bpermute_b32 v147, v128, v127 offset:20
	s_waitcnt lgkmcnt(0)
	v_fma_f64 v[144:145], v[148:149], v[146:147], v[144:145]
	s_clause 0x3
	buffer_load_dword v148, off, s[36:39], 0 offset:436
	buffer_load_dword v149, off, s[36:39], 0 offset:440
	;; [unrolled: 1-line block ×4, first 2 shown]
	ds_bpermute_b32 v146, v128, v126 offset:24
	ds_bpermute_b32 v147, v128, v127 offset:24
	s_waitcnt vmcnt(4)
	v_mul_f64 v[150:151], v[156:157], v[150:151]
	s_waitcnt lgkmcnt(0)
	v_fma_f64 v[144:145], v[150:151], v[146:147], v[144:145]
	s_waitcnt vmcnt(0)
	v_mul_f64 v[148:149], v[148:149], v[154:155]
	s_clause 0x3
	buffer_load_dword v150, off, s[36:39], 0 offset:428
	buffer_load_dword v151, off, s[36:39], 0 offset:432
	;; [unrolled: 1-line block ×4, first 2 shown]
	ds_bpermute_b32 v146, v128, v126 offset:28
	ds_bpermute_b32 v147, v128, v127 offset:28
	s_waitcnt lgkmcnt(0)
	v_fma_f64 v[144:145], v[148:149], v[146:147], v[144:145]
	ds_bpermute_b32 v146, v128, v126 offset:32
	ds_bpermute_b32 v147, v128, v127 offset:32
	s_waitcnt vmcnt(0)
	v_mul_f64 v[150:151], v[150:151], v[154:155]
	s_clause 0x3
	buffer_load_dword v148, off, s[36:39], 0 offset:468
	buffer_load_dword v149, off, s[36:39], 0 offset:472
	buffer_load_dword v154, off, s[36:39], 0 offset:476
	buffer_load_dword v155, off, s[36:39], 0 offset:480
	s_waitcnt lgkmcnt(0)
	v_fma_f64 v[144:145], v[150:151], v[146:147], v[144:145]
	ds_bpermute_b32 v146, v128, v126 offset:36
	ds_bpermute_b32 v147, v128, v127 offset:36
	s_waitcnt vmcnt(0)
	v_mul_f64 v[148:149], v[148:149], v[154:155]
	s_clause 0x3
	buffer_load_dword v150, off, s[36:39], 0 offset:460
	buffer_load_dword v151, off, s[36:39], 0 offset:464
	buffer_load_dword v154, off, s[36:39], 0 offset:484
	buffer_load_dword v155, off, s[36:39], 0 offset:488
	;; [unrolled: 11-line block ×8, first 2 shown]
	s_waitcnt lgkmcnt(0)
	v_fma_f64 v[144:145], v[148:149], v[146:147], v[144:145]
	ds_bpermute_b32 v146, v128, v126 offset:64
	ds_bpermute_b32 v147, v128, v127 offset:64
	v_mul_f64 v[148:149], v[205:206], v[207:208]
	s_waitcnt vmcnt(0)
	v_mul_f64 v[150:151], v[150:151], v[154:155]
	s_waitcnt lgkmcnt(0)
	v_fma_f64 v[144:145], v[150:151], v[146:147], v[144:145]
	ds_bpermute_b32 v146, v128, v126 offset:68
	ds_bpermute_b32 v147, v128, v127 offset:68
	v_mul_f64 v[150:151], v[203:204], v[209:210]
	s_waitcnt lgkmcnt(0)
	v_fma_f64 v[144:145], v[148:149], v[146:147], v[144:145]
	ds_bpermute_b32 v146, v128, v126 offset:72
	ds_bpermute_b32 v147, v128, v127 offset:72
	;; [unrolled: 5-line block ×12, first 2 shown]
	s_waitcnt lgkmcnt(0)
	v_fma_f64 v[144:145], v[150:151], v[146:147], v[144:145]
	ds_bpermute_b32 v146, v128, v126 offset:116
	ds_bpermute_b32 v147, v128, v127 offset:116
	v_mov_b32_e32 v150, v152
	v_mov_b32_e32 v151, v153
	s_waitcnt lgkmcnt(0)
	v_fma_f64 v[131:132], v[131:132], v[146:147], v[144:145]
	ds_bpermute_b32 v144, v128, v126 offset:120
	ds_bpermute_b32 v145, v128, v127 offset:120
	;; [unrolled: 1-line block ×4, first 2 shown]
	s_waitcnt lgkmcnt(2)
	v_fma_f64 v[0:1], v[0:1], v[144:145], v[131:132]
	s_waitcnt lgkmcnt(0)
	v_fma_f64 v[126:127], v[135:136], v[126:127], v[0:1]
.LBB120_212:                            ;   in Loop: Header=BB120_144 Depth=1
	s_and_b32 vcc_lo, exec_lo, s7
	s_cbranch_vccz .LBB120_216
; %bb.213:                              ;   in Loop: Header=BB120_144 Depth=1
	s_load_dword s7, s[20:21], 0x0
	s_waitcnt lgkmcnt(0)
	s_cmp_lt_u32 s6, s7
	s_cselect_b32 s7, 12, 18
	s_add_u32 s24, s20, s7
	s_addc_u32 s25, s21, 0
	s_mov_b32 s7, exec_lo
	global_load_ushort v0, v128, s[24:25]
	s_clause 0x2
	buffer_load_dword v126, off, s[36:39], 0 offset:348
	buffer_load_dword v127, off, s[36:39], 0 offset:352
	buffer_load_dword v1, off, s[36:39], 0 offset:8
	s_waitcnt vmcnt(0)
	v_mad_u32_u24 v0, v126, v0, v1
	v_mov_b32_e32 v126, 0
	v_mov_b32_e32 v127, 0
	v_and_b32_e32 v0, 31, v0
	v_add_co_u32 v0, vcc_lo, v133, v0
	v_add_co_ci_u32_e64 v1, null, 0, v134, vcc_lo
	v_cmpx_gt_i64_e64 s[8:9], v[0:1]
	s_cbranch_execz .LBB120_215
; %bb.214:                              ;   in Loop: Header=BB120_144 Depth=1
	v_lshlrev_b64 v[0:1], 3, v[0:1]
	v_add_co_u32 v0, vcc_lo, s16, v0
	v_add_co_ci_u32_e64 v1, null, s17, v1, vcc_lo
	global_load_dwordx2 v[126:127], v[0:1], off
.LBB120_215:                            ;   in Loop: Header=BB120_144 Depth=1
	s_or_b32 exec_lo, exec_lo, s7
	v_add_co_u32 v0, vcc_lo, v137, v129
	v_add_co_ci_u32_e64 v1, null, v138, v130, vcc_lo
	v_add_co_u32 v131, vcc_lo, v139, v129
	v_add_co_ci_u32_e64 v132, null, v140, v130, vcc_lo
	global_load_dwordx2 v[0:1], v[0:1], off
	global_load_dwordx2 v[131:132], v[131:132], off
	s_waitcnt vmcnt(0)
	v_mul_f64 v[0:1], v[0:1], v[131:132]
	ds_bpermute_b32 v131, v128, v126
	ds_bpermute_b32 v132, v128, v127
	s_waitcnt lgkmcnt(0)
	v_fma_f64 v[0:1], v[0:1], v[131:132], v[150:151]
	v_add_co_u32 v131, vcc_lo, v2, v129
	v_add_co_ci_u32_e64 v132, null, v3, v130, vcc_lo
	v_add_co_u32 v133, vcc_lo, v20, v129
	v_add_co_ci_u32_e64 v134, null, v21, v130, vcc_lo
	global_load_dwordx2 v[131:132], v[131:132], off
	global_load_dwordx2 v[133:134], v[133:134], off
	s_waitcnt vmcnt(0)
	v_mul_f64 v[131:132], v[131:132], v[133:134]
	ds_bpermute_b32 v133, v128, v126 offset:4
	ds_bpermute_b32 v134, v128, v127 offset:4
	s_waitcnt lgkmcnt(0)
	v_fma_f64 v[0:1], v[131:132], v[133:134], v[0:1]
	v_add_co_u32 v131, vcc_lo, v4, v129
	v_add_co_ci_u32_e64 v132, null, v5, v130, vcc_lo
	v_add_co_u32 v133, vcc_lo, v22, v129
	v_add_co_ci_u32_e64 v134, null, v23, v130, vcc_lo
	global_load_dwordx2 v[131:132], v[131:132], off
	global_load_dwordx2 v[133:134], v[133:134], off
	s_waitcnt vmcnt(0)
	v_mul_f64 v[131:132], v[131:132], v[133:134]
	ds_bpermute_b32 v133, v128, v126 offset:8
	ds_bpermute_b32 v134, v128, v127 offset:8
	;; [unrolled: 12-line block ×30, first 2 shown]
	ds_bpermute_b32 v126, v128, v126 offset:124
	ds_bpermute_b32 v127, v128, v127 offset:124
	s_waitcnt lgkmcnt(2)
	v_fma_f64 v[0:1], v[131:132], v[133:134], v[0:1]
	v_add_co_u32 v131, vcc_lo, v122, v129
	v_add_co_ci_u32_e64 v132, null, v123, v130, vcc_lo
	v_add_co_u32 v133, vcc_lo, v124, v129
	v_add_co_ci_u32_e64 v134, null, v125, v130, vcc_lo
	global_load_dwordx2 v[131:132], v[131:132], off
	global_load_dwordx2 v[133:134], v[133:134], off
	s_waitcnt vmcnt(0)
	v_mul_f64 v[131:132], v[131:132], v[133:134]
	s_waitcnt lgkmcnt(0)
	v_fma_f64 v[126:127], v[131:132], v[126:127], v[0:1]
.LBB120_216:                            ;   in Loop: Header=BB120_144 Depth=1
	buffer_load_dword v0, off, s[36:39], 0  ; 4-byte Folded Reload
	v_add_co_u32 v137, vcc_lo, v137, s12
	v_add_co_ci_u32_e64 v138, null, s13, v138, vcc_lo
	v_add_co_u32 v139, vcc_lo, v139, s12
	v_add_co_ci_u32_e64 v140, null, s13, v140, vcc_lo
	;; [unrolled: 2-line block ×64, first 2 shown]
	s_add_u32 s22, s22, s1
	s_addc_u32 s23, s23, 0
	s_add_u32 s14, s14, s1
	v_cmp_ge_i64_e64 s7, s[22:23], s[8:9]
	s_addc_u32 s15, 0, s15
	s_waitcnt vmcnt(0)
	v_add_co_u32 v0, vcc_lo, v0, s1
	v_add_co_ci_u32_e64 v143, null, 0, v143, vcc_lo
	buffer_store_dword v0, off, s[36:39], 0 ; 4-byte Folded Spill
	buffer_load_dword v0, off, s[36:39], 0 offset:12 ; 4-byte Folded Reload
	s_waitcnt vmcnt(0)
	v_add_co_u32 v0, vcc_lo, v0, s12
	buffer_store_dword v0, off, s[36:39], 0 offset:12 ; 4-byte Folded Spill
	buffer_load_dword v0, off, s[36:39], 0 offset:20 ; 4-byte Folded Reload
	s_waitcnt vmcnt(0)
	v_add_co_ci_u32_e64 v0, null, s13, v0, vcc_lo
	buffer_store_dword v0, off, s[36:39], 0 offset:20 ; 4-byte Folded Spill
	buffer_load_dword v0, off, s[36:39], 0 offset:28 ; 4-byte Folded Reload
	s_waitcnt vmcnt(0)
	v_add_co_u32 v0, vcc_lo, v0, s12
	buffer_store_dword v0, off, s[36:39], 0 offset:28 ; 4-byte Folded Spill
	buffer_load_dword v0, off, s[36:39], 0 offset:36 ; 4-byte Folded Reload
	s_waitcnt vmcnt(0)
	v_add_co_ci_u32_e64 v0, null, s13, v0, vcc_lo
	buffer_store_dword v0, off, s[36:39], 0 offset:36 ; 4-byte Folded Spill
	;; [unrolled: 8-line block ×38, first 2 shown]
	buffer_load_dword v0, off, s[36:39], 0 offset:340 ; 4-byte Folded Reload
	s_waitcnt vmcnt(0)
	v_add_co_u32 v0, vcc_lo, v0, s12
	buffer_store_dword v0, off, s[36:39], 0 offset:340 ; 4-byte Folded Spill
	buffer_load_dword v0, off, s[36:39], 0 offset:344 ; 4-byte Folded Reload
	s_waitcnt vmcnt(0)
	v_add_co_ci_u32_e64 v0, null, s13, v0, vcc_lo
	v_add_co_u32 v158, vcc_lo, v158, s12
	v_add_co_ci_u32_e64 v159, null, s13, v159, vcc_lo
	v_add_co_u32 v160, vcc_lo, v160, s12
	v_add_co_ci_u32_e64 v161, null, s13, v161, vcc_lo
	v_add_co_u32 v162, vcc_lo, v162, s12
	v_add_co_ci_u32_e64 v163, null, s13, v163, vcc_lo
	v_add_co_u32 v164, vcc_lo, v164, s12
	v_add_co_ci_u32_e64 v165, null, s13, v165, vcc_lo
	v_add_co_u32 v166, vcc_lo, v166, s12
	v_add_co_ci_u32_e64 v167, null, s13, v167, vcc_lo
	v_add_co_u32 v168, vcc_lo, v168, s12
	v_add_co_ci_u32_e64 v169, null, s13, v169, vcc_lo
	v_add_co_u32 v170, vcc_lo, v170, s12
	v_add_co_ci_u32_e64 v171, null, s13, v171, vcc_lo
	v_add_co_u32 v172, vcc_lo, v172, s12
	v_add_co_ci_u32_e64 v255, null, s13, v255, vcc_lo
	v_add_co_u32 v173, vcc_lo, v173, s12
	v_add_co_ci_u32_e64 v174, null, s13, v174, vcc_lo
	v_add_co_u32 v175, vcc_lo, v175, s12
	v_add_co_ci_u32_e64 v176, null, s13, v176, vcc_lo
	v_add_co_u32 v177, vcc_lo, v177, s12
	v_add_co_ci_u32_e64 v178, null, s13, v178, vcc_lo
	v_add_co_u32 v179, vcc_lo, v179, s12
	v_add_co_ci_u32_e64 v180, null, s13, v180, vcc_lo
	v_add_co_u32 v181, vcc_lo, v181, s12
	v_add_co_ci_u32_e64 v182, null, s13, v182, vcc_lo
	v_add_co_u32 v183, vcc_lo, v183, s12
	v_add_co_ci_u32_e64 v184, null, s13, v184, vcc_lo
	v_add_co_u32 v185, vcc_lo, v185, s12
	v_add_co_ci_u32_e64 v186, null, s13, v186, vcc_lo
	v_add_co_u32 v187, vcc_lo, v187, s12
	v_add_co_ci_u32_e64 v188, null, s13, v188, vcc_lo
	v_add_co_u32 v189, vcc_lo, v189, s12
	v_add_co_ci_u32_e64 v190, null, s13, v190, vcc_lo
	v_add_co_u32 v191, vcc_lo, v191, s12
	v_add_co_ci_u32_e64 v192, null, s13, v192, vcc_lo
	v_add_co_u32 v193, vcc_lo, v193, s12
	v_add_co_ci_u32_e64 v194, null, s13, v194, vcc_lo
	v_add_co_u32 v195, vcc_lo, v195, s12
	v_add_co_ci_u32_e64 v196, null, s13, v196, vcc_lo
	v_add_co_u32 v197, vcc_lo, v197, s12
	v_add_co_ci_u32_e64 v198, null, s13, v198, vcc_lo
	v_add_co_u32 v199, vcc_lo, v199, s12
	v_add_co_ci_u32_e64 v200, null, s13, v200, vcc_lo
	v_add_co_u32 v141, vcc_lo, v141, s12
	v_add_co_ci_u32_e64 v142, null, s13, v142, vcc_lo
	s_and_b32 vcc_lo, exec_lo, s7
	buffer_store_dword v0, off, s[36:39], 0 offset:344 ; 4-byte Folded Spill
	s_cbranch_vccnz .LBB120_218
; %bb.217:                              ;   in Loop: Header=BB120_144 Depth=1
	v_mov_b32_e32 v151, v127
	v_mov_b32_e32 v150, v126
	s_branch .LBB120_144
.LBB120_218:
	buffer_load_dword v0, off, s[36:39], 0 offset:8 ; 4-byte Folded Reload
	s_mov_b32 s7, 0
	s_lshl_b64 s[6:7], s[6:7], 6
	s_waitcnt lgkmcnt(0)
	s_cmp_lg_u64 s[2:3], 0
	v_mov_b32_e32 v1, s7
	s_cselect_b32 s1, -1, 0
	s_waitcnt vmcnt(0)
	v_or_b32_e32 v0, s6, v0
	v_cmp_gt_i64_e32 vcc_lo, s[10:11], v[0:1]
	s_and_b32 s1, vcc_lo, s1
	s_and_saveexec_b32 s6, s1
	s_cbranch_execz .LBB120_220
; %bb.219:
	s_load_dword s1, s[4:5], 0x4c
	s_clause 0x1
	buffer_load_dword v2, off, s[36:39], 0 offset:348
	buffer_load_dword v3, off, s[36:39], 0 offset:352
	s_waitcnt vmcnt(0)
	v_mov_b32_e32 v3, 0
	v_lshlrev_b64 v[0:1], 3, v[0:1]
	s_waitcnt lgkmcnt(0)
	s_lshr_b32 s1, s1, 16
	v_mad_u64_u32 v[2:3], null, s1, s0, v[2:3]
	v_mul_lo_u32 v4, v3, s10
	v_mul_lo_u32 v5, v2, s11
	v_mad_u64_u32 v[2:3], null, v2, s10, 0
	v_add3_u32 v3, v3, v5, v4
	v_lshlrev_b64 v[2:3], 3, v[2:3]
	v_add_co_u32 v2, vcc_lo, s2, v2
	v_add_co_ci_u32_e64 v3, null, s3, v3, vcc_lo
	v_add_co_u32 v0, vcc_lo, v2, v0
	v_add_co_ci_u32_e64 v1, null, v3, v1, vcc_lo
	global_store_dwordx2 v[0:1], v[126:127], off
.LBB120_220:
	s_endpgm
	.section	.rodata,"a",@progbits
	.p2align	6, 0x0
	.amdhsa_kernel _ZN2at6native12_GLOBAL__N_135GammaBetaBackwardCUDAKernelTemplateIddLj64ELj1ELj32ELb1ELb0ELb1EEEvllPKT_S5_PKT0_S8_PS3_S9_
		.amdhsa_group_segment_fixed_size 0
		.amdhsa_private_segment_fixed_size 592
		.amdhsa_kernarg_size 320
		.amdhsa_user_sgpr_count 6
		.amdhsa_user_sgpr_private_segment_buffer 1
		.amdhsa_user_sgpr_dispatch_ptr 0
		.amdhsa_user_sgpr_queue_ptr 0
		.amdhsa_user_sgpr_kernarg_segment_ptr 1
		.amdhsa_user_sgpr_dispatch_id 0
		.amdhsa_user_sgpr_flat_scratch_init 0
		.amdhsa_user_sgpr_private_segment_size 0
		.amdhsa_wavefront_size32 1
		.amdhsa_uses_dynamic_stack 0
		.amdhsa_system_sgpr_private_segment_wavefront_offset 1
		.amdhsa_system_sgpr_workgroup_id_x 1
		.amdhsa_system_sgpr_workgroup_id_y 1
		.amdhsa_system_sgpr_workgroup_id_z 0
		.amdhsa_system_sgpr_workgroup_info 0
		.amdhsa_system_vgpr_workitem_id 1
		.amdhsa_next_free_vgpr 256
		.amdhsa_next_free_sgpr 40
		.amdhsa_reserve_vcc 1
		.amdhsa_reserve_flat_scratch 0
		.amdhsa_float_round_mode_32 0
		.amdhsa_float_round_mode_16_64 0
		.amdhsa_float_denorm_mode_32 3
		.amdhsa_float_denorm_mode_16_64 3
		.amdhsa_dx10_clamp 1
		.amdhsa_ieee_mode 1
		.amdhsa_fp16_overflow 0
		.amdhsa_workgroup_processor_mode 1
		.amdhsa_memory_ordered 1
		.amdhsa_forward_progress 1
		.amdhsa_shared_vgpr_count 0
		.amdhsa_exception_fp_ieee_invalid_op 0
		.amdhsa_exception_fp_denorm_src 0
		.amdhsa_exception_fp_ieee_div_zero 0
		.amdhsa_exception_fp_ieee_overflow 0
		.amdhsa_exception_fp_ieee_underflow 0
		.amdhsa_exception_fp_ieee_inexact 0
		.amdhsa_exception_int_div_zero 0
	.end_amdhsa_kernel
	.section	.text._ZN2at6native12_GLOBAL__N_135GammaBetaBackwardCUDAKernelTemplateIddLj64ELj1ELj32ELb1ELb0ELb1EEEvllPKT_S5_PKT0_S8_PS3_S9_,"axG",@progbits,_ZN2at6native12_GLOBAL__N_135GammaBetaBackwardCUDAKernelTemplateIddLj64ELj1ELj32ELb1ELb0ELb1EEEvllPKT_S5_PKT0_S8_PS3_S9_,comdat
.Lfunc_end120:
	.size	_ZN2at6native12_GLOBAL__N_135GammaBetaBackwardCUDAKernelTemplateIddLj64ELj1ELj32ELb1ELb0ELb1EEEvllPKT_S5_PKT0_S8_PS3_S9_, .Lfunc_end120-_ZN2at6native12_GLOBAL__N_135GammaBetaBackwardCUDAKernelTemplateIddLj64ELj1ELj32ELb1ELb0ELb1EEEvllPKT_S5_PKT0_S8_PS3_S9_
                                        ; -- End function
	.set _ZN2at6native12_GLOBAL__N_135GammaBetaBackwardCUDAKernelTemplateIddLj64ELj1ELj32ELb1ELb0ELb1EEEvllPKT_S5_PKT0_S8_PS3_S9_.num_vgpr, 256
	.set _ZN2at6native12_GLOBAL__N_135GammaBetaBackwardCUDAKernelTemplateIddLj64ELj1ELj32ELb1ELb0ELb1EEEvllPKT_S5_PKT0_S8_PS3_S9_.num_agpr, 0
	.set _ZN2at6native12_GLOBAL__N_135GammaBetaBackwardCUDAKernelTemplateIddLj64ELj1ELj32ELb1ELb0ELb1EEEvllPKT_S5_PKT0_S8_PS3_S9_.numbered_sgpr, 40
	.set _ZN2at6native12_GLOBAL__N_135GammaBetaBackwardCUDAKernelTemplateIddLj64ELj1ELj32ELb1ELb0ELb1EEEvllPKT_S5_PKT0_S8_PS3_S9_.num_named_barrier, 0
	.set _ZN2at6native12_GLOBAL__N_135GammaBetaBackwardCUDAKernelTemplateIddLj64ELj1ELj32ELb1ELb0ELb1EEEvllPKT_S5_PKT0_S8_PS3_S9_.private_seg_size, 592
	.set _ZN2at6native12_GLOBAL__N_135GammaBetaBackwardCUDAKernelTemplateIddLj64ELj1ELj32ELb1ELb0ELb1EEEvllPKT_S5_PKT0_S8_PS3_S9_.uses_vcc, 1
	.set _ZN2at6native12_GLOBAL__N_135GammaBetaBackwardCUDAKernelTemplateIddLj64ELj1ELj32ELb1ELb0ELb1EEEvllPKT_S5_PKT0_S8_PS3_S9_.uses_flat_scratch, 0
	.set _ZN2at6native12_GLOBAL__N_135GammaBetaBackwardCUDAKernelTemplateIddLj64ELj1ELj32ELb1ELb0ELb1EEEvllPKT_S5_PKT0_S8_PS3_S9_.has_dyn_sized_stack, 0
	.set _ZN2at6native12_GLOBAL__N_135GammaBetaBackwardCUDAKernelTemplateIddLj64ELj1ELj32ELb1ELb0ELb1EEEvllPKT_S5_PKT0_S8_PS3_S9_.has_recursion, 0
	.set _ZN2at6native12_GLOBAL__N_135GammaBetaBackwardCUDAKernelTemplateIddLj64ELj1ELj32ELb1ELb0ELb1EEEvllPKT_S5_PKT0_S8_PS3_S9_.has_indirect_call, 0
	.section	.AMDGPU.csdata,"",@progbits
; Kernel info:
; codeLenInByte = 32816
; TotalNumSgprs: 42
; NumVgprs: 256
; ScratchSize: 592
; MemoryBound: 1
; FloatMode: 240
; IeeeMode: 1
; LDSByteSize: 0 bytes/workgroup (compile time only)
; SGPRBlocks: 0
; VGPRBlocks: 31
; NumSGPRsForWavesPerEU: 42
; NumVGPRsForWavesPerEU: 256
; Occupancy: 4
; WaveLimiterHint : 0
; COMPUTE_PGM_RSRC2:SCRATCH_EN: 1
; COMPUTE_PGM_RSRC2:USER_SGPR: 6
; COMPUTE_PGM_RSRC2:TRAP_HANDLER: 0
; COMPUTE_PGM_RSRC2:TGID_X_EN: 1
; COMPUTE_PGM_RSRC2:TGID_Y_EN: 1
; COMPUTE_PGM_RSRC2:TGID_Z_EN: 0
; COMPUTE_PGM_RSRC2:TIDIG_COMP_CNT: 1
	.section	.text._ZN2at6native12_GLOBAL__N_135GammaBetaBackwardCUDAKernelTemplateIddLj64ELj1ELj8ELb1ELb1ELb1EEEvllPKT_S5_PKT0_S8_PS3_S9_,"axG",@progbits,_ZN2at6native12_GLOBAL__N_135GammaBetaBackwardCUDAKernelTemplateIddLj64ELj1ELj8ELb1ELb1ELb1EEEvllPKT_S5_PKT0_S8_PS3_S9_,comdat
	.globl	_ZN2at6native12_GLOBAL__N_135GammaBetaBackwardCUDAKernelTemplateIddLj64ELj1ELj8ELb1ELb1ELb1EEEvllPKT_S5_PKT0_S8_PS3_S9_ ; -- Begin function _ZN2at6native12_GLOBAL__N_135GammaBetaBackwardCUDAKernelTemplateIddLj64ELj1ELj8ELb1ELb1ELb1EEEvllPKT_S5_PKT0_S8_PS3_S9_
	.p2align	8
	.type	_ZN2at6native12_GLOBAL__N_135GammaBetaBackwardCUDAKernelTemplateIddLj64ELj1ELj8ELb1ELb1ELb1EEEvllPKT_S5_PKT0_S8_PS3_S9_,@function
_ZN2at6native12_GLOBAL__N_135GammaBetaBackwardCUDAKernelTemplateIddLj64ELj1ELj8ELb1ELb1ELb1EEEvllPKT_S5_PKT0_S8_PS3_S9_: ; @_ZN2at6native12_GLOBAL__N_135GammaBetaBackwardCUDAKernelTemplateIddLj64ELj1ELj8ELb1ELb1ELb1EEEvllPKT_S5_PKT0_S8_PS3_S9_
; %bb.0:
	s_clause 0x1
	s_load_dwordx4 s[8:11], s[4:5], 0x0
	s_load_dwordx2 s[2:3], s[4:5], 0x30
	s_lshl_b32 s16, s7, 3
	s_mov_b32 s17, 0
	v_mov_b32_e32 v8, 0
	v_mov_b32_e32 v9, 0
	s_waitcnt lgkmcnt(0)
	v_cmp_le_i64_e64 s0, s[8:9], s[16:17]
	s_and_b32 vcc_lo, exec_lo, s0
	s_cbranch_vccnz .LBB121_7
; %bb.1:
	s_clause 0x3
	s_load_dword s0, s[4:5], 0x4c
	s_load_dword s1, s[4:5], 0x44
	s_load_dwordx4 s[12:15], s[4:5], 0x10
	s_load_dwordx2 s[20:21], s[4:5], 0x28
	v_lshlrev_b32_e32 v4, 3, v1
	v_mov_b32_e32 v3, 0
	v_lshl_or_b32 v2, s6, 6, v0
	v_mov_b32_e32 v12, 8
	v_mov_b32_e32 v13, 4
	v_add_co_u32 v4, s18, v4, s16
	v_add_co_ci_u32_e64 v5, null, 0, 0, s18
	v_lshlrev_b64 v[8:9], 3, v[2:3]
	v_mul_lo_u32 v10, s11, v4
	v_mov_b32_e32 v14, 12
	v_mul_lo_u32 v11, s10, v5
	v_mov_b32_e32 v15, 16
	v_mov_b32_e32 v16, 20
	v_mov_b32_e32 v17, 24
	s_waitcnt lgkmcnt(0)
	s_and_b32 s0, s0, 0xffff
	s_lshl_b32 s18, s1, 3
	v_mad_u32_u24 v6, v1, s0, v0
	s_mul_i32 s1, s11, s18
	s_mul_hi_u32 s22, s10, s18
	v_mov_b32_e32 v18, 28
	s_mov_b32 s19, s17
	v_and_b32_e32 v21, 31, v6
	v_mad_u64_u32 v[6:7], null, s10, v4, 0
	s_add_i32 s23, s22, s1
	s_mul_i32 s22, s10, s18
	v_add_co_u32 v4, vcc_lo, v4, v21
	v_add_co_ci_u32_e64 v5, null, 0, v5, vcc_lo
	v_add3_u32 v7, v7, v11, v10
	v_cmp_gt_u32_e64 s0, 8, v21
	s_lshl_b64 s[22:23], s[22:23], 3
	v_lshlrev_b64 v[10:11], 3, v[4:5]
	s_lshl_b64 s[24:25], s[10:11], 3
	v_lshlrev_b64 v[19:20], 3, v[6:7]
	v_add_co_u32 v6, vcc_lo, s20, v10
	v_add_co_ci_u32_e64 v7, null, s21, v11, vcc_lo
	v_add_co_u32 v2, vcc_lo, v19, v8
	v_add_co_ci_u32_e64 v19, null, v20, v9, vcc_lo
	v_mov_b32_e32 v8, 0
	v_mov_b32_e32 v9, 0
	s_lshl_b64 s[20:21], s[18:19], 3
	s_branch .LBB121_4
.LBB121_2:                              ;   in Loop: Header=BB121_4 Depth=1
	s_or_b32 exec_lo, exec_lo, s19
.LBB121_3:                              ;   in Loop: Header=BB121_4 Depth=1
	s_or_b32 exec_lo, exec_lo, s1
	v_add_co_u32 v20, vcc_lo, s12, v2
	v_add_co_ci_u32_e64 v21, null, s13, v19, vcc_lo
	v_add_co_u32 v22, vcc_lo, s14, v2
	v_add_co_ci_u32_e64 v23, null, s15, v19, vcc_lo
	global_load_dwordx2 v[24:25], v[20:21], off
	global_load_dwordx2 v[26:27], v[22:23], off
	v_add_co_u32 v20, vcc_lo, v20, s24
	v_add_co_ci_u32_e64 v21, null, s25, v21, vcc_lo
	v_add_co_u32 v22, vcc_lo, v22, s24
	v_add_co_ci_u32_e64 v23, null, s25, v23, vcc_lo
	global_load_dwordx2 v[28:29], v[20:21], off
	global_load_dwordx2 v[30:31], v[22:23], off
	;; [unrolled: 6-line block ×8, first 2 shown]
	s_add_u32 s16, s16, s18
	v_add_co_u32 v6, vcc_lo, v6, s20
	s_addc_u32 s17, s17, 0
	v_add_co_ci_u32_e64 v7, null, s21, v7, vcc_lo
	v_add_co_u32 v4, vcc_lo, v4, s18
	v_cmp_lt_i64_e64 s1, s[16:17], s[8:9]
	v_add_co_ci_u32_e64 v5, null, 0, v5, vcc_lo
	v_add_co_u32 v2, vcc_lo, v2, s22
	v_add_co_ci_u32_e64 v19, null, s23, v19, vcc_lo
	s_and_b32 vcc_lo, exec_lo, s1
	s_waitcnt vmcnt(14)
	v_mul_f64 v[24:25], v[24:25], v[26:27]
	ds_bpermute_b32 v26, v3, v10
	ds_bpermute_b32 v27, v3, v11
	s_waitcnt vmcnt(12)
	v_mul_f64 v[28:29], v[28:29], v[30:31]
	s_waitcnt lgkmcnt(0)
	v_fma_f64 v[8:9], v[24:25], v[26:27], v[8:9]
	ds_bpermute_b32 v24, v13, v10
	ds_bpermute_b32 v25, v13, v11
	s_waitcnt vmcnt(10)
	v_mul_f64 v[26:27], v[32:33], v[34:35]
	s_waitcnt lgkmcnt(0)
	v_fma_f64 v[8:9], v[28:29], v[24:25], v[8:9]
	;; [unrolled: 6-line block ×3, first 2 shown]
	ds_bpermute_b32 v24, v14, v10
	ds_bpermute_b32 v25, v14, v11
	s_waitcnt vmcnt(6)
	v_mul_f64 v[26:27], v[40:41], v[42:43]
	s_waitcnt vmcnt(0)
	v_mul_f64 v[20:21], v[20:21], v[22:23]
	s_waitcnt lgkmcnt(0)
	v_fma_f64 v[8:9], v[28:29], v[24:25], v[8:9]
	ds_bpermute_b32 v24, v15, v10
	ds_bpermute_b32 v25, v15, v11
	v_mul_f64 v[28:29], v[44:45], v[46:47]
	s_waitcnt lgkmcnt(0)
	v_fma_f64 v[8:9], v[26:27], v[24:25], v[8:9]
	ds_bpermute_b32 v24, v16, v10
	ds_bpermute_b32 v25, v16, v11
	;; [unrolled: 5-line block ×3, first 2 shown]
	ds_bpermute_b32 v10, v18, v10
	ds_bpermute_b32 v11, v18, v11
	s_waitcnt lgkmcnt(2)
	v_fma_f64 v[8:9], v[26:27], v[24:25], v[8:9]
	s_waitcnt lgkmcnt(0)
	v_fma_f64 v[8:9], v[20:21], v[10:11], v[8:9]
	s_cbranch_vccz .LBB121_7
.LBB121_4:                              ; =>This Inner Loop Header: Depth=1
	v_mov_b32_e32 v10, 0
	v_mov_b32_e32 v11, 0
	s_and_saveexec_b32 s1, s0
	s_cbranch_execz .LBB121_3
; %bb.5:                                ;   in Loop: Header=BB121_4 Depth=1
	v_mov_b32_e32 v10, 0
	v_mov_b32_e32 v11, 0
	s_mov_b32 s19, exec_lo
	v_cmpx_gt_i64_e64 s[8:9], v[4:5]
	s_cbranch_execz .LBB121_2
; %bb.6:                                ;   in Loop: Header=BB121_4 Depth=1
	global_load_dwordx2 v[10:11], v[6:7], off
	s_branch .LBB121_2
.LBB121_7:
	s_cmp_eq_u64 s[2:3], 0
	s_cbranch_scc1 .LBB121_9
; %bb.8:
	s_load_dword s0, s[4:5], 0x4c
	v_mov_b32_e32 v2, 0
	v_lshlrev_b32_e32 v0, 3, v0
	s_waitcnt lgkmcnt(0)
	s_lshr_b32 s0, s0, 16
	v_mad_u64_u32 v[1:2], null, s0, s7, v[1:2]
	s_mov_b32 s7, 0
	s_lshl_b64 s[0:1], s[6:7], 9
	v_mul_lo_u32 v3, v2, s10
	v_mul_lo_u32 v4, v1, s11
	v_mad_u64_u32 v[1:2], null, v1, s10, 0
	v_add3_u32 v2, v2, v4, v3
	v_lshlrev_b64 v[1:2], 3, v[1:2]
	v_add_co_u32 v1, vcc_lo, s2, v1
	v_add_co_ci_u32_e64 v2, null, s3, v2, vcc_lo
	v_add_co_u32 v1, vcc_lo, v1, s0
	v_add_co_ci_u32_e64 v2, null, s1, v2, vcc_lo
	;; [unrolled: 2-line block ×3, first 2 shown]
	global_store_dwordx2 v[0:1], v[8:9], off
.LBB121_9:
	s_endpgm
	.section	.rodata,"a",@progbits
	.p2align	6, 0x0
	.amdhsa_kernel _ZN2at6native12_GLOBAL__N_135GammaBetaBackwardCUDAKernelTemplateIddLj64ELj1ELj8ELb1ELb1ELb1EEEvllPKT_S5_PKT0_S8_PS3_S9_
		.amdhsa_group_segment_fixed_size 0
		.amdhsa_private_segment_fixed_size 0
		.amdhsa_kernarg_size 320
		.amdhsa_user_sgpr_count 6
		.amdhsa_user_sgpr_private_segment_buffer 1
		.amdhsa_user_sgpr_dispatch_ptr 0
		.amdhsa_user_sgpr_queue_ptr 0
		.amdhsa_user_sgpr_kernarg_segment_ptr 1
		.amdhsa_user_sgpr_dispatch_id 0
		.amdhsa_user_sgpr_flat_scratch_init 0
		.amdhsa_user_sgpr_private_segment_size 0
		.amdhsa_wavefront_size32 1
		.amdhsa_uses_dynamic_stack 0
		.amdhsa_system_sgpr_private_segment_wavefront_offset 0
		.amdhsa_system_sgpr_workgroup_id_x 1
		.amdhsa_system_sgpr_workgroup_id_y 1
		.amdhsa_system_sgpr_workgroup_id_z 0
		.amdhsa_system_sgpr_workgroup_info 0
		.amdhsa_system_vgpr_workitem_id 1
		.amdhsa_next_free_vgpr 52
		.amdhsa_next_free_sgpr 26
		.amdhsa_reserve_vcc 1
		.amdhsa_reserve_flat_scratch 0
		.amdhsa_float_round_mode_32 0
		.amdhsa_float_round_mode_16_64 0
		.amdhsa_float_denorm_mode_32 3
		.amdhsa_float_denorm_mode_16_64 3
		.amdhsa_dx10_clamp 1
		.amdhsa_ieee_mode 1
		.amdhsa_fp16_overflow 0
		.amdhsa_workgroup_processor_mode 1
		.amdhsa_memory_ordered 1
		.amdhsa_forward_progress 1
		.amdhsa_shared_vgpr_count 0
		.amdhsa_exception_fp_ieee_invalid_op 0
		.amdhsa_exception_fp_denorm_src 0
		.amdhsa_exception_fp_ieee_div_zero 0
		.amdhsa_exception_fp_ieee_overflow 0
		.amdhsa_exception_fp_ieee_underflow 0
		.amdhsa_exception_fp_ieee_inexact 0
		.amdhsa_exception_int_div_zero 0
	.end_amdhsa_kernel
	.section	.text._ZN2at6native12_GLOBAL__N_135GammaBetaBackwardCUDAKernelTemplateIddLj64ELj1ELj8ELb1ELb1ELb1EEEvllPKT_S5_PKT0_S8_PS3_S9_,"axG",@progbits,_ZN2at6native12_GLOBAL__N_135GammaBetaBackwardCUDAKernelTemplateIddLj64ELj1ELj8ELb1ELb1ELb1EEEvllPKT_S5_PKT0_S8_PS3_S9_,comdat
.Lfunc_end121:
	.size	_ZN2at6native12_GLOBAL__N_135GammaBetaBackwardCUDAKernelTemplateIddLj64ELj1ELj8ELb1ELb1ELb1EEEvllPKT_S5_PKT0_S8_PS3_S9_, .Lfunc_end121-_ZN2at6native12_GLOBAL__N_135GammaBetaBackwardCUDAKernelTemplateIddLj64ELj1ELj8ELb1ELb1ELb1EEEvllPKT_S5_PKT0_S8_PS3_S9_
                                        ; -- End function
	.set _ZN2at6native12_GLOBAL__N_135GammaBetaBackwardCUDAKernelTemplateIddLj64ELj1ELj8ELb1ELb1ELb1EEEvllPKT_S5_PKT0_S8_PS3_S9_.num_vgpr, 52
	.set _ZN2at6native12_GLOBAL__N_135GammaBetaBackwardCUDAKernelTemplateIddLj64ELj1ELj8ELb1ELb1ELb1EEEvllPKT_S5_PKT0_S8_PS3_S9_.num_agpr, 0
	.set _ZN2at6native12_GLOBAL__N_135GammaBetaBackwardCUDAKernelTemplateIddLj64ELj1ELj8ELb1ELb1ELb1EEEvllPKT_S5_PKT0_S8_PS3_S9_.numbered_sgpr, 26
	.set _ZN2at6native12_GLOBAL__N_135GammaBetaBackwardCUDAKernelTemplateIddLj64ELj1ELj8ELb1ELb1ELb1EEEvllPKT_S5_PKT0_S8_PS3_S9_.num_named_barrier, 0
	.set _ZN2at6native12_GLOBAL__N_135GammaBetaBackwardCUDAKernelTemplateIddLj64ELj1ELj8ELb1ELb1ELb1EEEvllPKT_S5_PKT0_S8_PS3_S9_.private_seg_size, 0
	.set _ZN2at6native12_GLOBAL__N_135GammaBetaBackwardCUDAKernelTemplateIddLj64ELj1ELj8ELb1ELb1ELb1EEEvllPKT_S5_PKT0_S8_PS3_S9_.uses_vcc, 1
	.set _ZN2at6native12_GLOBAL__N_135GammaBetaBackwardCUDAKernelTemplateIddLj64ELj1ELj8ELb1ELb1ELb1EEEvllPKT_S5_PKT0_S8_PS3_S9_.uses_flat_scratch, 0
	.set _ZN2at6native12_GLOBAL__N_135GammaBetaBackwardCUDAKernelTemplateIddLj64ELj1ELj8ELb1ELb1ELb1EEEvllPKT_S5_PKT0_S8_PS3_S9_.has_dyn_sized_stack, 0
	.set _ZN2at6native12_GLOBAL__N_135GammaBetaBackwardCUDAKernelTemplateIddLj64ELj1ELj8ELb1ELb1ELb1EEEvllPKT_S5_PKT0_S8_PS3_S9_.has_recursion, 0
	.set _ZN2at6native12_GLOBAL__N_135GammaBetaBackwardCUDAKernelTemplateIddLj64ELj1ELj8ELb1ELb1ELb1EEEvllPKT_S5_PKT0_S8_PS3_S9_.has_indirect_call, 0
	.section	.AMDGPU.csdata,"",@progbits
; Kernel info:
; codeLenInByte = 1312
; TotalNumSgprs: 28
; NumVgprs: 52
; ScratchSize: 0
; MemoryBound: 0
; FloatMode: 240
; IeeeMode: 1
; LDSByteSize: 0 bytes/workgroup (compile time only)
; SGPRBlocks: 0
; VGPRBlocks: 6
; NumSGPRsForWavesPerEU: 28
; NumVGPRsForWavesPerEU: 52
; Occupancy: 16
; WaveLimiterHint : 0
; COMPUTE_PGM_RSRC2:SCRATCH_EN: 0
; COMPUTE_PGM_RSRC2:USER_SGPR: 6
; COMPUTE_PGM_RSRC2:TRAP_HANDLER: 0
; COMPUTE_PGM_RSRC2:TGID_X_EN: 1
; COMPUTE_PGM_RSRC2:TGID_Y_EN: 1
; COMPUTE_PGM_RSRC2:TGID_Z_EN: 0
; COMPUTE_PGM_RSRC2:TIDIG_COMP_CNT: 1
	.section	.text._ZN2at6native12_GLOBAL__N_135GammaBetaBackwardCUDAKernelTemplateIddLj64ELj1ELj8ELb1ELb0ELb1EEEvllPKT_S5_PKT0_S8_PS3_S9_,"axG",@progbits,_ZN2at6native12_GLOBAL__N_135GammaBetaBackwardCUDAKernelTemplateIddLj64ELj1ELj8ELb1ELb0ELb1EEEvllPKT_S5_PKT0_S8_PS3_S9_,comdat
	.globl	_ZN2at6native12_GLOBAL__N_135GammaBetaBackwardCUDAKernelTemplateIddLj64ELj1ELj8ELb1ELb0ELb1EEEvllPKT_S5_PKT0_S8_PS3_S9_ ; -- Begin function _ZN2at6native12_GLOBAL__N_135GammaBetaBackwardCUDAKernelTemplateIddLj64ELj1ELj8ELb1ELb0ELb1EEEvllPKT_S5_PKT0_S8_PS3_S9_
	.p2align	8
	.type	_ZN2at6native12_GLOBAL__N_135GammaBetaBackwardCUDAKernelTemplateIddLj64ELj1ELj8ELb1ELb0ELb1EEEvllPKT_S5_PKT0_S8_PS3_S9_,@function
_ZN2at6native12_GLOBAL__N_135GammaBetaBackwardCUDAKernelTemplateIddLj64ELj1ELj8ELb1ELb0ELb1EEEvllPKT_S5_PKT0_S8_PS3_S9_: ; @_ZN2at6native12_GLOBAL__N_135GammaBetaBackwardCUDAKernelTemplateIddLj64ELj1ELj8ELb1ELb0ELb1EEEvllPKT_S5_PKT0_S8_PS3_S9_
; %bb.0:
	s_clause 0x1
	s_load_dwordx8 s[8:15], s[4:5], 0x0
	s_load_dwordx2 s[16:17], s[4:5], 0x28
	s_mov_b32 s0, s7
	s_lshl_b32 s7, s6, 6
	s_mov_b32 s19, 0
	s_or_b32 s18, s7, 63
	s_waitcnt lgkmcnt(0)
	v_cmp_le_i64_e64 s1, s[10:11], s[18:19]
	s_lshl_b32 s18, s0, 3
	v_cmp_gt_i64_e64 s26, s[8:9], s[18:19]
	s_and_b32 vcc_lo, exec_lo, s1
	v_cndmask_b32_e64 v2, 0, 1, s26
	v_cmp_ne_u32_e64 s1, 1, v2
	s_cbranch_vccz .LBB122_48
; %bb.1:
	v_mov_b32_e32 v37, 0
	v_mov_b32_e32 v38, 0
	s_and_b32 vcc_lo, exec_lo, s1
	s_cbranch_vccnz .LBB122_49
; %bb.2:
	v_lshlrev_b32_e32 v45, 3, v1
	v_mov_b32_e32 v2, 0
	v_add_nc_u32_e32 v3, s7, v0
	s_load_dword s2, s[4:5], 0x44
	s_add_u32 s20, s4, 64
	v_add_co_u32 v11, s1, v45, s18
	v_add_co_ci_u32_e64 v12, null, 0, 0, s1
	v_mov_b32_e32 v4, v2
	v_mul_lo_u32 v7, s11, v11
	v_mad_u64_u32 v[5:6], null, s10, v11, 0
	v_mul_lo_u32 v8, s10, v12
	v_cmp_gt_i64_e64 s1, s[10:11], v[3:4]
	v_lshlrev_b64 v[35:36], 3, v[3:4]
	s_addc_u32 s21, s5, 0
	v_mov_b32_e32 v37, 0
	v_mov_b32_e32 v46, v2
	;; [unrolled: 1-line block ×3, first 2 shown]
	s_mov_b64 s[24:25], s[18:19]
	v_add3_u32 v6, v6, v8, v7
	v_add_co_u32 v7, vcc_lo, v11, 7
	v_add_co_ci_u32_e64 v8, null, 0, v12, vcc_lo
	v_add_co_u32 v9, vcc_lo, v11, 6
	v_add_co_ci_u32_e64 v10, null, 0, v12, vcc_lo
	v_lshlrev_b64 v[3:4], 3, v[5:6]
	v_mul_lo_u32 v13, s11, v7
	v_mul_lo_u32 v14, s10, v8
	v_mad_u64_u32 v[7:8], null, s10, v7, 0
	v_mul_lo_u32 v15, s11, v9
	v_mul_lo_u32 v16, s10, v10
	v_mad_u64_u32 v[9:10], null, s10, v9, 0
	v_add_co_u32 v47, vcc_lo, s12, v3
	v_add_co_ci_u32_e64 v48, null, s13, v4, vcc_lo
	v_add_co_u32 v49, vcc_lo, s14, v3
	v_add3_u32 v8, v8, v14, v13
	v_add_co_ci_u32_e64 v50, null, s15, v4, vcc_lo
	v_add_co_u32 v13, vcc_lo, v11, 5
	v_add3_u32 v10, v10, v16, v15
	v_add_co_ci_u32_e64 v14, null, 0, v12, vcc_lo
	v_lshlrev_b64 v[3:4], 3, v[7:8]
	v_mul_lo_u32 v15, s11, v13
	v_lshlrev_b64 v[7:8], 3, v[9:10]
	v_mul_lo_u32 v14, s10, v14
	v_mad_u64_u32 v[9:10], null, s10, v13, 0
	v_add_co_u32 v51, vcc_lo, s12, v3
	v_add_co_ci_u32_e64 v52, null, s13, v4, vcc_lo
	v_add_co_u32 v53, vcc_lo, s14, v3
	s_waitcnt lgkmcnt(0)
	s_lshl_b32 s27, s2, 3
	v_add_co_ci_u32_e64 v54, null, s15, v4, vcc_lo
	v_add_co_u32 v55, vcc_lo, s12, v7
	v_add3_u32 v10, v10, v14, v15
	s_mul_i32 s2, s11, s27
	s_mul_hi_u32 s3, s10, s27
	v_add_co_ci_u32_e64 v56, null, s13, v8, vcc_lo
	v_add_co_u32 v13, vcc_lo, v11, 4
	s_add_i32 s23, s3, s2
	v_add_co_u32 v57, s2, s14, v7
	v_add_co_ci_u32_e64 v7, null, 0, v12, vcc_lo
	v_lshlrev_b64 v[3:4], 3, v[9:10]
	v_add_co_u32 v9, vcc_lo, v11, 3
	v_add_co_ci_u32_e64 v10, null, 0, v12, vcc_lo
	v_add_co_ci_u32_e64 v58, null, s15, v8, s2
	v_mul_lo_u32 v14, s11, v13
	v_mul_lo_u32 v15, s10, v7
	v_mad_u64_u32 v[7:8], null, s10, v13, 0
	v_mul_lo_u32 v13, s11, v9
	v_mul_lo_u32 v16, s10, v10
	v_mad_u64_u32 v[9:10], null, s10, v9, 0
	v_add_co_u32 v59, vcc_lo, s12, v3
	v_add_co_ci_u32_e64 v60, null, s13, v4, vcc_lo
	v_add3_u32 v8, v8, v15, v14
	v_add_co_u32 v61, vcc_lo, s14, v3
	v_add_co_ci_u32_e64 v62, null, s15, v4, vcc_lo
	v_add_co_u32 v11, vcc_lo, v11, 2
	v_add3_u32 v10, v10, v16, v13
	v_add_co_ci_u32_e64 v12, null, 0, v12, vcc_lo
	v_lshlrev_b64 v[3:4], 3, v[7:8]
	v_mul_lo_u32 v13, s11, v11
	v_lshlrev_b64 v[7:8], 3, v[9:10]
	v_mul_lo_u32 v12, s10, v12
	v_mad_u64_u32 v[9:10], null, s10, v11, 0
	v_add_co_u32 v63, vcc_lo, s12, v3
	v_add_co_ci_u32_e64 v64, null, s13, v4, vcc_lo
	v_add_co_u32 v65, vcc_lo, s14, v3
	v_add_co_ci_u32_e64 v66, null, s15, v4, vcc_lo
	;; [unrolled: 2-line block ×3, first 2 shown]
	v_add3_u32 v10, v10, v12, v13
	v_add_co_u32 v69, vcc_lo, s14, v7
	v_add_co_ci_u32_e64 v70, null, s15, v8, vcc_lo
	v_add_co_u32 v5, vcc_lo, v5, s10
	v_add_co_ci_u32_e64 v6, null, s11, v6, vcc_lo
	v_lshlrev_b64 v[3:4], 3, v[9:10]
	s_mul_i32 s22, s10, s27
	v_lshlrev_b64 v[5:6], 3, v[5:6]
	s_lshl_b64 s[2:3], s[22:23], 3
	s_mov_b64 s[22:23], 7
	v_add_co_u32 v71, vcc_lo, s12, v3
	v_add_co_ci_u32_e64 v72, null, s13, v4, vcc_lo
	v_add_co_u32 v73, vcc_lo, s14, v3
	v_add_co_ci_u32_e64 v74, null, s15, v4, vcc_lo
	;; [unrolled: 2-line block ×4, first 2 shown]
	s_branch .LBB122_5
.LBB122_3:                              ;   in Loop: Header=BB122_5 Depth=1
	s_or_b32 exec_lo, exec_lo, s28
	s_waitcnt vmcnt(0)
	v_mul_f64 v[3:4], v[19:20], v[3:4]
	ds_bpermute_b32 v19, v2, v41
	ds_bpermute_b32 v20, v2, v42
	v_mul_f64 v[5:6], v[21:22], v[5:6]
	v_mul_f64 v[7:8], v[23:24], v[7:8]
	;; [unrolled: 1-line block ×3, first 2 shown]
	s_waitcnt lgkmcnt(0)
	v_fma_f64 v[3:4], v[3:4], v[19:20], v[37:38]
	ds_bpermute_b32 v19, v2, v41 offset:4
	ds_bpermute_b32 v20, v2, v42 offset:4
	s_waitcnt lgkmcnt(0)
	v_fma_f64 v[3:4], v[5:6], v[19:20], v[3:4]
	ds_bpermute_b32 v5, v2, v41 offset:8
	ds_bpermute_b32 v6, v2, v42 offset:8
	;; [unrolled: 4-line block ×3, first 2 shown]
	v_mul_f64 v[7:8], v[27:28], v[11:12]
	s_waitcnt lgkmcnt(0)
	v_fma_f64 v[3:4], v[9:10], v[5:6], v[3:4]
	ds_bpermute_b32 v5, v2, v41 offset:16
	ds_bpermute_b32 v6, v2, v42 offset:16
	v_mul_f64 v[9:10], v[29:30], v[13:14]
	s_waitcnt lgkmcnt(0)
	v_fma_f64 v[3:4], v[7:8], v[5:6], v[3:4]
	ds_bpermute_b32 v5, v2, v41 offset:20
	ds_bpermute_b32 v6, v2, v42 offset:20
	;; [unrolled: 1-line block ×4, first 2 shown]
	s_waitcnt lgkmcnt(2)
	v_fma_f64 v[3:4], v[9:10], v[5:6], v[3:4]
	v_mul_f64 v[5:6], v[31:32], v[15:16]
	s_waitcnt lgkmcnt(0)
	v_fma_f64 v[43:44], v[5:6], v[7:8], v[3:4]
	ds_bpermute_b32 v3, v2, v41 offset:28
	ds_bpermute_b32 v4, v2, v42 offset:28
.LBB122_4:                              ;   in Loop: Header=BB122_5 Depth=1
	v_mul_f64 v[5:6], v[17:18], v[33:34]
	v_add_co_u32 v47, vcc_lo, v47, s2
	v_add_co_ci_u32_e64 v48, null, s3, v48, vcc_lo
	v_add_co_u32 v49, vcc_lo, v49, s2
	v_add_co_ci_u32_e64 v50, null, s3, v50, vcc_lo
	;; [unrolled: 2-line block ×8, first 2 shown]
	v_add_co_u32 v63, vcc_lo, v63, s2
	s_waitcnt lgkmcnt(0)
	v_fma_f64 v[37:38], v[5:6], v[3:4], v[43:44]
	v_add_co_ci_u32_e64 v64, null, s3, v64, vcc_lo
	v_add_co_u32 v65, vcc_lo, v65, s2
	v_add_co_ci_u32_e64 v66, null, s3, v66, vcc_lo
	v_add_co_u32 v67, vcc_lo, v67, s2
	;; [unrolled: 2-line block ×5, first 2 shown]
	s_add_u32 s24, s24, s27
	v_add_co_ci_u32_e64 v74, null, s3, v74, vcc_lo
	v_add_co_u32 v75, vcc_lo, v75, s2
	s_addc_u32 s25, s25, 0
	v_add_co_ci_u32_e64 v76, null, s3, v76, vcc_lo
	v_add_co_u32 v77, vcc_lo, v77, s2
	v_cmp_lt_i64_e64 s28, s[24:25], s[8:9]
	v_add_co_ci_u32_e64 v78, null, s3, v78, vcc_lo
	v_add_co_u32 v45, vcc_lo, v45, s27
	v_add_co_ci_u32_e64 v46, null, 0, v46, vcc_lo
	s_add_u32 s22, s22, s27
	s_addc_u32 s23, 0, s23
	s_and_b32 vcc_lo, exec_lo, s28
	s_cbranch_vccz .LBB122_49
.LBB122_5:                              ; =>This Inner Loop Header: Depth=1
	s_add_u32 s28, s18, s22
	s_addc_u32 s29, 0, s23
	v_add_co_u32 v39, vcc_lo, s18, v45
	v_cmp_ge_i64_e64 s28, s[28:29], s[8:9]
	v_add_co_ci_u32_e64 v40, null, 0, v46, vcc_lo
                                        ; implicit-def: $vgpr3_vgpr4_vgpr5_vgpr6_vgpr7_vgpr8_vgpr9_vgpr10_vgpr11_vgpr12_vgpr13_vgpr14_vgpr15_vgpr16_vgpr17_vgpr18
                                        ; implicit-def: $vgpr43_vgpr44
                                        ; implicit-def: $vgpr19_vgpr20_vgpr21_vgpr22_vgpr23_vgpr24_vgpr25_vgpr26_vgpr27_vgpr28_vgpr29_vgpr30_vgpr31_vgpr32_vgpr33_vgpr34
                                        ; implicit-def: $vgpr3
	s_and_b32 vcc_lo, exec_lo, s28
	s_mov_b32 s28, -1
	s_cbranch_vccz .LBB122_27
; %bb.6:                                ;   in Loop: Header=BB122_5 Depth=1
	s_load_dword s28, s[20:21], 0xc
	v_mov_b32_e32 v41, 0
	v_mov_b32_e32 v42, 0
	s_waitcnt lgkmcnt(0)
	s_and_b32 s28, s28, 0xffff
	v_mad_u32_u24 v3, v1, s28, v0
	s_mov_b32 s28, exec_lo
	v_and_b32_e32 v3, 31, v3
	v_cmpx_gt_u32_e32 8, v3
	s_cbranch_execz .LBB122_10
; %bb.7:                                ;   in Loop: Header=BB122_5 Depth=1
	v_add_co_u32 v3, vcc_lo, v39, v3
	v_mov_b32_e32 v41, 0
	v_add_co_ci_u32_e64 v4, null, 0, v40, vcc_lo
	v_mov_b32_e32 v42, 0
	s_mov_b32 s29, exec_lo
	v_cmpx_gt_i64_e64 s[8:9], v[3:4]
	s_cbranch_execz .LBB122_9
; %bb.8:                                ;   in Loop: Header=BB122_5 Depth=1
	v_lshlrev_b64 v[3:4], 3, v[3:4]
	v_add_co_u32 v3, vcc_lo, s16, v3
	v_add_co_ci_u32_e64 v4, null, s17, v4, vcc_lo
	global_load_dwordx2 v[41:42], v[3:4], off
.LBB122_9:                              ;   in Loop: Header=BB122_5 Depth=1
	s_or_b32 exec_lo, exec_lo, s29
.LBB122_10:                             ;   in Loop: Header=BB122_5 Depth=1
	s_or_b32 exec_lo, exec_lo, s28
	v_mov_b32_e32 v17, v2
	v_mov_b32_e32 v3, v2
	;; [unrolled: 1-line block ×15, first 2 shown]
	v_cmp_gt_i64_e32 vcc_lo, s[8:9], v[39:40]
	v_mov_b32_e32 v34, v17
	v_mov_b32_e32 v31, v14
	;; [unrolled: 1-line block ×32, first 2 shown]
	s_and_b32 s29, s1, vcc_lo
	s_and_saveexec_b32 s28, s29
	s_cbranch_execz .LBB122_12
; %bb.11:                               ;   in Loop: Header=BB122_5 Depth=1
	v_add_co_u32 v3, vcc_lo, v47, v35
	v_add_co_ci_u32_e64 v4, null, v48, v36, vcc_lo
	v_add_co_u32 v5, vcc_lo, v49, v35
	v_add_co_ci_u32_e64 v6, null, v50, v36, vcc_lo
	global_load_dwordx2 v[3:4], v[3:4], off
	global_load_dwordx2 v[19:20], v[5:6], off
	v_mov_b32_e32 v5, v2
	v_mov_b32_e32 v6, v2
	;; [unrolled: 1-line block ×28, first 2 shown]
.LBB122_12:                             ;   in Loop: Header=BB122_5 Depth=1
	s_or_b32 exec_lo, exec_lo, s28
	v_add_co_u32 v43, vcc_lo, v39, 1
	v_add_co_ci_u32_e64 v44, null, 0, v40, vcc_lo
	v_cmp_gt_i64_e32 vcc_lo, s[8:9], v[43:44]
	s_and_b32 s29, s1, vcc_lo
	s_and_saveexec_b32 s28, s29
	s_cbranch_execz .LBB122_14
; %bb.13:                               ;   in Loop: Header=BB122_5 Depth=1
	v_add_co_u32 v5, vcc_lo, v75, v35
	v_add_co_ci_u32_e64 v6, null, v76, v36, vcc_lo
	v_add_co_u32 v21, vcc_lo, v77, v35
	v_add_co_ci_u32_e64 v22, null, v78, v36, vcc_lo
	global_load_dwordx2 v[5:6], v[5:6], off
	global_load_dwordx2 v[21:22], v[21:22], off
.LBB122_14:                             ;   in Loop: Header=BB122_5 Depth=1
	s_or_b32 exec_lo, exec_lo, s28
	v_add_co_u32 v43, vcc_lo, v39, 2
	v_add_co_ci_u32_e64 v44, null, 0, v40, vcc_lo
	v_cmp_gt_i64_e32 vcc_lo, s[8:9], v[43:44]
	s_and_b32 s29, s1, vcc_lo
	s_and_saveexec_b32 s28, s29
	s_cbranch_execz .LBB122_16
; %bb.15:                               ;   in Loop: Header=BB122_5 Depth=1
	v_add_co_u32 v7, vcc_lo, v71, v35
	v_add_co_ci_u32_e64 v8, null, v72, v36, vcc_lo
	v_add_co_u32 v23, vcc_lo, v73, v35
	v_add_co_ci_u32_e64 v24, null, v74, v36, vcc_lo
	global_load_dwordx2 v[7:8], v[7:8], off
	global_load_dwordx2 v[23:24], v[23:24], off
.LBB122_16:                             ;   in Loop: Header=BB122_5 Depth=1
	;; [unrolled: 15-line block ×7, first 2 shown]
	s_or_b32 exec_lo, exec_lo, s28
	s_waitcnt vmcnt(0)
	v_mul_f64 v[3:4], v[19:20], v[3:4]
	ds_bpermute_b32 v19, v2, v41
	ds_bpermute_b32 v20, v2, v42
	v_mul_f64 v[5:6], v[21:22], v[5:6]
	v_mul_f64 v[7:8], v[23:24], v[7:8]
	;; [unrolled: 1-line block ×3, first 2 shown]
	s_mov_b32 s28, 0
	s_waitcnt lgkmcnt(0)
	v_fma_f64 v[3:4], v[3:4], v[19:20], v[37:38]
	ds_bpermute_b32 v19, v2, v41 offset:4
	ds_bpermute_b32 v20, v2, v42 offset:4
	s_waitcnt lgkmcnt(0)
	v_fma_f64 v[3:4], v[5:6], v[19:20], v[3:4]
	ds_bpermute_b32 v5, v2, v41 offset:8
	ds_bpermute_b32 v6, v2, v42 offset:8
	;; [unrolled: 4-line block ×3, first 2 shown]
	v_mul_f64 v[7:8], v[27:28], v[11:12]
	s_waitcnt lgkmcnt(0)
	v_fma_f64 v[3:4], v[9:10], v[5:6], v[3:4]
	ds_bpermute_b32 v5, v2, v41 offset:16
	ds_bpermute_b32 v6, v2, v42 offset:16
	v_mul_f64 v[9:10], v[29:30], v[13:14]
	s_waitcnt lgkmcnt(0)
	v_fma_f64 v[3:4], v[7:8], v[5:6], v[3:4]
	ds_bpermute_b32 v5, v2, v41 offset:20
	ds_bpermute_b32 v6, v2, v42 offset:20
	;; [unrolled: 1-line block ×4, first 2 shown]
	s_waitcnt lgkmcnt(2)
	v_fma_f64 v[3:4], v[9:10], v[5:6], v[3:4]
	v_mul_f64 v[5:6], v[31:32], v[15:16]
	s_waitcnt lgkmcnt(0)
	v_fma_f64 v[43:44], v[5:6], v[7:8], v[3:4]
	ds_bpermute_b32 v3, v2, v41 offset:28
	ds_bpermute_b32 v4, v2, v42 offset:28
.LBB122_27:                             ;   in Loop: Header=BB122_5 Depth=1
	s_and_b32 vcc_lo, exec_lo, s28
	s_cbranch_vccz .LBB122_4
; %bb.28:                               ;   in Loop: Header=BB122_5 Depth=1
	s_load_dword s28, s[20:21], 0x0
	v_mov_b32_e32 v41, 0
	v_mov_b32_e32 v42, 0
	s_waitcnt lgkmcnt(0)
	s_cmp_lt_u32 s6, s28
	s_cselect_b32 s28, 12, 18
	s_add_u32 s28, s20, s28
	s_addc_u32 s29, s21, 0
	global_load_ushort v3, v2, s[28:29]
	s_mov_b32 s28, exec_lo
	s_waitcnt vmcnt(0)
	v_mad_u32_u24 v3, v1, v3, v0
	v_and_b32_e32 v3, 31, v3
	v_cmpx_gt_u32_e32 8, v3
	s_cbranch_execz .LBB122_32
; %bb.29:                               ;   in Loop: Header=BB122_5 Depth=1
	v_add_co_u32 v3, vcc_lo, v39, v3
	v_mov_b32_e32 v41, 0
	v_add_co_ci_u32_e64 v4, null, 0, v40, vcc_lo
	v_mov_b32_e32 v42, 0
	s_mov_b32 s29, exec_lo
	v_cmpx_gt_i64_e64 s[8:9], v[3:4]
	s_cbranch_execz .LBB122_31
; %bb.30:                               ;   in Loop: Header=BB122_5 Depth=1
	v_lshlrev_b64 v[3:4], 3, v[3:4]
	v_add_co_u32 v3, vcc_lo, s16, v3
	v_add_co_ci_u32_e64 v4, null, s17, v4, vcc_lo
	global_load_dwordx2 v[41:42], v[3:4], off
.LBB122_31:                             ;   in Loop: Header=BB122_5 Depth=1
	s_or_b32 exec_lo, exec_lo, s29
.LBB122_32:                             ;   in Loop: Header=BB122_5 Depth=1
	s_or_b32 exec_lo, exec_lo, s28
	v_mov_b32_e32 v17, v2
	v_mov_b32_e32 v3, v2
	;; [unrolled: 1-line block ×47, first 2 shown]
	s_and_saveexec_b32 s28, s1
	s_cbranch_execnz .LBB122_40
; %bb.33:                               ;   in Loop: Header=BB122_5 Depth=1
	s_or_b32 exec_lo, exec_lo, s28
	s_and_saveexec_b32 s28, s1
	s_cbranch_execnz .LBB122_41
.LBB122_34:                             ;   in Loop: Header=BB122_5 Depth=1
	s_or_b32 exec_lo, exec_lo, s28
	s_and_saveexec_b32 s28, s1
	s_cbranch_execnz .LBB122_42
.LBB122_35:                             ;   in Loop: Header=BB122_5 Depth=1
	s_or_b32 exec_lo, exec_lo, s28
	s_and_saveexec_b32 s28, s1
	s_cbranch_execnz .LBB122_43
.LBB122_36:                             ;   in Loop: Header=BB122_5 Depth=1
	s_or_b32 exec_lo, exec_lo, s28
	s_and_saveexec_b32 s28, s1
	s_cbranch_execnz .LBB122_44
.LBB122_37:                             ;   in Loop: Header=BB122_5 Depth=1
	s_or_b32 exec_lo, exec_lo, s28
	s_and_saveexec_b32 s28, s1
	s_cbranch_execnz .LBB122_45
.LBB122_38:                             ;   in Loop: Header=BB122_5 Depth=1
	s_or_b32 exec_lo, exec_lo, s28
	s_and_saveexec_b32 s28, s1
	s_cbranch_execnz .LBB122_46
.LBB122_39:                             ;   in Loop: Header=BB122_5 Depth=1
	s_or_b32 exec_lo, exec_lo, s28
	s_and_saveexec_b32 s28, s1
	s_cbranch_execz .LBB122_3
	s_branch .LBB122_47
.LBB122_40:                             ;   in Loop: Header=BB122_5 Depth=1
	v_add_co_u32 v3, vcc_lo, v47, v35
	v_add_co_ci_u32_e64 v4, null, v48, v36, vcc_lo
	v_add_co_u32 v5, vcc_lo, v49, v35
	v_add_co_ci_u32_e64 v6, null, v50, v36, vcc_lo
	global_load_dwordx2 v[3:4], v[3:4], off
	global_load_dwordx2 v[19:20], v[5:6], off
	v_mov_b32_e32 v5, v2
	v_mov_b32_e32 v6, v2
	;; [unrolled: 1-line block ×28, first 2 shown]
	s_or_b32 exec_lo, exec_lo, s28
	s_and_saveexec_b32 s28, s1
	s_cbranch_execz .LBB122_34
.LBB122_41:                             ;   in Loop: Header=BB122_5 Depth=1
	v_add_co_u32 v5, vcc_lo, v75, v35
	v_add_co_ci_u32_e64 v6, null, v76, v36, vcc_lo
	v_add_co_u32 v21, vcc_lo, v77, v35
	v_add_co_ci_u32_e64 v22, null, v78, v36, vcc_lo
	global_load_dwordx2 v[5:6], v[5:6], off
	global_load_dwordx2 v[21:22], v[21:22], off
	s_or_b32 exec_lo, exec_lo, s28
	s_and_saveexec_b32 s28, s1
	s_cbranch_execz .LBB122_35
.LBB122_42:                             ;   in Loop: Header=BB122_5 Depth=1
	v_add_co_u32 v7, vcc_lo, v71, v35
	v_add_co_ci_u32_e64 v8, null, v72, v36, vcc_lo
	v_add_co_u32 v23, vcc_lo, v73, v35
	v_add_co_ci_u32_e64 v24, null, v74, v36, vcc_lo
	global_load_dwordx2 v[7:8], v[7:8], off
	global_load_dwordx2 v[23:24], v[23:24], off
	s_or_b32 exec_lo, exec_lo, s28
	s_and_saveexec_b32 s28, s1
	s_cbranch_execz .LBB122_36
.LBB122_43:                             ;   in Loop: Header=BB122_5 Depth=1
	v_add_co_u32 v9, vcc_lo, v67, v35
	v_add_co_ci_u32_e64 v10, null, v68, v36, vcc_lo
	v_add_co_u32 v25, vcc_lo, v69, v35
	v_add_co_ci_u32_e64 v26, null, v70, v36, vcc_lo
	global_load_dwordx2 v[9:10], v[9:10], off
	global_load_dwordx2 v[25:26], v[25:26], off
	s_or_b32 exec_lo, exec_lo, s28
	s_and_saveexec_b32 s28, s1
	s_cbranch_execz .LBB122_37
.LBB122_44:                             ;   in Loop: Header=BB122_5 Depth=1
	v_add_co_u32 v11, vcc_lo, v63, v35
	v_add_co_ci_u32_e64 v12, null, v64, v36, vcc_lo
	v_add_co_u32 v27, vcc_lo, v65, v35
	v_add_co_ci_u32_e64 v28, null, v66, v36, vcc_lo
	global_load_dwordx2 v[11:12], v[11:12], off
	global_load_dwordx2 v[27:28], v[27:28], off
	s_or_b32 exec_lo, exec_lo, s28
	s_and_saveexec_b32 s28, s1
	s_cbranch_execz .LBB122_38
.LBB122_45:                             ;   in Loop: Header=BB122_5 Depth=1
	v_add_co_u32 v13, vcc_lo, v59, v35
	v_add_co_ci_u32_e64 v14, null, v60, v36, vcc_lo
	v_add_co_u32 v29, vcc_lo, v61, v35
	v_add_co_ci_u32_e64 v30, null, v62, v36, vcc_lo
	global_load_dwordx2 v[13:14], v[13:14], off
	global_load_dwordx2 v[29:30], v[29:30], off
	s_or_b32 exec_lo, exec_lo, s28
	s_and_saveexec_b32 s28, s1
	s_cbranch_execz .LBB122_39
.LBB122_46:                             ;   in Loop: Header=BB122_5 Depth=1
	v_add_co_u32 v15, vcc_lo, v55, v35
	v_add_co_ci_u32_e64 v16, null, v56, v36, vcc_lo
	v_add_co_u32 v31, vcc_lo, v57, v35
	v_add_co_ci_u32_e64 v32, null, v58, v36, vcc_lo
	global_load_dwordx2 v[15:16], v[15:16], off
	global_load_dwordx2 v[31:32], v[31:32], off
	s_or_b32 exec_lo, exec_lo, s28
	s_and_saveexec_b32 s28, s1
	s_cbranch_execz .LBB122_3
.LBB122_47:                             ;   in Loop: Header=BB122_5 Depth=1
	v_add_co_u32 v17, vcc_lo, v51, v35
	v_add_co_ci_u32_e64 v18, null, v52, v36, vcc_lo
	v_add_co_u32 v33, vcc_lo, v53, v35
	v_add_co_ci_u32_e64 v34, null, v54, v36, vcc_lo
	global_load_dwordx2 v[17:18], v[17:18], off
	global_load_dwordx2 v[33:34], v[33:34], off
	s_branch .LBB122_3
.LBB122_48:
                                        ; implicit-def: $vgpr37_vgpr38
	s_load_dwordx2 s[2:3], s[4:5], 0x30
	s_branch .LBB122_50
.LBB122_49:
	s_load_dwordx2 s[2:3], s[4:5], 0x30
	s_cbranch_execnz .LBB122_82
.LBB122_50:
	v_mov_b32_e32 v37, 0
	v_mov_b32_e32 v38, 0
	s_andn2_b32 vcc_lo, exec_lo, s26
	s_cbranch_vccnz .LBB122_82
; %bb.51:
	v_lshlrev_b32_e32 v71, 3, v1
	v_lshlrev_b32_e32 v4, 6, v1
	s_add_u32 s20, s4, 64
	s_addc_u32 s21, s5, 0
	s_lshl_b64 s[22:23], s[18:19], 3
	v_add_co_u32 v10, s1, v71, s18
	v_add_co_ci_u32_e64 v11, null, 0, 0, s1
	v_add_co_u32 v7, s1, v4, s22
	v_mul_lo_u32 v5, s11, v10
	v_mul_lo_u32 v6, s10, v11
	v_mad_u64_u32 v[2:3], null, s10, v10, 0
	v_add_co_ci_u32_e64 v8, null, 0, s23, s1
	v_mov_b32_e32 v67, 0
	v_mov_b32_e32 v68, 0
	s_mov_b64 s[22:23], s[18:19]
	v_add3_u32 v3, v3, v6, v5
	v_add_co_u32 v6, vcc_lo, v7, 8
	v_add_co_ci_u32_e64 v9, null, 0, v8, vcc_lo
	v_lshlrev_b64 v[4:5], 3, v[2:3]
	v_mad_u64_u32 v[35:36], null, s10, v6, s[12:13]
	v_mul_lo_u32 v9, s10, v9
	v_mul_lo_u32 v12, s11, v6
	v_mad_u64_u32 v[51:52], null, s10, v6, s[14:15]
	v_add_co_u32 v72, vcc_lo, s12, v4
	v_add_co_ci_u32_e64 v73, null, s13, v5, vcc_lo
	v_add_co_u32 v74, vcc_lo, s14, v4
	v_add_co_ci_u32_e64 v75, null, s15, v5, vcc_lo
	;; [unrolled: 2-line block ×4, first 2 shown]
	v_add_co_u32 v16, vcc_lo, v7, 32
	v_mad_u64_u32 v[39:40], null, s10, v4, s[12:13]
	v_mul_lo_u32 v5, s10, v5
	v_mul_lo_u32 v15, s11, v4
	v_add_co_ci_u32_e64 v18, null, 0, v8, vcc_lo
	v_add_co_u32 v19, vcc_lo, v7, 40
	v_mad_u64_u32 v[53:54], null, s10, v4, s[14:15]
	v_add_co_ci_u32_e64 v20, null, 0, v8, vcc_lo
	v_add_co_u32 v22, vcc_lo, v7, 48
	v_add_co_ci_u32_e64 v24, null, 0, v8, vcc_lo
	v_add_co_u32 v7, vcc_lo, v7, 56
	v_add_co_ci_u32_e64 v8, null, 0, v8, vcc_lo
	v_add_co_u32 v4, vcc_lo, v10, 7
	v_add3_u32 v40, v15, v40, v5
	v_add3_u32 v54, v15, v54, v5
	v_add_co_ci_u32_e64 v5, null, 0, v11, vcc_lo
	v_add3_u32 v36, v12, v36, v9
	v_add3_u32 v52, v12, v52, v9
	v_mul_lo_u32 v6, s11, v4
	v_mul_lo_u32 v9, s10, v5
	v_mad_u64_u32 v[4:5], null, s10, v4, 0
	v_mad_u64_u32 v[49:50], null, s10, v7, s[12:13]
	v_mul_lo_u32 v8, s10, v8
	v_mul_lo_u32 v26, s11, v7
	v_mad_u64_u32 v[63:64], null, s10, v7, s[14:15]
	v_add3_u32 v5, v5, v9, v6
	v_add_co_u32 v6, vcc_lo, v10, 6
	v_add_co_ci_u32_e64 v7, null, 0, v11, vcc_lo
	v_mad_u64_u32 v[41:42], null, s10, v13, s[12:13]
	v_mul_lo_u32 v14, s10, v14
	v_mul_lo_u32 v17, s11, v13
	v_add3_u32 v50, v26, v50, v8
	v_mad_u64_u32 v[55:56], null, s10, v13, s[14:15]
	v_add3_u32 v64, v26, v64, v8
	v_mul_lo_u32 v8, s11, v6
	v_mul_lo_u32 v9, s10, v7
	v_mad_u64_u32 v[6:7], null, s10, v6, 0
	v_lshlrev_b64 v[4:5], 3, v[4:5]
	v_add_co_u32 v12, vcc_lo, v10, 5
	v_add_co_ci_u32_e64 v13, null, 0, v11, vcc_lo
	v_add3_u32 v42, v17, v42, v14
	v_add_co_u32 v76, vcc_lo, s12, v4
	v_add3_u32 v56, v17, v56, v14
	v_add3_u32 v7, v7, v9, v8
	v_mul_lo_u32 v14, s11, v12
	v_mul_lo_u32 v13, s10, v13
	v_mad_u64_u32 v[8:9], null, s10, v12, 0
	v_add_co_ci_u32_e64 v77, null, s13, v5, vcc_lo
	v_add_co_u32 v12, vcc_lo, v10, 4
	v_add_co_ci_u32_e64 v15, null, 0, v11, vcc_lo
	v_add_co_u32 v78, vcc_lo, s14, v4
	v_add_co_ci_u32_e64 v79, null, s15, v5, vcc_lo
	v_lshlrev_b64 v[4:5], 3, v[6:7]
	v_add3_u32 v9, v9, v13, v14
	v_mul_lo_u32 v13, s11, v12
	v_mul_lo_u32 v14, s10, v15
	v_mad_u64_u32 v[6:7], null, s10, v12, 0
	v_lshlrev_b64 v[8:9], 3, v[8:9]
	v_add_co_u32 v80, vcc_lo, s12, v4
	v_add_co_ci_u32_e64 v81, null, s13, v5, vcc_lo
	v_add_co_u32 v82, vcc_lo, s14, v4
	v_add3_u32 v7, v7, v14, v13
	v_add_co_ci_u32_e64 v83, null, s15, v5, vcc_lo
	v_add_co_u32 v84, vcc_lo, s12, v8
	v_add_co_ci_u32_e64 v85, null, s13, v9, vcc_lo
	v_lshlrev_b64 v[4:5], 3, v[6:7]
	v_add_co_u32 v6, vcc_lo, v10, 3
	v_add_co_ci_u32_e64 v7, null, 0, v11, vcc_lo
	v_add_co_u32 v86, s1, s14, v8
	v_add_co_u32 v8, vcc_lo, v10, 2
	v_add_co_ci_u32_e64 v87, null, s15, v9, s1
	v_mul_lo_u32 v12, s11, v6
	v_add_co_ci_u32_e64 v9, null, 0, v11, vcc_lo
	v_mul_lo_u32 v10, s10, v7
	v_mad_u64_u32 v[6:7], null, s10, v6, 0
	v_mul_lo_u32 v11, s11, v8
	v_mul_lo_u32 v13, s10, v9
	v_mad_u64_u32 v[8:9], null, s10, v8, 0
	v_add_co_u32 v88, vcc_lo, s12, v4
	v_add3_u32 v7, v7, v10, v12
	s_load_dword s1, s[4:5], 0x44
	v_add_co_ci_u32_e64 v89, null, s13, v5, vcc_lo
	v_add_co_u32 v90, vcc_lo, s14, v4
	v_add_co_ci_u32_e64 v91, null, s15, v5, vcc_lo
	v_lshlrev_b64 v[4:5], 3, v[6:7]
	v_add3_u32 v9, v9, v13, v11
	v_add_co_u32 v2, vcc_lo, v2, s10
	v_add_co_ci_u32_e64 v3, null, s11, v3, vcc_lo
	v_lshlrev_b64 v[6:7], 3, v[8:9]
	v_add_co_u32 v92, vcc_lo, s12, v4
	v_add_co_ci_u32_e64 v93, null, s13, v5, vcc_lo
	v_add_co_u32 v94, vcc_lo, s14, v4
	v_lshlrev_b64 v[3:4], 3, v[2:3]
	v_mov_b32_e32 v2, 0
	v_mad_u64_u32 v[43:44], null, s10, v16, s[12:13]
	v_mul_lo_u32 v18, s10, v18
	v_mul_lo_u32 v21, s11, v16
	v_mad_u64_u32 v[45:46], null, s10, v19, s[12:13]
	v_mul_lo_u32 v20, s10, v20
	v_mul_lo_u32 v23, s11, v19
	;; [unrolled: 3-line block ×3, first 2 shown]
	v_mad_u64_u32 v[57:58], null, s10, v16, s[14:15]
	v_mad_u64_u32 v[59:60], null, s10, v19, s[14:15]
	;; [unrolled: 1-line block ×3, first 2 shown]
	v_add_co_ci_u32_e64 v95, null, s15, v5, vcc_lo
	v_add_co_u32 v96, vcc_lo, s12, v6
	v_add_co_ci_u32_e64 v97, null, s13, v7, vcc_lo
	v_add_co_u32 v98, vcc_lo, s14, v6
	v_add_nc_u32_e32 v5, s7, v0
	v_mov_b32_e32 v6, v2
	v_add_co_ci_u32_e64 v99, null, s15, v7, vcc_lo
	v_add_co_u32 v100, vcc_lo, s12, v3
	s_waitcnt lgkmcnt(0)
	s_lshl_b32 s1, s1, 3
	v_add_co_ci_u32_e64 v101, null, s13, v4, vcc_lo
	v_add_co_u32 v102, vcc_lo, s14, v3
	s_mul_i32 s7, s11, s1
	s_mul_hi_u32 s12, s10, s1
	v_lshlrev_b64 v[65:66], 3, v[5:6]
	v_add3_u32 v44, v21, v44, v18
	v_add3_u32 v46, v23, v46, v20
	;; [unrolled: 1-line block ×6, first 2 shown]
	v_add_co_ci_u32_e64 v103, null, s15, v4, vcc_lo
	v_mov_b32_e32 v104, v2
	s_add_i32 s13, s12, s7
	s_mul_i32 s12, s10, s1
	s_mov_b64 s[14:15], 7
	s_lshl_b64 s[12:13], s[12:13], 3
.LBB122_52:                             ; =>This Inner Loop Header: Depth=1
	s_add_u32 s24, s18, s14
	s_addc_u32 s25, 0, s15
	v_add_co_u32 v69, vcc_lo, s18, v71
	v_cmp_ge_i64_e64 s7, s[24:25], s[8:9]
	v_add_co_ci_u32_e64 v70, null, 0, v104, vcc_lo
                                        ; implicit-def: $vgpr37_vgpr38
	s_and_b32 vcc_lo, exec_lo, s7
	s_mov_b32 s7, -1
	s_cbranch_vccz .LBB122_74
; %bb.53:                               ;   in Loop: Header=BB122_52 Depth=1
	s_load_dword s7, s[20:21], 0xc
	v_mov_b32_e32 v37, 0
	v_mov_b32_e32 v38, 0
	s_waitcnt lgkmcnt(0)
	s_and_b32 s7, s7, 0xffff
	v_mad_u32_u24 v3, v1, s7, v0
	s_mov_b32 s7, exec_lo
	v_and_b32_e32 v3, 31, v3
	v_cmpx_gt_u32_e32 8, v3
	s_cbranch_execz .LBB122_57
; %bb.54:                               ;   in Loop: Header=BB122_52 Depth=1
	v_add_co_u32 v3, vcc_lo, v69, v3
	v_mov_b32_e32 v37, 0
	v_add_co_ci_u32_e64 v4, null, 0, v70, vcc_lo
	v_mov_b32_e32 v38, 0
	s_mov_b32 s19, exec_lo
	v_cmpx_gt_i64_e64 s[8:9], v[3:4]
	s_cbranch_execz .LBB122_56
; %bb.55:                               ;   in Loop: Header=BB122_52 Depth=1
	v_lshlrev_b64 v[3:4], 3, v[3:4]
	v_add_co_u32 v3, vcc_lo, s16, v3
	v_add_co_ci_u32_e64 v4, null, s17, v4, vcc_lo
	global_load_dwordx2 v[37:38], v[3:4], off
.LBB122_56:                             ;   in Loop: Header=BB122_52 Depth=1
	s_or_b32 exec_lo, exec_lo, s19
.LBB122_57:                             ;   in Loop: Header=BB122_52 Depth=1
	s_or_b32 exec_lo, exec_lo, s7
	v_mov_b32_e32 v17, v2
	v_mov_b32_e32 v3, v2
	;; [unrolled: 1-line block ×47, first 2 shown]
	s_mov_b32 s7, exec_lo
	v_cmpx_gt_i64_e64 s[8:9], v[69:70]
	s_cbranch_execz .LBB122_59
; %bb.58:                               ;   in Loop: Header=BB122_52 Depth=1
	v_add_co_u32 v3, vcc_lo, v72, v65
	v_add_co_ci_u32_e64 v4, null, v73, v66, vcc_lo
	v_add_co_u32 v5, vcc_lo, v74, v65
	v_add_co_ci_u32_e64 v6, null, v75, v66, vcc_lo
	global_load_dwordx2 v[3:4], v[3:4], off
	global_load_dwordx2 v[19:20], v[5:6], off
	v_mov_b32_e32 v5, v2
	v_mov_b32_e32 v6, v2
	;; [unrolled: 1-line block ×28, first 2 shown]
.LBB122_59:                             ;   in Loop: Header=BB122_52 Depth=1
	s_or_b32 exec_lo, exec_lo, s7
	v_add_co_u32 v105, vcc_lo, v69, 1
	v_add_co_ci_u32_e64 v106, null, 0, v70, vcc_lo
	s_mov_b32 s7, exec_lo
	v_cmpx_gt_i64_e64 s[8:9], v[105:106]
	s_cbranch_execz .LBB122_61
; %bb.60:                               ;   in Loop: Header=BB122_52 Depth=1
	v_add_co_u32 v5, vcc_lo, v100, v65
	v_add_co_ci_u32_e64 v6, null, v101, v66, vcc_lo
	v_add_co_u32 v21, vcc_lo, v102, v65
	v_add_co_ci_u32_e64 v22, null, v103, v66, vcc_lo
	global_load_dwordx2 v[5:6], v[5:6], off
	global_load_dwordx2 v[21:22], v[21:22], off
.LBB122_61:                             ;   in Loop: Header=BB122_52 Depth=1
	s_or_b32 exec_lo, exec_lo, s7
	v_add_co_u32 v105, vcc_lo, v69, 2
	v_add_co_ci_u32_e64 v106, null, 0, v70, vcc_lo
	s_mov_b32 s7, exec_lo
	v_cmpx_gt_i64_e64 s[8:9], v[105:106]
	s_cbranch_execz .LBB122_63
; %bb.62:                               ;   in Loop: Header=BB122_52 Depth=1
	v_add_co_u32 v7, vcc_lo, v96, v65
	v_add_co_ci_u32_e64 v8, null, v97, v66, vcc_lo
	v_add_co_u32 v23, vcc_lo, v98, v65
	v_add_co_ci_u32_e64 v24, null, v99, v66, vcc_lo
	global_load_dwordx2 v[7:8], v[7:8], off
	global_load_dwordx2 v[23:24], v[23:24], off
.LBB122_63:                             ;   in Loop: Header=BB122_52 Depth=1
	;; [unrolled: 14-line block ×7, first 2 shown]
	s_or_b32 exec_lo, exec_lo, s7
	s_waitcnt vmcnt(0)
	v_mul_f64 v[3:4], v[19:20], v[3:4]
	ds_bpermute_b32 v19, v2, v37
	ds_bpermute_b32 v20, v2, v38
	v_mul_f64 v[5:6], v[21:22], v[5:6]
	v_mul_f64 v[7:8], v[23:24], v[7:8]
	;; [unrolled: 1-line block ×3, first 2 shown]
	s_mov_b32 s7, 0
	s_waitcnt lgkmcnt(0)
	v_fma_f64 v[3:4], v[3:4], v[19:20], v[67:68]
	ds_bpermute_b32 v19, v2, v37 offset:4
	ds_bpermute_b32 v20, v2, v38 offset:4
	s_waitcnt lgkmcnt(0)
	v_fma_f64 v[3:4], v[5:6], v[19:20], v[3:4]
	ds_bpermute_b32 v5, v2, v37 offset:8
	ds_bpermute_b32 v6, v2, v38 offset:8
	;; [unrolled: 4-line block ×3, first 2 shown]
	v_mul_f64 v[7:8], v[27:28], v[11:12]
	s_waitcnt lgkmcnt(0)
	v_fma_f64 v[3:4], v[9:10], v[5:6], v[3:4]
	ds_bpermute_b32 v5, v2, v37 offset:16
	ds_bpermute_b32 v6, v2, v38 offset:16
	v_mul_f64 v[9:10], v[29:30], v[13:14]
	s_waitcnt lgkmcnt(0)
	v_fma_f64 v[3:4], v[7:8], v[5:6], v[3:4]
	ds_bpermute_b32 v5, v2, v37 offset:20
	ds_bpermute_b32 v6, v2, v38 offset:20
	;; [unrolled: 5-line block ×3, first 2 shown]
	s_waitcnt lgkmcnt(0)
	v_fma_f64 v[3:4], v[7:8], v[5:6], v[3:4]
	v_mul_f64 v[5:6], v[33:34], v[17:18]
	ds_bpermute_b32 v7, v2, v37 offset:28
	ds_bpermute_b32 v8, v2, v38 offset:28
	s_waitcnt lgkmcnt(0)
	v_fma_f64 v[37:38], v[5:6], v[7:8], v[3:4]
.LBB122_74:                             ;   in Loop: Header=BB122_52 Depth=1
	s_and_b32 vcc_lo, exec_lo, s7
	s_cbranch_vccz .LBB122_80
; %bb.75:                               ;   in Loop: Header=BB122_52 Depth=1
	s_load_dword s7, s[20:21], 0x0
	s_waitcnt lgkmcnt(0)
	s_cmp_lt_u32 s6, s7
	s_cselect_b32 s7, 12, 18
	s_add_u32 s24, s20, s7
	s_addc_u32 s25, s21, 0
	s_mov_b32 s7, exec_lo
	global_load_ushort v3, v2, s[24:25]
	s_waitcnt vmcnt(0)
	v_mad_u32_u24 v3, v1, v3, v0
	v_and_b32_e32 v5, 31, v3
	v_mov_b32_e32 v3, 0
	v_mov_b32_e32 v4, 0
	v_cmpx_gt_u32_e32 8, v5
	s_cbranch_execz .LBB122_79
; %bb.76:                               ;   in Loop: Header=BB122_52 Depth=1
	v_add_co_u32 v5, vcc_lo, v69, v5
	v_mov_b32_e32 v3, 0
	v_add_co_ci_u32_e64 v6, null, 0, v70, vcc_lo
	v_mov_b32_e32 v4, 0
	s_mov_b32 s19, exec_lo
	v_cmpx_gt_i64_e64 s[8:9], v[5:6]
	s_cbranch_execz .LBB122_78
; %bb.77:                               ;   in Loop: Header=BB122_52 Depth=1
	v_lshlrev_b64 v[3:4], 3, v[5:6]
	v_add_co_u32 v3, vcc_lo, s16, v3
	v_add_co_ci_u32_e64 v4, null, s17, v4, vcc_lo
	global_load_dwordx2 v[3:4], v[3:4], off
.LBB122_78:                             ;   in Loop: Header=BB122_52 Depth=1
	s_or_b32 exec_lo, exec_lo, s19
.LBB122_79:                             ;   in Loop: Header=BB122_52 Depth=1
	s_or_b32 exec_lo, exec_lo, s7
	v_add_co_u32 v5, vcc_lo, v72, v65
	v_add_co_ci_u32_e64 v6, null, v73, v66, vcc_lo
	v_add_co_u32 v7, vcc_lo, v74, v65
	v_add_co_ci_u32_e64 v8, null, v75, v66, vcc_lo
	global_load_dwordx2 v[5:6], v[5:6], off
	global_load_dwordx2 v[7:8], v[7:8], off
	v_add_co_u32 v9, vcc_lo, v35, v65
	v_add_co_ci_u32_e64 v10, null, v36, v66, vcc_lo
	v_add_co_u32 v11, vcc_lo, v51, v65
	v_add_co_ci_u32_e64 v12, null, v52, v66, vcc_lo
	global_load_dwordx2 v[9:10], v[9:10], off
	global_load_dwordx2 v[11:12], v[11:12], off
	;; [unrolled: 6-line block ×8, first 2 shown]
	s_waitcnt vmcnt(14)
	v_mul_f64 v[5:6], v[5:6], v[7:8]
	ds_bpermute_b32 v7, v2, v3
	ds_bpermute_b32 v8, v2, v4
	s_waitcnt vmcnt(12)
	v_mul_f64 v[9:10], v[9:10], v[11:12]
	s_waitcnt vmcnt(10)
	v_mul_f64 v[11:12], v[13:14], v[15:16]
	s_waitcnt lgkmcnt(0)
	v_fma_f64 v[5:6], v[5:6], v[7:8], v[67:68]
	ds_bpermute_b32 v7, v2, v3 offset:4
	ds_bpermute_b32 v8, v2, v4 offset:4
	s_waitcnt lgkmcnt(0)
	v_fma_f64 v[5:6], v[9:10], v[7:8], v[5:6]
	ds_bpermute_b32 v7, v2, v3 offset:8
	ds_bpermute_b32 v8, v2, v4 offset:8
	s_waitcnt vmcnt(8)
	v_mul_f64 v[9:10], v[17:18], v[19:20]
	s_waitcnt lgkmcnt(0)
	v_fma_f64 v[5:6], v[11:12], v[7:8], v[5:6]
	ds_bpermute_b32 v7, v2, v3 offset:12
	ds_bpermute_b32 v8, v2, v4 offset:12
	s_waitcnt vmcnt(6)
	v_mul_f64 v[11:12], v[21:22], v[23:24]
	;; [unrolled: 6-line block ×4, first 2 shown]
	s_waitcnt lgkmcnt(0)
	v_fma_f64 v[5:6], v[9:10], v[7:8], v[5:6]
	ds_bpermute_b32 v7, v2, v3 offset:24
	ds_bpermute_b32 v8, v2, v4 offset:24
	ds_bpermute_b32 v3, v2, v3 offset:28
	ds_bpermute_b32 v4, v2, v4 offset:28
	s_waitcnt lgkmcnt(2)
	v_fma_f64 v[5:6], v[11:12], v[7:8], v[5:6]
	s_waitcnt vmcnt(0)
	v_mul_f64 v[7:8], v[33:34], v[37:38]
	s_waitcnt lgkmcnt(0)
	v_fma_f64 v[37:38], v[7:8], v[3:4], v[5:6]
.LBB122_80:                             ;   in Loop: Header=BB122_52 Depth=1
	v_add_co_u32 v72, vcc_lo, v72, s12
	v_add_co_ci_u32_e64 v73, null, s13, v73, vcc_lo
	v_add_co_u32 v74, vcc_lo, v74, s12
	v_add_co_ci_u32_e64 v75, null, s13, v75, vcc_lo
	;; [unrolled: 2-line block ×27, first 2 shown]
	v_add_co_u32 v96, vcc_lo, v96, s12
	s_add_u32 s22, s22, s1
	v_add_co_ci_u32_e64 v97, null, s13, v97, vcc_lo
	v_add_co_u32 v98, vcc_lo, v98, s12
	s_addc_u32 s23, s23, 0
	v_add_co_ci_u32_e64 v99, null, s13, v99, vcc_lo
	v_add_co_u32 v100, vcc_lo, v100, s12
	v_cmp_ge_i64_e64 s7, s[22:23], s[8:9]
	v_add_co_ci_u32_e64 v101, null, s13, v101, vcc_lo
	v_add_co_u32 v102, vcc_lo, v102, s12
	v_add_co_ci_u32_e64 v103, null, s13, v103, vcc_lo
	s_add_u32 s14, s14, s1
	s_addc_u32 s15, 0, s15
	s_and_b32 vcc_lo, exec_lo, s7
	s_cbranch_vccnz .LBB122_82
; %bb.81:                               ;   in Loop: Header=BB122_52 Depth=1
	v_mov_b32_e32 v68, v38
	v_mov_b32_e32 v67, v37
	s_branch .LBB122_52
.LBB122_82:
	s_mov_b32 s7, 0
	s_lshl_b64 s[6:7], s[6:7], 6
	s_waitcnt lgkmcnt(0)
	s_cmp_lg_u64 s[2:3], 0
	v_or_b32_e32 v3, s6, v0
	v_mov_b32_e32 v4, s7
	s_cselect_b32 s1, -1, 0
	v_cmp_gt_i64_e32 vcc_lo, s[10:11], v[3:4]
	s_and_b32 s1, vcc_lo, s1
	s_and_saveexec_b32 s6, s1
	s_cbranch_execz .LBB122_84
; %bb.83:
	s_load_dword s1, s[4:5], 0x4c
	v_mov_b32_e32 v2, 0
	s_waitcnt lgkmcnt(0)
	s_lshr_b32 s1, s1, 16
	v_mad_u64_u32 v[0:1], null, s1, s0, v[1:2]
	v_mul_lo_u32 v2, v1, s10
	v_mul_lo_u32 v5, v0, s11
	v_mad_u64_u32 v[0:1], null, v0, s10, 0
	v_add3_u32 v1, v1, v5, v2
	v_lshlrev_b64 v[2:3], 3, v[3:4]
	v_lshlrev_b64 v[0:1], 3, v[0:1]
	v_add_co_u32 v0, vcc_lo, s2, v0
	v_add_co_ci_u32_e64 v1, null, s3, v1, vcc_lo
	v_add_co_u32 v0, vcc_lo, v0, v2
	v_add_co_ci_u32_e64 v1, null, v1, v3, vcc_lo
	global_store_dwordx2 v[0:1], v[37:38], off
.LBB122_84:
	s_endpgm
	.section	.rodata,"a",@progbits
	.p2align	6, 0x0
	.amdhsa_kernel _ZN2at6native12_GLOBAL__N_135GammaBetaBackwardCUDAKernelTemplateIddLj64ELj1ELj8ELb1ELb0ELb1EEEvllPKT_S5_PKT0_S8_PS3_S9_
		.amdhsa_group_segment_fixed_size 0
		.amdhsa_private_segment_fixed_size 0
		.amdhsa_kernarg_size 320
		.amdhsa_user_sgpr_count 6
		.amdhsa_user_sgpr_private_segment_buffer 1
		.amdhsa_user_sgpr_dispatch_ptr 0
		.amdhsa_user_sgpr_queue_ptr 0
		.amdhsa_user_sgpr_kernarg_segment_ptr 1
		.amdhsa_user_sgpr_dispatch_id 0
		.amdhsa_user_sgpr_flat_scratch_init 0
		.amdhsa_user_sgpr_private_segment_size 0
		.amdhsa_wavefront_size32 1
		.amdhsa_uses_dynamic_stack 0
		.amdhsa_system_sgpr_private_segment_wavefront_offset 0
		.amdhsa_system_sgpr_workgroup_id_x 1
		.amdhsa_system_sgpr_workgroup_id_y 1
		.amdhsa_system_sgpr_workgroup_id_z 0
		.amdhsa_system_sgpr_workgroup_info 0
		.amdhsa_system_vgpr_workitem_id 1
		.amdhsa_next_free_vgpr 107
		.amdhsa_next_free_sgpr 30
		.amdhsa_reserve_vcc 1
		.amdhsa_reserve_flat_scratch 0
		.amdhsa_float_round_mode_32 0
		.amdhsa_float_round_mode_16_64 0
		.amdhsa_float_denorm_mode_32 3
		.amdhsa_float_denorm_mode_16_64 3
		.amdhsa_dx10_clamp 1
		.amdhsa_ieee_mode 1
		.amdhsa_fp16_overflow 0
		.amdhsa_workgroup_processor_mode 1
		.amdhsa_memory_ordered 1
		.amdhsa_forward_progress 1
		.amdhsa_shared_vgpr_count 0
		.amdhsa_exception_fp_ieee_invalid_op 0
		.amdhsa_exception_fp_denorm_src 0
		.amdhsa_exception_fp_ieee_div_zero 0
		.amdhsa_exception_fp_ieee_overflow 0
		.amdhsa_exception_fp_ieee_underflow 0
		.amdhsa_exception_fp_ieee_inexact 0
		.amdhsa_exception_int_div_zero 0
	.end_amdhsa_kernel
	.section	.text._ZN2at6native12_GLOBAL__N_135GammaBetaBackwardCUDAKernelTemplateIddLj64ELj1ELj8ELb1ELb0ELb1EEEvllPKT_S5_PKT0_S8_PS3_S9_,"axG",@progbits,_ZN2at6native12_GLOBAL__N_135GammaBetaBackwardCUDAKernelTemplateIddLj64ELj1ELj8ELb1ELb0ELb1EEEvllPKT_S5_PKT0_S8_PS3_S9_,comdat
.Lfunc_end122:
	.size	_ZN2at6native12_GLOBAL__N_135GammaBetaBackwardCUDAKernelTemplateIddLj64ELj1ELj8ELb1ELb0ELb1EEEvllPKT_S5_PKT0_S8_PS3_S9_, .Lfunc_end122-_ZN2at6native12_GLOBAL__N_135GammaBetaBackwardCUDAKernelTemplateIddLj64ELj1ELj8ELb1ELb0ELb1EEEvllPKT_S5_PKT0_S8_PS3_S9_
                                        ; -- End function
	.set _ZN2at6native12_GLOBAL__N_135GammaBetaBackwardCUDAKernelTemplateIddLj64ELj1ELj8ELb1ELb0ELb1EEEvllPKT_S5_PKT0_S8_PS3_S9_.num_vgpr, 107
	.set _ZN2at6native12_GLOBAL__N_135GammaBetaBackwardCUDAKernelTemplateIddLj64ELj1ELj8ELb1ELb0ELb1EEEvllPKT_S5_PKT0_S8_PS3_S9_.num_agpr, 0
	.set _ZN2at6native12_GLOBAL__N_135GammaBetaBackwardCUDAKernelTemplateIddLj64ELj1ELj8ELb1ELb0ELb1EEEvllPKT_S5_PKT0_S8_PS3_S9_.numbered_sgpr, 30
	.set _ZN2at6native12_GLOBAL__N_135GammaBetaBackwardCUDAKernelTemplateIddLj64ELj1ELj8ELb1ELb0ELb1EEEvllPKT_S5_PKT0_S8_PS3_S9_.num_named_barrier, 0
	.set _ZN2at6native12_GLOBAL__N_135GammaBetaBackwardCUDAKernelTemplateIddLj64ELj1ELj8ELb1ELb0ELb1EEEvllPKT_S5_PKT0_S8_PS3_S9_.private_seg_size, 0
	.set _ZN2at6native12_GLOBAL__N_135GammaBetaBackwardCUDAKernelTemplateIddLj64ELj1ELj8ELb1ELb0ELb1EEEvllPKT_S5_PKT0_S8_PS3_S9_.uses_vcc, 1
	.set _ZN2at6native12_GLOBAL__N_135GammaBetaBackwardCUDAKernelTemplateIddLj64ELj1ELj8ELb1ELb0ELb1EEEvllPKT_S5_PKT0_S8_PS3_S9_.uses_flat_scratch, 0
	.set _ZN2at6native12_GLOBAL__N_135GammaBetaBackwardCUDAKernelTemplateIddLj64ELj1ELj8ELb1ELb0ELb1EEEvllPKT_S5_PKT0_S8_PS3_S9_.has_dyn_sized_stack, 0
	.set _ZN2at6native12_GLOBAL__N_135GammaBetaBackwardCUDAKernelTemplateIddLj64ELj1ELj8ELb1ELb0ELb1EEEvllPKT_S5_PKT0_S8_PS3_S9_.has_recursion, 0
	.set _ZN2at6native12_GLOBAL__N_135GammaBetaBackwardCUDAKernelTemplateIddLj64ELj1ELj8ELb1ELb0ELb1EEEvllPKT_S5_PKT0_S8_PS3_S9_.has_indirect_call, 0
	.section	.AMDGPU.csdata,"",@progbits
; Kernel info:
; codeLenInByte = 8176
; TotalNumSgprs: 32
; NumVgprs: 107
; ScratchSize: 0
; MemoryBound: 1
; FloatMode: 240
; IeeeMode: 1
; LDSByteSize: 0 bytes/workgroup (compile time only)
; SGPRBlocks: 0
; VGPRBlocks: 13
; NumSGPRsForWavesPerEU: 32
; NumVGPRsForWavesPerEU: 107
; Occupancy: 9
; WaveLimiterHint : 0
; COMPUTE_PGM_RSRC2:SCRATCH_EN: 0
; COMPUTE_PGM_RSRC2:USER_SGPR: 6
; COMPUTE_PGM_RSRC2:TRAP_HANDLER: 0
; COMPUTE_PGM_RSRC2:TGID_X_EN: 1
; COMPUTE_PGM_RSRC2:TGID_Y_EN: 1
; COMPUTE_PGM_RSRC2:TGID_Z_EN: 0
; COMPUTE_PGM_RSRC2:TIDIG_COMP_CNT: 1
	.section	.text._ZN2at6native12_GLOBAL__N_135GammaBetaBackwardCUDAKernelTemplateIddLj64ELj8ELj64ELb0ELb1ELb1EEEvllPKT_S5_PKT0_S8_PS3_S9_,"axG",@progbits,_ZN2at6native12_GLOBAL__N_135GammaBetaBackwardCUDAKernelTemplateIddLj64ELj8ELj64ELb0ELb1ELb1EEEvllPKT_S5_PKT0_S8_PS3_S9_,comdat
	.globl	_ZN2at6native12_GLOBAL__N_135GammaBetaBackwardCUDAKernelTemplateIddLj64ELj8ELj64ELb0ELb1ELb1EEEvllPKT_S5_PKT0_S8_PS3_S9_ ; -- Begin function _ZN2at6native12_GLOBAL__N_135GammaBetaBackwardCUDAKernelTemplateIddLj64ELj8ELj64ELb0ELb1ELb1EEEvllPKT_S5_PKT0_S8_PS3_S9_
	.p2align	8
	.type	_ZN2at6native12_GLOBAL__N_135GammaBetaBackwardCUDAKernelTemplateIddLj64ELj8ELj64ELb0ELb1ELb1EEEvllPKT_S5_PKT0_S8_PS3_S9_,@function
_ZN2at6native12_GLOBAL__N_135GammaBetaBackwardCUDAKernelTemplateIddLj64ELj8ELj64ELb0ELb1ELb1EEEvllPKT_S5_PKT0_S8_PS3_S9_: ; @_ZN2at6native12_GLOBAL__N_135GammaBetaBackwardCUDAKernelTemplateIddLj64ELj8ELj64ELb0ELb1ELb1EEEvllPKT_S5_PKT0_S8_PS3_S9_
; %bb.0:
	s_load_dwordx4 s[8:11], s[4:5], 0x0
	s_lshl_b32 s16, s7, 6
	s_mov_b32 s17, 0
	s_waitcnt lgkmcnt(0)
	v_cmp_gt_i64_e64 s0, s[8:9], s[16:17]
	s_and_b32 vcc_lo, exec_lo, s0
	s_cbranch_vccnz .LBB123_2
; %bb.1:
	s_mov_b32 s0, s17
	s_branch .LBB123_3
.LBB123_2:
	s_mov_b32 s0, -1
.LBB123_3:
	s_load_dwordx2 s[2:3], s[4:5], 0x30
	v_mov_b32_e32 v8, 0
	v_mov_b32_e32 v9, 0
	s_andn2_b32 vcc_lo, exec_lo, s0
	s_cbranch_vccnz .LBB123_10
; %bb.4:
	s_clause 0x3
	s_load_dword s0, s[4:5], 0x4c
	s_load_dword s1, s[4:5], 0x44
	s_load_dwordx4 s[12:15], s[4:5], 0x10
	s_load_dwordx2 s[18:19], s[4:5], 0x28
	v_lshlrev_b32_e32 v4, 3, v1
	v_mov_b32_e32 v3, 0
	v_lshl_add_u32 v2, s6, 6, v0
	v_mov_b32_e32 v12, 8
	v_mov_b32_e32 v13, 4
	v_add_co_u32 v4, s4, v4, s16
	v_add_co_ci_u32_e64 v5, null, 0, 0, s4
	v_lshlrev_b64 v[8:9], 3, v[2:3]
	v_mul_lo_u32 v10, s11, v4
	v_mov_b32_e32 v14, 12
	v_mul_lo_u32 v11, s10, v5
	v_mov_b32_e32 v15, 16
	v_mov_b32_e32 v16, 20
	v_mov_b32_e32 v17, 24
	s_waitcnt lgkmcnt(0)
	s_and_b32 s0, s0, 0xffff
	s_lshl_b32 s4, s1, 6
	v_mad_u32_u24 v6, v1, s0, v0
	s_mul_i32 s1, s11, s4
	s_mul_hi_u32 s7, s10, s4
	v_mov_b32_e32 v18, 28
	s_mov_b32 s5, 0
	v_and_b32_e32 v21, 31, v6
	v_mad_u64_u32 v[6:7], null, s10, v4, 0
	s_add_i32 s21, s7, s1
	s_mul_i32 s20, s10, s4
	v_add_co_u32 v4, vcc_lo, v4, v21
	v_add_co_ci_u32_e64 v5, null, 0, v5, vcc_lo
	v_add3_u32 v7, v7, v11, v10
	v_cmp_gt_u32_e64 s0, 8, v21
	s_lshl_b64 s[20:21], s[20:21], 3
	v_lshlrev_b64 v[10:11], 3, v[4:5]
	s_lshl_b64 s[10:11], s[10:11], 3
	v_lshlrev_b64 v[19:20], 3, v[6:7]
	v_add_co_u32 v6, vcc_lo, s18, v10
	v_add_co_ci_u32_e64 v7, null, s19, v11, vcc_lo
	v_add_co_u32 v2, vcc_lo, v19, v8
	v_add_co_ci_u32_e64 v19, null, v20, v9, vcc_lo
	v_mov_b32_e32 v8, 0
	v_mov_b32_e32 v9, 0
	s_lshl_b64 s[18:19], s[4:5], 3
	s_branch .LBB123_7
.LBB123_5:                              ;   in Loop: Header=BB123_7 Depth=1
	s_or_b32 exec_lo, exec_lo, s5
.LBB123_6:                              ;   in Loop: Header=BB123_7 Depth=1
	s_or_b32 exec_lo, exec_lo, s1
	v_add_co_u32 v20, vcc_lo, s12, v2
	v_add_co_ci_u32_e64 v21, null, s13, v19, vcc_lo
	v_add_co_u32 v22, vcc_lo, s14, v2
	v_add_co_ci_u32_e64 v23, null, s15, v19, vcc_lo
	global_load_dwordx2 v[24:25], v[20:21], off
	global_load_dwordx2 v[26:27], v[22:23], off
	v_add_co_u32 v20, vcc_lo, v20, s10
	v_add_co_ci_u32_e64 v21, null, s11, v21, vcc_lo
	v_add_co_u32 v22, vcc_lo, v22, s10
	v_add_co_ci_u32_e64 v23, null, s11, v23, vcc_lo
	global_load_dwordx2 v[28:29], v[20:21], off
	global_load_dwordx2 v[30:31], v[22:23], off
	v_add_co_u32 v20, vcc_lo, v20, s10
	v_add_co_ci_u32_e64 v21, null, s11, v21, vcc_lo
	v_add_co_u32 v22, vcc_lo, v22, s10
	v_add_co_ci_u32_e64 v23, null, s11, v23, vcc_lo
	global_load_dwordx2 v[32:33], v[20:21], off
	global_load_dwordx2 v[34:35], v[22:23], off
	v_add_co_u32 v20, vcc_lo, v20, s10
	v_add_co_ci_u32_e64 v21, null, s11, v21, vcc_lo
	v_add_co_u32 v22, vcc_lo, v22, s10
	v_add_co_ci_u32_e64 v23, null, s11, v23, vcc_lo
	global_load_dwordx2 v[36:37], v[20:21], off
	global_load_dwordx2 v[38:39], v[22:23], off
	v_add_co_u32 v20, vcc_lo, v20, s10
	v_add_co_ci_u32_e64 v21, null, s11, v21, vcc_lo
	v_add_co_u32 v22, vcc_lo, v22, s10
	v_add_co_ci_u32_e64 v23, null, s11, v23, vcc_lo
	global_load_dwordx2 v[40:41], v[20:21], off
	global_load_dwordx2 v[42:43], v[22:23], off
	v_add_co_u32 v20, vcc_lo, v20, s10
	v_add_co_ci_u32_e64 v21, null, s11, v21, vcc_lo
	v_add_co_u32 v22, vcc_lo, v22, s10
	v_add_co_ci_u32_e64 v23, null, s11, v23, vcc_lo
	global_load_dwordx2 v[44:45], v[20:21], off
	global_load_dwordx2 v[46:47], v[22:23], off
	v_add_co_u32 v20, vcc_lo, v20, s10
	v_add_co_ci_u32_e64 v21, null, s11, v21, vcc_lo
	v_add_co_u32 v22, vcc_lo, v22, s10
	v_add_co_ci_u32_e64 v23, null, s11, v23, vcc_lo
	global_load_dwordx2 v[48:49], v[20:21], off
	global_load_dwordx2 v[50:51], v[22:23], off
	v_add_co_u32 v20, vcc_lo, v20, s10
	v_add_co_ci_u32_e64 v21, null, s11, v21, vcc_lo
	v_add_co_u32 v22, vcc_lo, v22, s10
	v_add_co_ci_u32_e64 v23, null, s11, v23, vcc_lo
	global_load_dwordx2 v[20:21], v[20:21], off
	global_load_dwordx2 v[22:23], v[22:23], off
	s_add_u32 s16, s16, s4
	v_add_co_u32 v6, vcc_lo, v6, s18
	s_addc_u32 s17, s17, 0
	v_add_co_ci_u32_e64 v7, null, s19, v7, vcc_lo
	v_add_co_u32 v4, vcc_lo, v4, s4
	v_cmp_lt_i64_e64 s1, s[16:17], s[8:9]
	v_add_co_ci_u32_e64 v5, null, 0, v5, vcc_lo
	v_add_co_u32 v2, vcc_lo, v2, s20
	v_add_co_ci_u32_e64 v19, null, s21, v19, vcc_lo
	s_and_b32 vcc_lo, exec_lo, s1
	s_waitcnt vmcnt(14)
	v_mul_f64 v[24:25], v[24:25], v[26:27]
	ds_bpermute_b32 v26, v3, v10
	ds_bpermute_b32 v27, v3, v11
	s_waitcnt vmcnt(12)
	v_mul_f64 v[28:29], v[28:29], v[30:31]
	s_waitcnt lgkmcnt(0)
	v_fma_f64 v[8:9], v[24:25], v[26:27], v[8:9]
	ds_bpermute_b32 v24, v13, v10
	ds_bpermute_b32 v25, v13, v11
	s_waitcnt vmcnt(10)
	v_mul_f64 v[26:27], v[32:33], v[34:35]
	s_waitcnt lgkmcnt(0)
	v_fma_f64 v[8:9], v[28:29], v[24:25], v[8:9]
	;; [unrolled: 6-line block ×3, first 2 shown]
	ds_bpermute_b32 v24, v14, v10
	ds_bpermute_b32 v25, v14, v11
	s_waitcnt vmcnt(6)
	v_mul_f64 v[26:27], v[40:41], v[42:43]
	s_waitcnt vmcnt(0)
	v_mul_f64 v[20:21], v[20:21], v[22:23]
	s_waitcnt lgkmcnt(0)
	v_fma_f64 v[8:9], v[28:29], v[24:25], v[8:9]
	ds_bpermute_b32 v24, v15, v10
	ds_bpermute_b32 v25, v15, v11
	v_mul_f64 v[28:29], v[44:45], v[46:47]
	s_waitcnt lgkmcnt(0)
	v_fma_f64 v[8:9], v[26:27], v[24:25], v[8:9]
	ds_bpermute_b32 v24, v16, v10
	ds_bpermute_b32 v25, v16, v11
	;; [unrolled: 5-line block ×3, first 2 shown]
	ds_bpermute_b32 v10, v18, v10
	ds_bpermute_b32 v11, v18, v11
	s_waitcnt lgkmcnt(2)
	v_fma_f64 v[8:9], v[26:27], v[24:25], v[8:9]
	s_waitcnt lgkmcnt(0)
	v_fma_f64 v[8:9], v[20:21], v[10:11], v[8:9]
	s_cbranch_vccz .LBB123_10
.LBB123_7:                              ; =>This Inner Loop Header: Depth=1
	v_mov_b32_e32 v10, 0
	v_mov_b32_e32 v11, 0
	s_and_saveexec_b32 s1, s0
	s_cbranch_execz .LBB123_6
; %bb.8:                                ;   in Loop: Header=BB123_7 Depth=1
	v_mov_b32_e32 v10, 0
	v_mov_b32_e32 v11, 0
	s_mov_b32 s5, exec_lo
	v_cmpx_gt_i64_e64 s[8:9], v[4:5]
	s_cbranch_execz .LBB123_5
; %bb.9:                                ;   in Loop: Header=BB123_7 Depth=1
	global_load_dwordx2 v[10:11], v[6:7], off
	s_branch .LBB123_5
.LBB123_10:
	v_mad_u32_u24 v2, 0x41, v1, v0
	v_mov_b32_e32 v4, 0
	s_mov_b32 s0, exec_lo
	v_lshl_add_u32 v6, v2, 3, 0
	v_sub_nc_u32_e32 v3, v2, v1
	v_mov_b32_e32 v5, v4
	ds_write_b64 v6, v[8:9]
	ds_write_b64 v6, v[4:5] offset:4160
	s_waitcnt lgkmcnt(0)
	s_barrier
	buffer_gl0_inv
	v_cmpx_gt_u32_e32 0x800, v3
	s_cbranch_execz .LBB123_30
; %bb.11:
	v_and_b32_e32 v1, 31, v0
	v_lshrrev_b32_e32 v2, 5, v3
	v_cmp_gt_u32_e32 vcc_lo, 8, v1
	v_mul_u32_u24_e32 v5, 0x41, v1
	v_lshlrev_b32_e32 v4, 3, v2
                                        ; implicit-def: $vgpr1_vgpr2
	s_and_saveexec_b32 s0, vcc_lo
; %bb.12:
	v_lshlrev_b32_e32 v1, 3, v5
	v_add3_u32 v1, 0, v4, v1
	ds_read_b64 v[1:2], v1
; %bb.13:
	s_or_b32 exec_lo, exec_lo, s0
	v_mbcnt_lo_u32_b32 v10, -1, 0
	s_cmp_lg_u64 s[2:3], 0
	s_mov_b32 s7, 0
	s_cselect_b32 s1, -1, 0
	s_lshl_b64 s[4:5], s[6:7], 9
	v_xor_b32_e32 v6, 4, v10
	v_cmp_gt_i32_e64 s0, 32, v6
	v_cndmask_b32_e64 v6, v10, v6, s0
	v_lshlrev_b32_e32 v6, 2, v6
	s_waitcnt lgkmcnt(0)
	ds_bpermute_b32 v7, v6, v1
	ds_bpermute_b32 v8, v6, v2
	s_waitcnt lgkmcnt(0)
	v_add_f64 v[1:2], v[1:2], v[7:8]
	v_xor_b32_e32 v7, 2, v10
	v_cmp_gt_i32_e64 s0, 32, v7
	v_cndmask_b32_e64 v7, v10, v7, s0
	v_lshlrev_b32_e32 v7, 2, v7
	ds_bpermute_b32 v8, v7, v1
	ds_bpermute_b32 v9, v7, v2
	s_waitcnt lgkmcnt(0)
	v_add_f64 v[1:2], v[1:2], v[8:9]
	v_xor_b32_e32 v8, 1, v10
	v_cmp_gt_i32_e64 s0, 32, v8
	v_cndmask_b32_e64 v8, v10, v8, s0
	v_cmp_eq_u32_e64 s0, 0, v0
	v_lshlrev_b32_e32 v8, 2, v8
	s_and_b32 s1, s0, s1
	s_add_u32 s2, s2, s4
	s_addc_u32 s3, s3, s5
	ds_bpermute_b32 v9, v8, v1
	ds_bpermute_b32 v10, v8, v2
	s_waitcnt lgkmcnt(0)
	v_add_f64 v[1:2], v[1:2], v[9:10]
	s_and_saveexec_b32 s0, s1
	s_cbranch_execz .LBB123_15
; %bb.14:
	global_store_dwordx2 v4, v[1:2], s[2:3]
.LBB123_15:
	s_or_b32 exec_lo, exec_lo, s0
	v_cmp_gt_u32_e64 s0, 0x600, v3
	s_and_b32 exec_lo, exec_lo, s0
	s_cbranch_execz .LBB123_30
; %bb.16:
	s_and_saveexec_b32 s0, vcc_lo
; %bb.17:
	v_lshlrev_b32_e32 v0, 3, v5
	v_add3_u32 v0, 0, v4, v0
	ds_read_b64 v[1:2], v0 offset:128
; %bb.18:
	s_or_b32 exec_lo, exec_lo, s0
	s_waitcnt lgkmcnt(0)
	ds_bpermute_b32 v9, v6, v1
	ds_bpermute_b32 v10, v6, v2
	s_waitcnt lgkmcnt(0)
	v_add_f64 v[0:1], v[1:2], v[9:10]
	ds_bpermute_b32 v9, v7, v0
	ds_bpermute_b32 v10, v7, v1
	s_waitcnt lgkmcnt(0)
	v_add_f64 v[0:1], v[0:1], v[9:10]
	;; [unrolled: 4-line block ×3, first 2 shown]
	s_and_saveexec_b32 s0, s1
	s_cbranch_execz .LBB123_20
; %bb.19:
	global_store_dwordx2 v4, v[0:1], s[2:3] offset:128
.LBB123_20:
	s_or_b32 exec_lo, exec_lo, s0
	v_cmp_gt_u32_e64 s0, 0x400, v3
	s_and_b32 exec_lo, exec_lo, s0
	s_cbranch_execz .LBB123_30
; %bb.21:
	s_and_saveexec_b32 s0, vcc_lo
; %bb.22:
	v_lshlrev_b32_e32 v0, 3, v5
	v_add3_u32 v0, 0, v4, v0
	ds_read_b64 v[0:1], v0 offset:256
; %bb.23:
	s_or_b32 exec_lo, exec_lo, s0
	s_waitcnt lgkmcnt(0)
	ds_bpermute_b32 v9, v6, v0
	ds_bpermute_b32 v10, v6, v1
	s_waitcnt lgkmcnt(0)
	v_add_f64 v[0:1], v[0:1], v[9:10]
	ds_bpermute_b32 v9, v7, v0
	ds_bpermute_b32 v10, v7, v1
	s_waitcnt lgkmcnt(0)
	v_add_f64 v[0:1], v[0:1], v[9:10]
	;; [unrolled: 4-line block ×3, first 2 shown]
	s_and_saveexec_b32 s0, s1
	s_cbranch_execz .LBB123_25
; %bb.24:
	global_store_dwordx2 v4, v[0:1], s[2:3] offset:256
.LBB123_25:
	s_or_b32 exec_lo, exec_lo, s0
	v_cmp_gt_u32_e64 s0, 0x200, v3
	s_and_b32 exec_lo, exec_lo, s0
	s_cbranch_execz .LBB123_30
; %bb.26:
	s_and_saveexec_b32 s0, vcc_lo
; %bb.27:
	v_lshlrev_b32_e32 v0, 3, v5
	v_add3_u32 v0, 0, v4, v0
	ds_read_b64 v[0:1], v0 offset:384
; %bb.28:
	s_or_b32 exec_lo, exec_lo, s0
	s_waitcnt lgkmcnt(0)
	ds_bpermute_b32 v2, v6, v0
	ds_bpermute_b32 v3, v6, v1
	s_waitcnt lgkmcnt(0)
	v_add_f64 v[0:1], v[0:1], v[2:3]
	ds_bpermute_b32 v2, v7, v0
	ds_bpermute_b32 v3, v7, v1
	s_waitcnt lgkmcnt(0)
	v_add_f64 v[0:1], v[0:1], v[2:3]
	ds_bpermute_b32 v2, v8, v0
	ds_bpermute_b32 v3, v8, v1
	s_and_saveexec_b32 s0, s1
	s_xor_b32 s0, exec_lo, s0
	s_cbranch_execz .LBB123_30
; %bb.29:
	s_waitcnt lgkmcnt(0)
	v_add_f64 v[0:1], v[0:1], v[2:3]
	global_store_dwordx2 v4, v[0:1], s[2:3] offset:384
.LBB123_30:
	s_endpgm
	.section	.rodata,"a",@progbits
	.p2align	6, 0x0
	.amdhsa_kernel _ZN2at6native12_GLOBAL__N_135GammaBetaBackwardCUDAKernelTemplateIddLj64ELj8ELj64ELb0ELb1ELb1EEEvllPKT_S5_PKT0_S8_PS3_S9_
		.amdhsa_group_segment_fixed_size 0
		.amdhsa_private_segment_fixed_size 0
		.amdhsa_kernarg_size 320
		.amdhsa_user_sgpr_count 6
		.amdhsa_user_sgpr_private_segment_buffer 1
		.amdhsa_user_sgpr_dispatch_ptr 0
		.amdhsa_user_sgpr_queue_ptr 0
		.amdhsa_user_sgpr_kernarg_segment_ptr 1
		.amdhsa_user_sgpr_dispatch_id 0
		.amdhsa_user_sgpr_flat_scratch_init 0
		.amdhsa_user_sgpr_private_segment_size 0
		.amdhsa_wavefront_size32 1
		.amdhsa_uses_dynamic_stack 0
		.amdhsa_system_sgpr_private_segment_wavefront_offset 0
		.amdhsa_system_sgpr_workgroup_id_x 1
		.amdhsa_system_sgpr_workgroup_id_y 1
		.amdhsa_system_sgpr_workgroup_id_z 0
		.amdhsa_system_sgpr_workgroup_info 0
		.amdhsa_system_vgpr_workitem_id 1
		.amdhsa_next_free_vgpr 52
		.amdhsa_next_free_sgpr 22
		.amdhsa_reserve_vcc 1
		.amdhsa_reserve_flat_scratch 0
		.amdhsa_float_round_mode_32 0
		.amdhsa_float_round_mode_16_64 0
		.amdhsa_float_denorm_mode_32 3
		.amdhsa_float_denorm_mode_16_64 3
		.amdhsa_dx10_clamp 1
		.amdhsa_ieee_mode 1
		.amdhsa_fp16_overflow 0
		.amdhsa_workgroup_processor_mode 1
		.amdhsa_memory_ordered 1
		.amdhsa_forward_progress 1
		.amdhsa_shared_vgpr_count 0
		.amdhsa_exception_fp_ieee_invalid_op 0
		.amdhsa_exception_fp_denorm_src 0
		.amdhsa_exception_fp_ieee_div_zero 0
		.amdhsa_exception_fp_ieee_overflow 0
		.amdhsa_exception_fp_ieee_underflow 0
		.amdhsa_exception_fp_ieee_inexact 0
		.amdhsa_exception_int_div_zero 0
	.end_amdhsa_kernel
	.section	.text._ZN2at6native12_GLOBAL__N_135GammaBetaBackwardCUDAKernelTemplateIddLj64ELj8ELj64ELb0ELb1ELb1EEEvllPKT_S5_PKT0_S8_PS3_S9_,"axG",@progbits,_ZN2at6native12_GLOBAL__N_135GammaBetaBackwardCUDAKernelTemplateIddLj64ELj8ELj64ELb0ELb1ELb1EEEvllPKT_S5_PKT0_S8_PS3_S9_,comdat
.Lfunc_end123:
	.size	_ZN2at6native12_GLOBAL__N_135GammaBetaBackwardCUDAKernelTemplateIddLj64ELj8ELj64ELb0ELb1ELb1EEEvllPKT_S5_PKT0_S8_PS3_S9_, .Lfunc_end123-_ZN2at6native12_GLOBAL__N_135GammaBetaBackwardCUDAKernelTemplateIddLj64ELj8ELj64ELb0ELb1ELb1EEEvllPKT_S5_PKT0_S8_PS3_S9_
                                        ; -- End function
	.set _ZN2at6native12_GLOBAL__N_135GammaBetaBackwardCUDAKernelTemplateIddLj64ELj8ELj64ELb0ELb1ELb1EEEvllPKT_S5_PKT0_S8_PS3_S9_.num_vgpr, 52
	.set _ZN2at6native12_GLOBAL__N_135GammaBetaBackwardCUDAKernelTemplateIddLj64ELj8ELj64ELb0ELb1ELb1EEEvllPKT_S5_PKT0_S8_PS3_S9_.num_agpr, 0
	.set _ZN2at6native12_GLOBAL__N_135GammaBetaBackwardCUDAKernelTemplateIddLj64ELj8ELj64ELb0ELb1ELb1EEEvllPKT_S5_PKT0_S8_PS3_S9_.numbered_sgpr, 22
	.set _ZN2at6native12_GLOBAL__N_135GammaBetaBackwardCUDAKernelTemplateIddLj64ELj8ELj64ELb0ELb1ELb1EEEvllPKT_S5_PKT0_S8_PS3_S9_.num_named_barrier, 0
	.set _ZN2at6native12_GLOBAL__N_135GammaBetaBackwardCUDAKernelTemplateIddLj64ELj8ELj64ELb0ELb1ELb1EEEvllPKT_S5_PKT0_S8_PS3_S9_.private_seg_size, 0
	.set _ZN2at6native12_GLOBAL__N_135GammaBetaBackwardCUDAKernelTemplateIddLj64ELj8ELj64ELb0ELb1ELb1EEEvllPKT_S5_PKT0_S8_PS3_S9_.uses_vcc, 1
	.set _ZN2at6native12_GLOBAL__N_135GammaBetaBackwardCUDAKernelTemplateIddLj64ELj8ELj64ELb0ELb1ELb1EEEvllPKT_S5_PKT0_S8_PS3_S9_.uses_flat_scratch, 0
	.set _ZN2at6native12_GLOBAL__N_135GammaBetaBackwardCUDAKernelTemplateIddLj64ELj8ELj64ELb0ELb1ELb1EEEvllPKT_S5_PKT0_S8_PS3_S9_.has_dyn_sized_stack, 0
	.set _ZN2at6native12_GLOBAL__N_135GammaBetaBackwardCUDAKernelTemplateIddLj64ELj8ELj64ELb0ELb1ELb1EEEvllPKT_S5_PKT0_S8_PS3_S9_.has_recursion, 0
	.set _ZN2at6native12_GLOBAL__N_135GammaBetaBackwardCUDAKernelTemplateIddLj64ELj8ELj64ELb0ELb1ELb1EEEvllPKT_S5_PKT0_S8_PS3_S9_.has_indirect_call, 0
	.section	.AMDGPU.csdata,"",@progbits
; Kernel info:
; codeLenInByte = 2008
; TotalNumSgprs: 24
; NumVgprs: 52
; ScratchSize: 0
; MemoryBound: 0
; FloatMode: 240
; IeeeMode: 1
; LDSByteSize: 0 bytes/workgroup (compile time only)
; SGPRBlocks: 0
; VGPRBlocks: 6
; NumSGPRsForWavesPerEU: 24
; NumVGPRsForWavesPerEU: 52
; Occupancy: 16
; WaveLimiterHint : 0
; COMPUTE_PGM_RSRC2:SCRATCH_EN: 0
; COMPUTE_PGM_RSRC2:USER_SGPR: 6
; COMPUTE_PGM_RSRC2:TRAP_HANDLER: 0
; COMPUTE_PGM_RSRC2:TGID_X_EN: 1
; COMPUTE_PGM_RSRC2:TGID_Y_EN: 1
; COMPUTE_PGM_RSRC2:TGID_Z_EN: 0
; COMPUTE_PGM_RSRC2:TIDIG_COMP_CNT: 1
	.section	.text._ZN2at6native12_GLOBAL__N_135GammaBetaBackwardCUDAKernelTemplateIddLj64ELj8ELj64ELb0ELb0ELb1EEEvllPKT_S5_PKT0_S8_PS3_S9_,"axG",@progbits,_ZN2at6native12_GLOBAL__N_135GammaBetaBackwardCUDAKernelTemplateIddLj64ELj8ELj64ELb0ELb0ELb1EEEvllPKT_S5_PKT0_S8_PS3_S9_,comdat
	.globl	_ZN2at6native12_GLOBAL__N_135GammaBetaBackwardCUDAKernelTemplateIddLj64ELj8ELj64ELb0ELb0ELb1EEEvllPKT_S5_PKT0_S8_PS3_S9_ ; -- Begin function _ZN2at6native12_GLOBAL__N_135GammaBetaBackwardCUDAKernelTemplateIddLj64ELj8ELj64ELb0ELb0ELb1EEEvllPKT_S5_PKT0_S8_PS3_S9_
	.p2align	8
	.type	_ZN2at6native12_GLOBAL__N_135GammaBetaBackwardCUDAKernelTemplateIddLj64ELj8ELj64ELb0ELb0ELb1EEEvllPKT_S5_PKT0_S8_PS3_S9_,@function
_ZN2at6native12_GLOBAL__N_135GammaBetaBackwardCUDAKernelTemplateIddLj64ELj8ELj64ELb0ELb0ELb1EEEvllPKT_S5_PKT0_S8_PS3_S9_: ; @_ZN2at6native12_GLOBAL__N_135GammaBetaBackwardCUDAKernelTemplateIddLj64ELj8ELj64ELb0ELb0ELb1EEEvllPKT_S5_PKT0_S8_PS3_S9_
; %bb.0:
	s_clause 0x1
	s_load_dwordx8 s[8:15], s[4:5], 0x0
	s_load_dwordx2 s[2:3], s[4:5], 0x28
	s_lshl_b32 s26, s6, 6
	s_mov_b32 s17, 0
	s_or_b32 s16, s26, 63
	s_waitcnt lgkmcnt(0)
	v_cmp_le_i64_e64 s0, s[10:11], s[16:17]
	s_lshl_b32 s16, s7, 6
	v_cmp_gt_i64_e64 s7, s[8:9], s[16:17]
	s_and_b32 vcc_lo, exec_lo, s0
	v_cndmask_b32_e64 v2, 0, 1, s7
	v_cmp_ne_u32_e64 s0, 1, v2
	s_cbranch_vccz .LBB124_48
; %bb.1:
	v_mov_b32_e32 v37, 0
	v_mov_b32_e32 v38, 0
	s_and_b32 vcc_lo, exec_lo, s0
	s_cbranch_vccnz .LBB124_49
; %bb.2:
	v_lshlrev_b32_e32 v43, 3, v1
	v_mov_b32_e32 v2, 0
	v_add_nc_u32_e32 v5, s26, v0
	s_load_dword s1, s[4:5], 0x44
	s_add_u32 s18, s4, 64
	v_add_co_u32 v11, s0, v43, s16
	v_add_co_ci_u32_e64 v12, null, 0, 0, s0
	v_mov_b32_e32 v6, v2
	v_mul_lo_u32 v7, s11, v11
	v_mad_u64_u32 v[3:4], null, s10, v11, 0
	v_mul_lo_u32 v8, s10, v12
	v_cmp_gt_i64_e64 s0, s[10:11], v[5:6]
	v_lshlrev_b64 v[35:36], 3, v[5:6]
	s_addc_u32 s19, s5, 0
	v_mov_b32_e32 v37, 0
	v_mov_b32_e32 v38, 0
	s_mov_b64 s[24:25], s[16:17]
	v_add3_u32 v4, v4, v8, v7
	v_add_co_u32 v7, vcc_lo, v11, 7
	v_add_co_ci_u32_e64 v8, null, 0, v12, vcc_lo
	v_lshlrev_b64 v[5:6], 3, v[3:4]
	v_mul_lo_u32 v13, s11, v7
	s_waitcnt lgkmcnt(0)
	s_lshl_b32 s27, s1, 6
	v_mul_lo_u32 v14, s10, v8
	v_mad_u64_u32 v[7:8], null, s10, v7, 0
	v_add_co_u32 v44, vcc_lo, s12, v5
	v_add_co_ci_u32_e64 v45, null, s13, v6, vcc_lo
	v_add_co_u32 v9, vcc_lo, v11, 6
	v_add_co_ci_u32_e64 v10, null, 0, v12, vcc_lo
	v_add_co_u32 v46, vcc_lo, s14, v5
	v_mul_lo_u32 v15, s11, v9
	v_mul_lo_u32 v16, s10, v10
	v_mad_u64_u32 v[9:10], null, s10, v9, 0
	v_add3_u32 v8, v8, v14, v13
	v_add_co_ci_u32_e64 v47, null, s15, v6, vcc_lo
	v_add_co_u32 v13, vcc_lo, v11, 5
	v_add_co_ci_u32_e64 v14, null, 0, v12, vcc_lo
	v_add3_u32 v10, v10, v16, v15
	v_lshlrev_b64 v[5:6], 3, v[7:8]
	v_mul_lo_u32 v15, s11, v13
	v_mul_lo_u32 v14, s10, v14
	s_mul_i32 s1, s11, s27
	v_lshlrev_b64 v[7:8], 3, v[9:10]
	v_mad_u64_u32 v[9:10], null, s10, v13, 0
	v_add_co_u32 v48, vcc_lo, s12, v5
	v_add_co_ci_u32_e64 v49, null, s13, v6, vcc_lo
	v_add_co_u32 v50, vcc_lo, s14, v5
	v_add_co_ci_u32_e64 v51, null, s15, v6, vcc_lo
	v_add_co_u32 v52, vcc_lo, s12, v7
	v_add3_u32 v10, v10, v14, v15
	s_mul_hi_u32 s20, s10, s27
	v_add_co_ci_u32_e64 v53, null, s13, v8, vcc_lo
	v_add_co_u32 v13, vcc_lo, v11, 4
	s_add_i32 s21, s20, s1
	v_add_co_u32 v54, s1, s14, v7
	v_add_co_ci_u32_e64 v7, null, 0, v12, vcc_lo
	v_lshlrev_b64 v[5:6], 3, v[9:10]
	v_add_co_u32 v9, vcc_lo, v11, 3
	v_add_co_ci_u32_e64 v10, null, 0, v12, vcc_lo
	v_add_co_ci_u32_e64 v55, null, s15, v8, s1
	v_mul_lo_u32 v14, s11, v13
	v_mul_lo_u32 v15, s10, v7
	v_mad_u64_u32 v[7:8], null, s10, v13, 0
	v_mul_lo_u32 v13, s11, v9
	v_mul_lo_u32 v16, s10, v10
	v_mad_u64_u32 v[9:10], null, s10, v9, 0
	v_add_co_u32 v56, vcc_lo, s12, v5
	v_add_co_ci_u32_e64 v57, null, s13, v6, vcc_lo
	v_add3_u32 v8, v8, v15, v14
	v_add_co_u32 v58, vcc_lo, s14, v5
	v_add_co_ci_u32_e64 v59, null, s15, v6, vcc_lo
	v_add_co_u32 v11, vcc_lo, v11, 2
	v_add3_u32 v10, v10, v16, v13
	v_add_co_ci_u32_e64 v12, null, 0, v12, vcc_lo
	v_lshlrev_b64 v[5:6], 3, v[7:8]
	v_mul_lo_u32 v13, s11, v11
	v_lshlrev_b64 v[7:8], 3, v[9:10]
	v_mul_lo_u32 v12, s10, v12
	v_mad_u64_u32 v[9:10], null, s10, v11, 0
	v_add_co_u32 v60, vcc_lo, s12, v5
	v_add_co_ci_u32_e64 v61, null, s13, v6, vcc_lo
	v_add_co_u32 v62, vcc_lo, s14, v5
	v_add_co_ci_u32_e64 v63, null, s15, v6, vcc_lo
	;; [unrolled: 2-line block ×3, first 2 shown]
	v_add3_u32 v10, v10, v12, v13
	v_add_co_u32 v66, vcc_lo, s14, v7
	v_add_co_ci_u32_e64 v67, null, s15, v8, vcc_lo
	v_add_co_u32 v3, vcc_lo, v3, s10
	v_add_co_ci_u32_e64 v4, null, s11, v4, vcc_lo
	v_lshlrev_b64 v[5:6], 3, v[9:10]
	s_mul_i32 s20, s10, s27
	v_lshlrev_b64 v[3:4], 3, v[3:4]
	s_lshl_b64 s[20:21], s[20:21], 3
	s_add_u32 s22, s16, 63
	v_add_co_u32 v68, vcc_lo, s12, v5
	v_add_co_ci_u32_e64 v69, null, s13, v6, vcc_lo
	v_add_co_u32 v70, vcc_lo, s14, v5
	v_add_co_ci_u32_e64 v71, null, s15, v6, vcc_lo
	;; [unrolled: 2-line block ×4, first 2 shown]
	s_addc_u32 s23, 0, 0
	s_branch .LBB124_5
.LBB124_3:                              ;   in Loop: Header=BB124_5 Depth=1
	s_or_b32 exec_lo, exec_lo, s1
	s_waitcnt vmcnt(0)
	v_mul_f64 v[3:4], v[19:20], v[3:4]
	ds_bpermute_b32 v19, v2, v39
	ds_bpermute_b32 v20, v2, v40
	v_mul_f64 v[5:6], v[21:22], v[5:6]
	v_mul_f64 v[7:8], v[23:24], v[7:8]
	;; [unrolled: 1-line block ×3, first 2 shown]
	s_waitcnt lgkmcnt(0)
	v_fma_f64 v[3:4], v[3:4], v[19:20], v[37:38]
	ds_bpermute_b32 v19, v2, v39 offset:4
	ds_bpermute_b32 v20, v2, v40 offset:4
	s_waitcnt lgkmcnt(0)
	v_fma_f64 v[3:4], v[5:6], v[19:20], v[3:4]
	ds_bpermute_b32 v5, v2, v39 offset:8
	ds_bpermute_b32 v6, v2, v40 offset:8
	;; [unrolled: 4-line block ×3, first 2 shown]
	v_mul_f64 v[7:8], v[27:28], v[11:12]
	s_waitcnt lgkmcnt(0)
	v_fma_f64 v[3:4], v[9:10], v[5:6], v[3:4]
	ds_bpermute_b32 v5, v2, v39 offset:16
	ds_bpermute_b32 v6, v2, v40 offset:16
	v_mul_f64 v[9:10], v[29:30], v[13:14]
	s_waitcnt lgkmcnt(0)
	v_fma_f64 v[3:4], v[7:8], v[5:6], v[3:4]
	ds_bpermute_b32 v5, v2, v39 offset:20
	ds_bpermute_b32 v6, v2, v40 offset:20
	ds_bpermute_b32 v7, v2, v39 offset:24
	ds_bpermute_b32 v8, v2, v40 offset:24
	s_waitcnt lgkmcnt(2)
	v_fma_f64 v[3:4], v[9:10], v[5:6], v[3:4]
	v_mul_f64 v[5:6], v[31:32], v[15:16]
	s_waitcnt lgkmcnt(0)
	v_fma_f64 v[41:42], v[5:6], v[7:8], v[3:4]
	ds_bpermute_b32 v3, v2, v39 offset:28
	ds_bpermute_b32 v4, v2, v40 offset:28
.LBB124_4:                              ;   in Loop: Header=BB124_5 Depth=1
	v_mul_f64 v[5:6], v[17:18], v[33:34]
	v_add_co_u32 v44, vcc_lo, v44, s20
	v_add_co_ci_u32_e64 v45, null, s21, v45, vcc_lo
	v_add_co_u32 v46, vcc_lo, v46, s20
	v_add_co_ci_u32_e64 v47, null, s21, v47, vcc_lo
	;; [unrolled: 2-line block ×7, first 2 shown]
	v_add_co_u32 v58, vcc_lo, v58, s20
	s_waitcnt lgkmcnt(0)
	v_fma_f64 v[37:38], v[5:6], v[3:4], v[41:42]
	v_add_co_ci_u32_e64 v59, null, s21, v59, vcc_lo
	v_add_co_u32 v60, vcc_lo, v60, s20
	v_add_co_ci_u32_e64 v61, null, s21, v61, vcc_lo
	v_add_co_u32 v62, vcc_lo, v62, s20
	;; [unrolled: 2-line block ×5, first 2 shown]
	s_add_u32 s24, s24, s27
	v_add_co_ci_u32_e64 v69, null, s21, v69, vcc_lo
	v_add_co_u32 v70, vcc_lo, v70, s20
	s_addc_u32 s25, s25, 0
	v_add_co_ci_u32_e64 v71, null, s21, v71, vcc_lo
	v_add_co_u32 v72, vcc_lo, v72, s20
	v_cmp_lt_i64_e64 s1, s[24:25], s[8:9]
	v_add_co_ci_u32_e64 v73, null, s21, v73, vcc_lo
	v_add_co_u32 v74, vcc_lo, v74, s20
	v_add_co_ci_u32_e64 v75, null, s21, v75, vcc_lo
	s_add_u32 s22, s22, s27
	s_addc_u32 s23, s23, 0
	s_and_b32 vcc_lo, exec_lo, s1
	s_cbranch_vccz .LBB124_49
.LBB124_5:                              ; =>This Inner Loop Header: Depth=1
	v_cmp_ge_i64_e64 s1, s[22:23], s[8:9]
	v_add_co_u32 v76, s28, v43, s22
	v_add_co_ci_u32_e64 v77, null, 0, s23, s28
                                        ; implicit-def: $vgpr3_vgpr4_vgpr5_vgpr6_vgpr7_vgpr8_vgpr9_vgpr10_vgpr11_vgpr12_vgpr13_vgpr14_vgpr15_vgpr16_vgpr17_vgpr18
                                        ; implicit-def: $vgpr41_vgpr42
                                        ; implicit-def: $vgpr19_vgpr20_vgpr21_vgpr22_vgpr23_vgpr24_vgpr25_vgpr26_vgpr27_vgpr28_vgpr29_vgpr30_vgpr31_vgpr32_vgpr33_vgpr34
                                        ; implicit-def: $vgpr3
	s_and_b32 vcc_lo, exec_lo, s1
	s_mov_b32 s1, -1
	s_cbranch_vccz .LBB124_27
; %bb.6:                                ;   in Loop: Header=BB124_5 Depth=1
	s_load_dword s1, s[18:19], 0xc
	v_mov_b32_e32 v39, 0
	v_mov_b32_e32 v40, 0
	s_waitcnt lgkmcnt(0)
	s_and_b32 s1, s1, 0xffff
	v_mad_u32_u24 v3, v1, s1, v0
	s_mov_b32 s1, exec_lo
	v_and_b32_e32 v3, 31, v3
	v_cmpx_gt_u32_e32 8, v3
	s_cbranch_execz .LBB124_10
; %bb.7:                                ;   in Loop: Header=BB124_5 Depth=1
	v_add_co_u32 v3, vcc_lo, v76, v3
	v_add_co_ci_u32_e64 v4, null, 0, v77, vcc_lo
	v_mov_b32_e32 v39, 0
	v_add_co_u32 v3, vcc_lo, 0xffffffc1, v3
	v_add_co_ci_u32_e64 v4, null, -1, v4, vcc_lo
	v_mov_b32_e32 v40, 0
	s_mov_b32 s28, exec_lo
	v_cmpx_gt_i64_e64 s[8:9], v[3:4]
	s_cbranch_execz .LBB124_9
; %bb.8:                                ;   in Loop: Header=BB124_5 Depth=1
	v_lshlrev_b64 v[3:4], 3, v[3:4]
	v_add_co_u32 v3, vcc_lo, s2, v3
	v_add_co_ci_u32_e64 v4, null, s3, v4, vcc_lo
	global_load_dwordx2 v[39:40], v[3:4], off
.LBB124_9:                              ;   in Loop: Header=BB124_5 Depth=1
	s_or_b32 exec_lo, exec_lo, s28
.LBB124_10:                             ;   in Loop: Header=BB124_5 Depth=1
	s_or_b32 exec_lo, exec_lo, s1
	v_add_co_u32 v18, vcc_lo, 0xffffffc1, v76
	v_add_co_ci_u32_e64 v19, null, -1, v77, vcc_lo
	v_mov_b32_e32 v17, v2
	v_mov_b32_e32 v3, v2
	;; [unrolled: 1-line block ×15, first 2 shown]
	v_cmp_gt_i64_e32 vcc_lo, s[8:9], v[18:19]
	v_mov_b32_e32 v34, v17
	v_mov_b32_e32 v31, v14
	;; [unrolled: 1-line block ×32, first 2 shown]
	s_and_b32 s28, s0, vcc_lo
	s_and_saveexec_b32 s1, s28
	s_cbranch_execz .LBB124_12
; %bb.11:                               ;   in Loop: Header=BB124_5 Depth=1
	v_add_co_u32 v3, vcc_lo, v44, v35
	v_add_co_ci_u32_e64 v4, null, v45, v36, vcc_lo
	v_add_co_u32 v5, vcc_lo, v46, v35
	v_add_co_ci_u32_e64 v6, null, v47, v36, vcc_lo
	global_load_dwordx2 v[3:4], v[3:4], off
	global_load_dwordx2 v[19:20], v[5:6], off
	v_mov_b32_e32 v5, v2
	v_mov_b32_e32 v6, v2
	;; [unrolled: 1-line block ×28, first 2 shown]
.LBB124_12:                             ;   in Loop: Header=BB124_5 Depth=1
	s_or_b32 exec_lo, exec_lo, s1
	v_add_co_u32 v41, vcc_lo, 0xffffffc2, v76
	v_add_co_ci_u32_e64 v42, null, -1, v77, vcc_lo
	v_cmp_gt_i64_e32 vcc_lo, s[8:9], v[41:42]
	s_and_b32 s28, s0, vcc_lo
	s_and_saveexec_b32 s1, s28
	s_cbranch_execz .LBB124_14
; %bb.13:                               ;   in Loop: Header=BB124_5 Depth=1
	v_add_co_u32 v5, vcc_lo, v72, v35
	v_add_co_ci_u32_e64 v6, null, v73, v36, vcc_lo
	v_add_co_u32 v21, vcc_lo, v74, v35
	v_add_co_ci_u32_e64 v22, null, v75, v36, vcc_lo
	global_load_dwordx2 v[5:6], v[5:6], off
	global_load_dwordx2 v[21:22], v[21:22], off
.LBB124_14:                             ;   in Loop: Header=BB124_5 Depth=1
	s_or_b32 exec_lo, exec_lo, s1
	v_add_co_u32 v41, vcc_lo, 0xffffffc3, v76
	v_add_co_ci_u32_e64 v42, null, -1, v77, vcc_lo
	v_cmp_gt_i64_e32 vcc_lo, s[8:9], v[41:42]
	s_and_b32 s28, s0, vcc_lo
	s_and_saveexec_b32 s1, s28
	s_cbranch_execz .LBB124_16
; %bb.15:                               ;   in Loop: Header=BB124_5 Depth=1
	v_add_co_u32 v7, vcc_lo, v68, v35
	v_add_co_ci_u32_e64 v8, null, v69, v36, vcc_lo
	v_add_co_u32 v23, vcc_lo, v70, v35
	v_add_co_ci_u32_e64 v24, null, v71, v36, vcc_lo
	global_load_dwordx2 v[7:8], v[7:8], off
	global_load_dwordx2 v[23:24], v[23:24], off
.LBB124_16:                             ;   in Loop: Header=BB124_5 Depth=1
	;; [unrolled: 15-line block ×7, first 2 shown]
	s_or_b32 exec_lo, exec_lo, s1
	s_waitcnt vmcnt(0)
	v_mul_f64 v[3:4], v[19:20], v[3:4]
	ds_bpermute_b32 v19, v2, v39
	ds_bpermute_b32 v20, v2, v40
	v_mul_f64 v[5:6], v[21:22], v[5:6]
	v_mul_f64 v[7:8], v[23:24], v[7:8]
	;; [unrolled: 1-line block ×3, first 2 shown]
	s_mov_b32 s1, 0
	s_waitcnt lgkmcnt(0)
	v_fma_f64 v[3:4], v[3:4], v[19:20], v[37:38]
	ds_bpermute_b32 v19, v2, v39 offset:4
	ds_bpermute_b32 v20, v2, v40 offset:4
	s_waitcnt lgkmcnt(0)
	v_fma_f64 v[3:4], v[5:6], v[19:20], v[3:4]
	ds_bpermute_b32 v5, v2, v39 offset:8
	ds_bpermute_b32 v6, v2, v40 offset:8
	;; [unrolled: 4-line block ×3, first 2 shown]
	v_mul_f64 v[7:8], v[27:28], v[11:12]
	s_waitcnt lgkmcnt(0)
	v_fma_f64 v[3:4], v[9:10], v[5:6], v[3:4]
	ds_bpermute_b32 v5, v2, v39 offset:16
	ds_bpermute_b32 v6, v2, v40 offset:16
	v_mul_f64 v[9:10], v[29:30], v[13:14]
	s_waitcnt lgkmcnt(0)
	v_fma_f64 v[3:4], v[7:8], v[5:6], v[3:4]
	ds_bpermute_b32 v5, v2, v39 offset:20
	ds_bpermute_b32 v6, v2, v40 offset:20
	;; [unrolled: 1-line block ×4, first 2 shown]
	s_waitcnt lgkmcnt(2)
	v_fma_f64 v[3:4], v[9:10], v[5:6], v[3:4]
	v_mul_f64 v[5:6], v[31:32], v[15:16]
	s_waitcnt lgkmcnt(0)
	v_fma_f64 v[41:42], v[5:6], v[7:8], v[3:4]
	ds_bpermute_b32 v3, v2, v39 offset:28
	ds_bpermute_b32 v4, v2, v40 offset:28
.LBB124_27:                             ;   in Loop: Header=BB124_5 Depth=1
	s_and_b32 vcc_lo, exec_lo, s1
	s_cbranch_vccz .LBB124_4
; %bb.28:                               ;   in Loop: Header=BB124_5 Depth=1
	s_load_dword s1, s[18:19], 0x0
	v_mov_b32_e32 v39, 0
	v_mov_b32_e32 v40, 0
	s_waitcnt lgkmcnt(0)
	s_cmp_lt_u32 s6, s1
	s_cselect_b32 s1, 12, 18
	s_add_u32 s28, s18, s1
	s_addc_u32 s29, s19, 0
	s_mov_b32 s1, exec_lo
	global_load_ushort v3, v2, s[28:29]
	s_waitcnt vmcnt(0)
	v_mad_u32_u24 v3, v1, v3, v0
	v_and_b32_e32 v3, 31, v3
	v_cmpx_gt_u32_e32 8, v3
	s_cbranch_execz .LBB124_32
; %bb.29:                               ;   in Loop: Header=BB124_5 Depth=1
	v_add_co_u32 v3, vcc_lo, v76, v3
	v_add_co_ci_u32_e64 v4, null, 0, v77, vcc_lo
	v_mov_b32_e32 v39, 0
	v_add_co_u32 v3, vcc_lo, 0xffffffc1, v3
	v_add_co_ci_u32_e64 v4, null, -1, v4, vcc_lo
	v_mov_b32_e32 v40, 0
	s_mov_b32 s28, exec_lo
	v_cmpx_gt_i64_e64 s[8:9], v[3:4]
	s_cbranch_execz .LBB124_31
; %bb.30:                               ;   in Loop: Header=BB124_5 Depth=1
	v_lshlrev_b64 v[3:4], 3, v[3:4]
	v_add_co_u32 v3, vcc_lo, s2, v3
	v_add_co_ci_u32_e64 v4, null, s3, v4, vcc_lo
	global_load_dwordx2 v[39:40], v[3:4], off
.LBB124_31:                             ;   in Loop: Header=BB124_5 Depth=1
	s_or_b32 exec_lo, exec_lo, s28
.LBB124_32:                             ;   in Loop: Header=BB124_5 Depth=1
	s_or_b32 exec_lo, exec_lo, s1
	v_mov_b32_e32 v17, v2
	v_mov_b32_e32 v3, v2
	;; [unrolled: 1-line block ×47, first 2 shown]
	s_and_saveexec_b32 s1, s0
	s_cbranch_execnz .LBB124_40
; %bb.33:                               ;   in Loop: Header=BB124_5 Depth=1
	s_or_b32 exec_lo, exec_lo, s1
	s_and_saveexec_b32 s1, s0
	s_cbranch_execnz .LBB124_41
.LBB124_34:                             ;   in Loop: Header=BB124_5 Depth=1
	s_or_b32 exec_lo, exec_lo, s1
	s_and_saveexec_b32 s1, s0
	s_cbranch_execnz .LBB124_42
.LBB124_35:                             ;   in Loop: Header=BB124_5 Depth=1
	s_or_b32 exec_lo, exec_lo, s1
	s_and_saveexec_b32 s1, s0
	s_cbranch_execnz .LBB124_43
.LBB124_36:                             ;   in Loop: Header=BB124_5 Depth=1
	s_or_b32 exec_lo, exec_lo, s1
	s_and_saveexec_b32 s1, s0
	s_cbranch_execnz .LBB124_44
.LBB124_37:                             ;   in Loop: Header=BB124_5 Depth=1
	s_or_b32 exec_lo, exec_lo, s1
	s_and_saveexec_b32 s1, s0
	s_cbranch_execnz .LBB124_45
.LBB124_38:                             ;   in Loop: Header=BB124_5 Depth=1
	s_or_b32 exec_lo, exec_lo, s1
	s_and_saveexec_b32 s1, s0
	s_cbranch_execnz .LBB124_46
.LBB124_39:                             ;   in Loop: Header=BB124_5 Depth=1
	s_or_b32 exec_lo, exec_lo, s1
	s_and_saveexec_b32 s1, s0
	s_cbranch_execz .LBB124_3
	s_branch .LBB124_47
.LBB124_40:                             ;   in Loop: Header=BB124_5 Depth=1
	v_add_co_u32 v3, vcc_lo, v44, v35
	v_add_co_ci_u32_e64 v4, null, v45, v36, vcc_lo
	v_add_co_u32 v5, vcc_lo, v46, v35
	v_add_co_ci_u32_e64 v6, null, v47, v36, vcc_lo
	global_load_dwordx2 v[3:4], v[3:4], off
	global_load_dwordx2 v[19:20], v[5:6], off
	v_mov_b32_e32 v5, v2
	v_mov_b32_e32 v6, v2
	;; [unrolled: 1-line block ×28, first 2 shown]
	s_or_b32 exec_lo, exec_lo, s1
	s_and_saveexec_b32 s1, s0
	s_cbranch_execz .LBB124_34
.LBB124_41:                             ;   in Loop: Header=BB124_5 Depth=1
	v_add_co_u32 v5, vcc_lo, v72, v35
	v_add_co_ci_u32_e64 v6, null, v73, v36, vcc_lo
	v_add_co_u32 v21, vcc_lo, v74, v35
	v_add_co_ci_u32_e64 v22, null, v75, v36, vcc_lo
	global_load_dwordx2 v[5:6], v[5:6], off
	global_load_dwordx2 v[21:22], v[21:22], off
	s_or_b32 exec_lo, exec_lo, s1
	s_and_saveexec_b32 s1, s0
	s_cbranch_execz .LBB124_35
.LBB124_42:                             ;   in Loop: Header=BB124_5 Depth=1
	v_add_co_u32 v7, vcc_lo, v68, v35
	v_add_co_ci_u32_e64 v8, null, v69, v36, vcc_lo
	v_add_co_u32 v23, vcc_lo, v70, v35
	v_add_co_ci_u32_e64 v24, null, v71, v36, vcc_lo
	global_load_dwordx2 v[7:8], v[7:8], off
	global_load_dwordx2 v[23:24], v[23:24], off
	s_or_b32 exec_lo, exec_lo, s1
	s_and_saveexec_b32 s1, s0
	s_cbranch_execz .LBB124_36
.LBB124_43:                             ;   in Loop: Header=BB124_5 Depth=1
	v_add_co_u32 v9, vcc_lo, v64, v35
	v_add_co_ci_u32_e64 v10, null, v65, v36, vcc_lo
	v_add_co_u32 v25, vcc_lo, v66, v35
	v_add_co_ci_u32_e64 v26, null, v67, v36, vcc_lo
	global_load_dwordx2 v[9:10], v[9:10], off
	global_load_dwordx2 v[25:26], v[25:26], off
	s_or_b32 exec_lo, exec_lo, s1
	s_and_saveexec_b32 s1, s0
	s_cbranch_execz .LBB124_37
.LBB124_44:                             ;   in Loop: Header=BB124_5 Depth=1
	v_add_co_u32 v11, vcc_lo, v60, v35
	v_add_co_ci_u32_e64 v12, null, v61, v36, vcc_lo
	v_add_co_u32 v27, vcc_lo, v62, v35
	v_add_co_ci_u32_e64 v28, null, v63, v36, vcc_lo
	global_load_dwordx2 v[11:12], v[11:12], off
	global_load_dwordx2 v[27:28], v[27:28], off
	s_or_b32 exec_lo, exec_lo, s1
	s_and_saveexec_b32 s1, s0
	s_cbranch_execz .LBB124_38
.LBB124_45:                             ;   in Loop: Header=BB124_5 Depth=1
	v_add_co_u32 v13, vcc_lo, v56, v35
	v_add_co_ci_u32_e64 v14, null, v57, v36, vcc_lo
	v_add_co_u32 v29, vcc_lo, v58, v35
	v_add_co_ci_u32_e64 v30, null, v59, v36, vcc_lo
	global_load_dwordx2 v[13:14], v[13:14], off
	global_load_dwordx2 v[29:30], v[29:30], off
	s_or_b32 exec_lo, exec_lo, s1
	s_and_saveexec_b32 s1, s0
	s_cbranch_execz .LBB124_39
.LBB124_46:                             ;   in Loop: Header=BB124_5 Depth=1
	v_add_co_u32 v15, vcc_lo, v52, v35
	v_add_co_ci_u32_e64 v16, null, v53, v36, vcc_lo
	v_add_co_u32 v31, vcc_lo, v54, v35
	v_add_co_ci_u32_e64 v32, null, v55, v36, vcc_lo
	global_load_dwordx2 v[15:16], v[15:16], off
	global_load_dwordx2 v[31:32], v[31:32], off
	s_or_b32 exec_lo, exec_lo, s1
	s_and_saveexec_b32 s1, s0
	s_cbranch_execz .LBB124_3
.LBB124_47:                             ;   in Loop: Header=BB124_5 Depth=1
	v_add_co_u32 v17, vcc_lo, v48, v35
	v_add_co_ci_u32_e64 v18, null, v49, v36, vcc_lo
	v_add_co_u32 v33, vcc_lo, v50, v35
	v_add_co_ci_u32_e64 v34, null, v51, v36, vcc_lo
	global_load_dwordx2 v[17:18], v[17:18], off
	global_load_dwordx2 v[33:34], v[33:34], off
	s_branch .LBB124_3
.LBB124_48:
                                        ; implicit-def: $vgpr37_vgpr38
	s_branch .LBB124_50
.LBB124_49:
	s_cbranch_execnz .LBB124_82
.LBB124_50:
	v_mov_b32_e32 v37, 0
	v_mov_b32_e32 v38, 0
	s_andn2_b32 vcc_lo, exec_lo, s7
	s_cbranch_vccnz .LBB124_82
; %bb.51:
	s_load_dword s7, s[4:5], 0x44
	v_lshlrev_b32_e32 v69, 3, v1
	v_lshlrev_b32_e32 v6, 6, v1
	v_mov_b32_e32 v67, 0
	v_mov_b32_e32 v68, 0
	v_add_co_u32 v10, s0, v69, s16
	v_add_co_ci_u32_e64 v11, null, 0, 0, s0
	s_add_u32 s0, s4, 64
	v_mul_lo_u32 v4, s11, v10
	v_mad_u64_u32 v[2:3], null, s10, v10, 0
	v_mul_lo_u32 v5, s10, v11
	s_addc_u32 s1, s5, 0
	s_waitcnt lgkmcnt(0)
	s_lshl_b32 s7, s7, 6
	v_add3_u32 v3, v3, v5, v4
	s_mul_i32 s19, s11, s7
	s_mul_hi_u32 s20, s10, s7
	s_mul_i32 s18, s10, s7
	s_add_i32 s19, s20, s19
	v_lshlrev_b64 v[4:5], 3, v[2:3]
	s_lshl_b64 s[18:19], s[18:19], 3
	s_add_u32 s20, s16, 63
	s_addc_u32 s21, 0, 0
	s_lshl_b64 s[22:23], s[16:17], 3
	v_add_co_u32 v6, s22, v6, s22
	v_add_co_ci_u32_e64 v7, null, 0, s23, s22
	v_add_co_u32 v8, vcc_lo, v6, 8
	v_add_co_ci_u32_e64 v9, null, 0, v7, vcc_lo
	v_add_co_u32 v70, vcc_lo, s12, v4
	v_add_co_ci_u32_e64 v71, null, s13, v5, vcc_lo
	;; [unrolled: 2-line block ×6, first 2 shown]
	v_add_co_u32 v19, vcc_lo, v6, 40
	v_mad_u64_u32 v[39:40], null, s10, v4, s[12:13]
	v_mul_lo_u32 v5, s10, v5
	v_mul_lo_u32 v15, s11, v4
	v_mad_u64_u32 v[53:54], null, s10, v4, s[14:15]
	v_add_co_ci_u32_e64 v20, null, 0, v7, vcc_lo
	v_add_co_u32 v22, vcc_lo, v6, 48
	v_add_co_ci_u32_e64 v24, null, 0, v7, vcc_lo
	v_add_co_u32 v6, vcc_lo, v6, 56
	v_mad_u64_u32 v[35:36], null, s10, v8, s[12:13]
	v_mul_lo_u32 v9, s10, v9
	v_mul_lo_u32 v12, s11, v8
	v_mad_u64_u32 v[51:52], null, s10, v8, s[14:15]
	v_add_co_ci_u32_e64 v7, null, 0, v7, vcc_lo
	v_add_co_u32 v4, vcc_lo, v10, 7
	v_add3_u32 v40, v15, v40, v5
	v_add3_u32 v54, v15, v54, v5
	v_add_co_ci_u32_e64 v5, null, 0, v11, vcc_lo
	v_mul_lo_u32 v26, s10, v7
	v_add_co_u32 v7, vcc_lo, v10, 6
	v_add3_u32 v36, v12, v36, v9
	v_add3_u32 v52, v12, v52, v9
	v_add_co_ci_u32_e64 v12, null, 0, v11, vcc_lo
	v_mul_lo_u32 v8, s11, v4
	v_mul_lo_u32 v9, s10, v5
	v_mad_u64_u32 v[4:5], null, s10, v4, 0
	v_mad_u64_u32 v[41:42], null, s10, v13, s[12:13]
	v_mul_lo_u32 v17, s11, v13
	v_mad_u64_u32 v[49:50], null, s10, v6, s[12:13]
	v_mul_lo_u32 v27, s11, v6
	v_mad_u64_u32 v[55:56], null, s10, v13, s[14:15]
	v_mad_u64_u32 v[63:64], null, s10, v6, s[14:15]
	v_mul_lo_u32 v13, s11, v7
	v_mul_lo_u32 v12, s10, v12
	v_mad_u64_u32 v[6:7], null, s10, v7, 0
	v_add3_u32 v5, v5, v9, v8
	v_add_co_u32 v8, vcc_lo, v10, 5
	v_add_co_ci_u32_e64 v9, null, 0, v11, vcc_lo
	v_lshlrev_b64 v[4:5], 3, v[4:5]
	v_add3_u32 v7, v7, v12, v13
	v_mul_lo_u32 v12, s11, v8
	v_mul_lo_u32 v13, s10, v9
	v_mad_u64_u32 v[8:9], null, s10, v8, 0
	v_lshlrev_b64 v[6:7], 3, v[6:7]
	v_add_co_u32 v74, vcc_lo, s12, v4
	v_add_co_ci_u32_e64 v75, null, s13, v5, vcc_lo
	v_add_co_u32 v76, vcc_lo, s14, v4
	v_add_co_ci_u32_e64 v77, null, s15, v5, vcc_lo
	;; [unrolled: 2-line block ×3, first 2 shown]
	v_add3_u32 v9, v9, v13, v12
	v_add_co_u32 v12, vcc_lo, v10, 4
	v_add_co_ci_u32_e64 v13, null, 0, v11, vcc_lo
	v_add_co_u32 v80, vcc_lo, s14, v6
	v_add_co_ci_u32_e64 v81, null, s15, v7, vcc_lo
	v_lshlrev_b64 v[4:5], 3, v[8:9]
	v_mul_lo_u32 v8, s11, v12
	v_mul_lo_u32 v9, s10, v13
	v_mad_u64_u32 v[6:7], null, s10, v12, 0
	v_mul_lo_u32 v14, s10, v14
	v_add_co_u32 v12, vcc_lo, v10, 3
	v_add_co_ci_u32_e64 v13, null, 0, v11, vcc_lo
	v_add_co_u32 v82, vcc_lo, s12, v4
	v_add_co_ci_u32_e64 v83, null, s13, v5, vcc_lo
	v_add3_u32 v7, v7, v9, v8
	v_add_co_u32 v10, vcc_lo, v10, 2
	v_add3_u32 v42, v17, v42, v14
	v_add3_u32 v56, v17, v56, v14
	v_mul_lo_u32 v14, s11, v12
	v_mul_lo_u32 v13, s10, v13
	v_mad_u64_u32 v[8:9], null, s10, v12, 0
	v_add_co_ci_u32_e64 v11, null, 0, v11, vcc_lo
	v_add_co_u32 v84, vcc_lo, s14, v4
	v_add_co_ci_u32_e64 v85, null, s15, v5, vcc_lo
	v_lshlrev_b64 v[4:5], 3, v[6:7]
	v_mul_lo_u32 v12, s11, v10
	v_mul_lo_u32 v11, s10, v11
	v_mad_u64_u32 v[6:7], null, s10, v10, 0
	v_add3_u32 v9, v9, v13, v14
	v_add_co_u32 v86, vcc_lo, s12, v4
	v_add_co_ci_u32_e64 v87, null, s13, v5, vcc_lo
	v_add_co_u32 v88, vcc_lo, s14, v4
	v_add_co_ci_u32_e64 v89, null, s15, v5, vcc_lo
	v_lshlrev_b64 v[4:5], 3, v[8:9]
	v_add3_u32 v7, v7, v11, v12
	v_add_co_u32 v2, vcc_lo, v2, s10
	v_add_co_ci_u32_e64 v3, null, s11, v3, vcc_lo
	v_lshlrev_b64 v[6:7], 3, v[6:7]
	v_add_co_u32 v90, vcc_lo, s12, v4
	v_add_co_ci_u32_e64 v91, null, s13, v5, vcc_lo
	v_add_co_u32 v92, vcc_lo, s14, v4
	v_lshlrev_b64 v[3:4], 3, v[2:3]
	v_mov_b32_e32 v2, 0
	v_mad_u64_u32 v[43:44], null, s10, v16, s[12:13]
	v_mul_lo_u32 v18, s10, v18
	v_mul_lo_u32 v21, s11, v16
	v_mad_u64_u32 v[45:46], null, s10, v19, s[12:13]
	v_mul_lo_u32 v20, s10, v20
	v_mul_lo_u32 v23, s11, v19
	;; [unrolled: 3-line block ×3, first 2 shown]
	v_mad_u64_u32 v[57:58], null, s10, v16, s[14:15]
	v_mad_u64_u32 v[59:60], null, s10, v19, s[14:15]
	;; [unrolled: 1-line block ×3, first 2 shown]
	v_add_co_ci_u32_e64 v93, null, s15, v5, vcc_lo
	v_add_co_u32 v94, vcc_lo, s12, v6
	v_add_co_ci_u32_e64 v95, null, s13, v7, vcc_lo
	v_add_co_u32 v96, vcc_lo, s14, v6
	v_add_nc_u32_e32 v5, s26, v0
	v_mov_b32_e32 v6, v2
	v_add_co_ci_u32_e64 v97, null, s15, v7, vcc_lo
	v_add_co_u32 v98, vcc_lo, s12, v3
	v_add_co_ci_u32_e64 v99, null, s13, v4, vcc_lo
	v_add_co_u32 v100, vcc_lo, s14, v3
	v_lshlrev_b64 v[65:66], 3, v[5:6]
	v_add3_u32 v44, v21, v44, v18
	v_add3_u32 v46, v23, v46, v20
	;; [unrolled: 1-line block ×8, first 2 shown]
	v_add_co_ci_u32_e64 v101, null, s15, v4, vcc_lo
.LBB124_52:                             ; =>This Inner Loop Header: Depth=1
	v_cmp_ge_i64_e64 s12, s[20:21], s[8:9]
	v_add_co_u32 v102, s13, v69, s20
	v_add_co_ci_u32_e64 v103, null, 0, s21, s13
                                        ; implicit-def: $vgpr37_vgpr38
	s_and_b32 vcc_lo, exec_lo, s12
	s_mov_b32 s12, -1
	s_cbranch_vccz .LBB124_74
; %bb.53:                               ;   in Loop: Header=BB124_52 Depth=1
	s_load_dword s12, s[0:1], 0xc
	v_mov_b32_e32 v37, 0
	v_mov_b32_e32 v38, 0
	s_waitcnt lgkmcnt(0)
	s_and_b32 s12, s12, 0xffff
	v_mad_u32_u24 v3, v1, s12, v0
	s_mov_b32 s12, exec_lo
	v_and_b32_e32 v3, 31, v3
	v_cmpx_gt_u32_e32 8, v3
	s_cbranch_execz .LBB124_57
; %bb.54:                               ;   in Loop: Header=BB124_52 Depth=1
	v_add_co_u32 v3, vcc_lo, v102, v3
	v_add_co_ci_u32_e64 v4, null, 0, v103, vcc_lo
	v_mov_b32_e32 v37, 0
	v_add_co_u32 v3, vcc_lo, 0xffffffc1, v3
	v_add_co_ci_u32_e64 v4, null, -1, v4, vcc_lo
	v_mov_b32_e32 v38, 0
	s_mov_b32 s13, exec_lo
	v_cmpx_gt_i64_e64 s[8:9], v[3:4]
	s_cbranch_execz .LBB124_56
; %bb.55:                               ;   in Loop: Header=BB124_52 Depth=1
	v_lshlrev_b64 v[3:4], 3, v[3:4]
	v_add_co_u32 v3, vcc_lo, s2, v3
	v_add_co_ci_u32_e64 v4, null, s3, v4, vcc_lo
	global_load_dwordx2 v[37:38], v[3:4], off
.LBB124_56:                             ;   in Loop: Header=BB124_52 Depth=1
	s_or_b32 exec_lo, exec_lo, s13
.LBB124_57:                             ;   in Loop: Header=BB124_52 Depth=1
	s_or_b32 exec_lo, exec_lo, s12
	v_add_co_u32 v18, vcc_lo, 0xffffffc1, v102
	v_add_co_ci_u32_e64 v19, null, -1, v103, vcc_lo
	v_mov_b32_e32 v17, v2
	v_mov_b32_e32 v3, v2
	;; [unrolled: 1-line block ×15, first 2 shown]
	v_cmp_gt_i64_e32 vcc_lo, s[8:9], v[18:19]
	v_mov_b32_e32 v34, v17
	v_mov_b32_e32 v31, v14
	;; [unrolled: 1-line block ×32, first 2 shown]
	s_and_saveexec_b32 s12, vcc_lo
	s_cbranch_execz .LBB124_59
; %bb.58:                               ;   in Loop: Header=BB124_52 Depth=1
	v_add_co_u32 v3, vcc_lo, v70, v65
	v_add_co_ci_u32_e64 v4, null, v71, v66, vcc_lo
	v_add_co_u32 v5, vcc_lo, v72, v65
	v_add_co_ci_u32_e64 v6, null, v73, v66, vcc_lo
	global_load_dwordx2 v[3:4], v[3:4], off
	global_load_dwordx2 v[19:20], v[5:6], off
	v_mov_b32_e32 v5, v2
	v_mov_b32_e32 v6, v2
	;; [unrolled: 1-line block ×28, first 2 shown]
.LBB124_59:                             ;   in Loop: Header=BB124_52 Depth=1
	s_or_b32 exec_lo, exec_lo, s12
	v_add_co_u32 v104, vcc_lo, 0xffffffc2, v102
	v_add_co_ci_u32_e64 v105, null, -1, v103, vcc_lo
	s_mov_b32 s12, exec_lo
	v_cmpx_gt_i64_e64 s[8:9], v[104:105]
	s_cbranch_execz .LBB124_61
; %bb.60:                               ;   in Loop: Header=BB124_52 Depth=1
	v_add_co_u32 v5, vcc_lo, v98, v65
	v_add_co_ci_u32_e64 v6, null, v99, v66, vcc_lo
	v_add_co_u32 v21, vcc_lo, v100, v65
	v_add_co_ci_u32_e64 v22, null, v101, v66, vcc_lo
	global_load_dwordx2 v[5:6], v[5:6], off
	global_load_dwordx2 v[21:22], v[21:22], off
.LBB124_61:                             ;   in Loop: Header=BB124_52 Depth=1
	s_or_b32 exec_lo, exec_lo, s12
	v_add_co_u32 v104, vcc_lo, 0xffffffc3, v102
	v_add_co_ci_u32_e64 v105, null, -1, v103, vcc_lo
	s_mov_b32 s12, exec_lo
	v_cmpx_gt_i64_e64 s[8:9], v[104:105]
	s_cbranch_execz .LBB124_63
; %bb.62:                               ;   in Loop: Header=BB124_52 Depth=1
	v_add_co_u32 v7, vcc_lo, v94, v65
	v_add_co_ci_u32_e64 v8, null, v95, v66, vcc_lo
	v_add_co_u32 v23, vcc_lo, v96, v65
	v_add_co_ci_u32_e64 v24, null, v97, v66, vcc_lo
	global_load_dwordx2 v[7:8], v[7:8], off
	global_load_dwordx2 v[23:24], v[23:24], off
.LBB124_63:                             ;   in Loop: Header=BB124_52 Depth=1
	;; [unrolled: 14-line block ×7, first 2 shown]
	s_or_b32 exec_lo, exec_lo, s12
	s_waitcnt vmcnt(0)
	v_mul_f64 v[3:4], v[19:20], v[3:4]
	ds_bpermute_b32 v19, v2, v37
	ds_bpermute_b32 v20, v2, v38
	v_mul_f64 v[5:6], v[21:22], v[5:6]
	v_mul_f64 v[7:8], v[23:24], v[7:8]
	;; [unrolled: 1-line block ×3, first 2 shown]
	s_mov_b32 s12, 0
	s_waitcnt lgkmcnt(0)
	v_fma_f64 v[3:4], v[3:4], v[19:20], v[67:68]
	ds_bpermute_b32 v19, v2, v37 offset:4
	ds_bpermute_b32 v20, v2, v38 offset:4
	s_waitcnt lgkmcnt(0)
	v_fma_f64 v[3:4], v[5:6], v[19:20], v[3:4]
	ds_bpermute_b32 v5, v2, v37 offset:8
	ds_bpermute_b32 v6, v2, v38 offset:8
	;; [unrolled: 4-line block ×3, first 2 shown]
	v_mul_f64 v[7:8], v[27:28], v[11:12]
	s_waitcnt lgkmcnt(0)
	v_fma_f64 v[3:4], v[9:10], v[5:6], v[3:4]
	ds_bpermute_b32 v5, v2, v37 offset:16
	ds_bpermute_b32 v6, v2, v38 offset:16
	v_mul_f64 v[9:10], v[29:30], v[13:14]
	s_waitcnt lgkmcnt(0)
	v_fma_f64 v[3:4], v[7:8], v[5:6], v[3:4]
	ds_bpermute_b32 v5, v2, v37 offset:20
	ds_bpermute_b32 v6, v2, v38 offset:20
	;; [unrolled: 5-line block ×3, first 2 shown]
	s_waitcnt lgkmcnt(0)
	v_fma_f64 v[3:4], v[7:8], v[5:6], v[3:4]
	v_mul_f64 v[5:6], v[33:34], v[17:18]
	ds_bpermute_b32 v7, v2, v37 offset:28
	ds_bpermute_b32 v8, v2, v38 offset:28
	s_waitcnt lgkmcnt(0)
	v_fma_f64 v[37:38], v[5:6], v[7:8], v[3:4]
.LBB124_74:                             ;   in Loop: Header=BB124_52 Depth=1
	s_and_b32 vcc_lo, exec_lo, s12
	s_cbranch_vccz .LBB124_80
; %bb.75:                               ;   in Loop: Header=BB124_52 Depth=1
	s_load_dword s12, s[0:1], 0x0
	s_waitcnt lgkmcnt(0)
	s_cmp_lt_u32 s6, s12
	s_cselect_b32 s12, 12, 18
	s_add_u32 s12, s0, s12
	s_addc_u32 s13, s1, 0
	global_load_ushort v3, v2, s[12:13]
	s_mov_b32 s12, exec_lo
	s_waitcnt vmcnt(0)
	v_mad_u32_u24 v3, v1, v3, v0
	v_and_b32_e32 v5, 31, v3
	v_mov_b32_e32 v3, 0
	v_mov_b32_e32 v4, 0
	v_cmpx_gt_u32_e32 8, v5
	s_cbranch_execz .LBB124_79
; %bb.76:                               ;   in Loop: Header=BB124_52 Depth=1
	v_add_co_u32 v3, vcc_lo, v102, v5
	v_add_co_ci_u32_e64 v4, null, 0, v103, vcc_lo
	s_mov_b32 s13, exec_lo
	v_add_co_u32 v5, vcc_lo, 0xffffffc1, v3
	v_add_co_ci_u32_e64 v6, null, -1, v4, vcc_lo
	v_mov_b32_e32 v3, 0
	v_mov_b32_e32 v4, 0
	v_cmpx_gt_i64_e64 s[8:9], v[5:6]
	s_cbranch_execz .LBB124_78
; %bb.77:                               ;   in Loop: Header=BB124_52 Depth=1
	v_lshlrev_b64 v[3:4], 3, v[5:6]
	v_add_co_u32 v3, vcc_lo, s2, v3
	v_add_co_ci_u32_e64 v4, null, s3, v4, vcc_lo
	global_load_dwordx2 v[3:4], v[3:4], off
.LBB124_78:                             ;   in Loop: Header=BB124_52 Depth=1
	s_or_b32 exec_lo, exec_lo, s13
.LBB124_79:                             ;   in Loop: Header=BB124_52 Depth=1
	s_or_b32 exec_lo, exec_lo, s12
	v_add_co_u32 v5, vcc_lo, v70, v65
	v_add_co_ci_u32_e64 v6, null, v71, v66, vcc_lo
	v_add_co_u32 v7, vcc_lo, v72, v65
	v_add_co_ci_u32_e64 v8, null, v73, v66, vcc_lo
	global_load_dwordx2 v[5:6], v[5:6], off
	global_load_dwordx2 v[7:8], v[7:8], off
	v_add_co_u32 v9, vcc_lo, v35, v65
	v_add_co_ci_u32_e64 v10, null, v36, v66, vcc_lo
	v_add_co_u32 v11, vcc_lo, v51, v65
	v_add_co_ci_u32_e64 v12, null, v52, v66, vcc_lo
	global_load_dwordx2 v[9:10], v[9:10], off
	global_load_dwordx2 v[11:12], v[11:12], off
	v_add_co_u32 v13, vcc_lo, v39, v65
	v_add_co_ci_u32_e64 v14, null, v40, v66, vcc_lo
	v_add_co_u32 v15, vcc_lo, v53, v65
	v_add_co_ci_u32_e64 v16, null, v54, v66, vcc_lo
	global_load_dwordx2 v[13:14], v[13:14], off
	global_load_dwordx2 v[15:16], v[15:16], off
	v_add_co_u32 v17, vcc_lo, v41, v65
	v_add_co_ci_u32_e64 v18, null, v42, v66, vcc_lo
	v_add_co_u32 v19, vcc_lo, v55, v65
	v_add_co_ci_u32_e64 v20, null, v56, v66, vcc_lo
	global_load_dwordx2 v[17:18], v[17:18], off
	global_load_dwordx2 v[19:20], v[19:20], off
	v_add_co_u32 v21, vcc_lo, v43, v65
	v_add_co_ci_u32_e64 v22, null, v44, v66, vcc_lo
	v_add_co_u32 v23, vcc_lo, v57, v65
	v_add_co_ci_u32_e64 v24, null, v58, v66, vcc_lo
	global_load_dwordx2 v[21:22], v[21:22], off
	global_load_dwordx2 v[23:24], v[23:24], off
	v_add_co_u32 v25, vcc_lo, v45, v65
	v_add_co_ci_u32_e64 v26, null, v46, v66, vcc_lo
	v_add_co_u32 v27, vcc_lo, v59, v65
	v_add_co_ci_u32_e64 v28, null, v60, v66, vcc_lo
	global_load_dwordx2 v[25:26], v[25:26], off
	global_load_dwordx2 v[27:28], v[27:28], off
	v_add_co_u32 v29, vcc_lo, v47, v65
	v_add_co_ci_u32_e64 v30, null, v48, v66, vcc_lo
	v_add_co_u32 v31, vcc_lo, v61, v65
	v_add_co_ci_u32_e64 v32, null, v62, v66, vcc_lo
	global_load_dwordx2 v[29:30], v[29:30], off
	global_load_dwordx2 v[31:32], v[31:32], off
	v_add_co_u32 v33, vcc_lo, v49, v65
	v_add_co_ci_u32_e64 v34, null, v50, v66, vcc_lo
	v_add_co_u32 v37, vcc_lo, v63, v65
	v_add_co_ci_u32_e64 v38, null, v64, v66, vcc_lo
	global_load_dwordx2 v[33:34], v[33:34], off
	global_load_dwordx2 v[37:38], v[37:38], off
	s_waitcnt vmcnt(14)
	v_mul_f64 v[5:6], v[5:6], v[7:8]
	ds_bpermute_b32 v7, v2, v3
	ds_bpermute_b32 v8, v2, v4
	s_waitcnt vmcnt(12)
	v_mul_f64 v[9:10], v[9:10], v[11:12]
	s_waitcnt vmcnt(10)
	v_mul_f64 v[11:12], v[13:14], v[15:16]
	s_waitcnt lgkmcnt(0)
	v_fma_f64 v[5:6], v[5:6], v[7:8], v[67:68]
	ds_bpermute_b32 v7, v2, v3 offset:4
	ds_bpermute_b32 v8, v2, v4 offset:4
	s_waitcnt lgkmcnt(0)
	v_fma_f64 v[5:6], v[9:10], v[7:8], v[5:6]
	ds_bpermute_b32 v7, v2, v3 offset:8
	ds_bpermute_b32 v8, v2, v4 offset:8
	s_waitcnt vmcnt(8)
	v_mul_f64 v[9:10], v[17:18], v[19:20]
	s_waitcnt lgkmcnt(0)
	v_fma_f64 v[5:6], v[11:12], v[7:8], v[5:6]
	ds_bpermute_b32 v7, v2, v3 offset:12
	ds_bpermute_b32 v8, v2, v4 offset:12
	s_waitcnt vmcnt(6)
	v_mul_f64 v[11:12], v[21:22], v[23:24]
	;; [unrolled: 6-line block ×4, first 2 shown]
	s_waitcnt lgkmcnt(0)
	v_fma_f64 v[5:6], v[9:10], v[7:8], v[5:6]
	ds_bpermute_b32 v7, v2, v3 offset:24
	ds_bpermute_b32 v8, v2, v4 offset:24
	;; [unrolled: 1-line block ×4, first 2 shown]
	s_waitcnt lgkmcnt(2)
	v_fma_f64 v[5:6], v[11:12], v[7:8], v[5:6]
	s_waitcnt vmcnt(0)
	v_mul_f64 v[7:8], v[33:34], v[37:38]
	s_waitcnt lgkmcnt(0)
	v_fma_f64 v[37:38], v[7:8], v[3:4], v[5:6]
.LBB124_80:                             ;   in Loop: Header=BB124_52 Depth=1
	v_add_co_u32 v70, vcc_lo, v70, s18
	v_add_co_ci_u32_e64 v71, null, s19, v71, vcc_lo
	v_add_co_u32 v72, vcc_lo, v72, s18
	v_add_co_ci_u32_e64 v73, null, s19, v73, vcc_lo
	;; [unrolled: 2-line block ×26, first 2 shown]
	v_add_co_u32 v94, vcc_lo, v94, s18
	s_add_u32 s16, s16, s7
	v_add_co_ci_u32_e64 v95, null, s19, v95, vcc_lo
	v_add_co_u32 v96, vcc_lo, v96, s18
	s_addc_u32 s17, s17, 0
	v_add_co_ci_u32_e64 v97, null, s19, v97, vcc_lo
	v_add_co_u32 v98, vcc_lo, v98, s18
	v_cmp_ge_i64_e64 s12, s[16:17], s[8:9]
	v_add_co_ci_u32_e64 v99, null, s19, v99, vcc_lo
	v_add_co_u32 v100, vcc_lo, v100, s18
	v_add_co_ci_u32_e64 v101, null, s19, v101, vcc_lo
	s_add_u32 s20, s20, s7
	s_addc_u32 s21, s21, 0
	s_and_b32 vcc_lo, exec_lo, s12
	s_cbranch_vccnz .LBB124_82
; %bb.81:                               ;   in Loop: Header=BB124_52 Depth=1
	v_mov_b32_e32 v68, v38
	v_mov_b32_e32 v67, v37
	s_branch .LBB124_52
.LBB124_82:
	v_mad_u32_u24 v3, 0x41, v1, v0
	v_mov_b32_e32 v2, 0
	s_mov_b32 s0, exec_lo
	v_lshl_add_u32 v4, v3, 3, 0
	v_sub_nc_u32_e32 v6, v3, v1
	v_mov_b32_e32 v3, v2
	ds_write_b64 v4, v[37:38]
	ds_write_b64 v4, v[2:3] offset:4160
	s_waitcnt lgkmcnt(0)
	s_barrier
	buffer_gl0_inv
	v_cmpx_gt_u32_e32 0x800, v6
	s_cbranch_execz .LBB124_102
; %bb.83:
	s_load_dwordx2 s[2:3], s[4:5], 0x30
	v_and_b32_e32 v1, 31, v0
	v_lshrrev_b32_e32 v5, 5, v6
	v_cmp_gt_u32_e32 vcc_lo, 8, v1
	v_mul_u32_u24_e32 v7, 0x41, v1
                                        ; implicit-def: $vgpr1_vgpr2
	s_and_saveexec_b32 s0, vcc_lo
	s_cbranch_execz .LBB124_85
; %bb.84:
	v_lshlrev_b32_e32 v1, 3, v5
	v_lshlrev_b32_e32 v2, 3, v7
	v_add3_u32 v1, 0, v1, v2
	ds_read_b64 v[1:2], v1
.LBB124_85:
	s_or_b32 exec_lo, exec_lo, s0
	v_mbcnt_lo_u32_b32 v10, -1, 0
	s_mov_b32 s7, 0
	s_lshl_b64 s[4:5], s[6:7], 6
	s_waitcnt lgkmcnt(0)
	s_cmp_eq_u64 s[2:3], 0
	v_xor_b32_e32 v3, 4, v10
	s_cselect_b32 s6, -1, 0
	v_cmp_gt_i32_e64 s0, 32, v3
	v_cndmask_b32_e64 v3, v10, v3, s0
	v_lshlrev_b32_e32 v8, 2, v3
	ds_bpermute_b32 v3, v8, v1
	ds_bpermute_b32 v4, v8, v2
	s_waitcnt lgkmcnt(0)
	v_add_f64 v[1:2], v[1:2], v[3:4]
	v_xor_b32_e32 v3, 2, v10
	v_cmp_gt_i32_e64 s0, 32, v3
	v_cndmask_b32_e64 v3, v10, v3, s0
	v_lshlrev_b32_e32 v9, 2, v3
	ds_bpermute_b32 v3, v9, v1
	ds_bpermute_b32 v4, v9, v2
	s_waitcnt lgkmcnt(0)
	v_add_f64 v[1:2], v[1:2], v[3:4]
	v_xor_b32_e32 v3, 1, v10
	v_cmp_gt_i32_e64 s0, 32, v3
	v_cndmask_b32_e64 v3, v10, v3, s0
	v_cmp_ne_u32_e64 s0, 0, v0
	v_lshlrev_b32_e32 v10, 2, v3
	ds_bpermute_b32 v3, v10, v1
	ds_bpermute_b32 v4, v10, v2
	s_waitcnt lgkmcnt(0)
	v_add_f64 v[1:2], v[1:2], v[3:4]
	v_or_b32_e32 v3, s4, v5
	v_mov_b32_e32 v4, s5
	v_cmp_le_i64_e64 s1, s[10:11], v[3:4]
	s_or_b32 s1, s0, s1
	s_nor_b32 s1, s6, s1
	s_and_saveexec_b32 s7, s1
	s_cbranch_execz .LBB124_87
; %bb.86:
	v_lshlrev_b64 v[3:4], 3, v[3:4]
	v_add_co_u32 v3, s1, s2, v3
	v_add_co_ci_u32_e64 v4, null, s3, v4, s1
	global_store_dwordx2 v[3:4], v[1:2], off
.LBB124_87:
	s_or_b32 exec_lo, exec_lo, s7
	v_cmp_gt_u32_e64 s1, 0x600, v6
	s_and_b32 exec_lo, exec_lo, s1
	s_cbranch_execz .LBB124_102
; %bb.88:
	s_and_saveexec_b32 s1, vcc_lo
	s_cbranch_execz .LBB124_90
; %bb.89:
	v_lshlrev_b32_e32 v0, 3, v5
	v_lshlrev_b32_e32 v1, 3, v7
	v_add3_u32 v0, 0, v0, v1
	ds_read_b64 v[1:2], v0 offset:128
.LBB124_90:
	s_or_b32 exec_lo, exec_lo, s1
	s_waitcnt lgkmcnt(0)
	ds_bpermute_b32 v3, v8, v1
	ds_bpermute_b32 v4, v8, v2
	s_waitcnt lgkmcnt(0)
	v_add_f64 v[0:1], v[1:2], v[3:4]
	v_add_nc_u32_e32 v4, 16, v5
	ds_bpermute_b32 v2, v9, v0
	ds_bpermute_b32 v3, v9, v1
	s_waitcnt lgkmcnt(0)
	v_add_f64 v[0:1], v[0:1], v[2:3]
	ds_bpermute_b32 v2, v10, v0
	ds_bpermute_b32 v3, v10, v1
	s_waitcnt lgkmcnt(0)
	v_add_f64 v[0:1], v[0:1], v[2:3]
	v_add_co_u32 v2, s1, s4, v4
	v_add_co_ci_u32_e64 v3, null, s5, 0, s1
	v_cmp_le_i64_e64 s1, s[10:11], v[2:3]
	s_or_b32 s1, s0, s1
	s_nor_b32 s1, s6, s1
	s_and_saveexec_b32 s7, s1
	s_cbranch_execz .LBB124_92
; %bb.91:
	v_add_co_u32 v2, s1, s4, v5
	v_add_co_ci_u32_e64 v3, null, s5, 0, s1
	v_lshlrev_b64 v[2:3], 3, v[2:3]
	v_add_co_u32 v2, s1, s2, v2
	v_add_co_ci_u32_e64 v3, null, s3, v3, s1
	global_store_dwordx2 v[2:3], v[0:1], off offset:128
.LBB124_92:
	s_or_b32 exec_lo, exec_lo, s7
	v_cmp_gt_u32_e64 s1, 0x400, v6
	s_and_b32 exec_lo, exec_lo, s1
	s_cbranch_execz .LBB124_102
; %bb.93:
	s_and_saveexec_b32 s1, vcc_lo
	s_cbranch_execz .LBB124_95
; %bb.94:
	v_lshlrev_b32_e32 v0, 3, v5
	v_lshlrev_b32_e32 v1, 3, v7
	v_add3_u32 v0, 0, v0, v1
	ds_read_b64 v[0:1], v0 offset:256
.LBB124_95:
	s_or_b32 exec_lo, exec_lo, s1
	s_waitcnt lgkmcnt(0)
	ds_bpermute_b32 v2, v8, v0
	ds_bpermute_b32 v3, v8, v1
	s_waitcnt lgkmcnt(0)
	v_add_f64 v[0:1], v[0:1], v[2:3]
	ds_bpermute_b32 v2, v9, v0
	ds_bpermute_b32 v3, v9, v1
	s_waitcnt lgkmcnt(0)
	v_add_f64 v[0:1], v[0:1], v[2:3]
	;; [unrolled: 4-line block ×3, first 2 shown]
	v_add_nc_u32_e32 v2, 32, v5
	v_mov_b32_e32 v3, s5
	v_or_b32_e32 v2, s4, v2
	v_cmp_le_i64_e64 s1, s[10:11], v[2:3]
	s_or_b32 s1, s0, s1
	s_nor_b32 s1, s6, s1
	s_and_saveexec_b32 s7, s1
	s_cbranch_execz .LBB124_97
; %bb.96:
	v_add_co_u32 v2, s1, s4, v5
	v_add_co_ci_u32_e64 v3, null, s5, 0, s1
	v_lshlrev_b64 v[2:3], 3, v[2:3]
	v_add_co_u32 v2, s1, s2, v2
	v_add_co_ci_u32_e64 v3, null, s3, v3, s1
	global_store_dwordx2 v[2:3], v[0:1], off offset:256
.LBB124_97:
	s_or_b32 exec_lo, exec_lo, s7
	v_cmp_gt_u32_e64 s1, 0x200, v6
	s_and_b32 exec_lo, exec_lo, s1
	s_cbranch_execz .LBB124_102
; %bb.98:
	s_and_saveexec_b32 s1, vcc_lo
	s_cbranch_execz .LBB124_100
; %bb.99:
	v_lshlrev_b32_e32 v0, 3, v5
	v_lshlrev_b32_e32 v1, 3, v7
	v_add3_u32 v0, 0, v0, v1
	ds_read_b64 v[0:1], v0 offset:384
.LBB124_100:
	s_or_b32 exec_lo, exec_lo, s1
	s_waitcnt lgkmcnt(0)
	ds_bpermute_b32 v2, v8, v0
	ds_bpermute_b32 v3, v8, v1
	v_add_nc_u32_e32 v4, 48, v5
	v_mov_b32_e32 v7, s5
	v_or_b32_e32 v6, s4, v4
	v_cmp_le_i64_e32 vcc_lo, s[10:11], v[6:7]
	s_or_b32 s0, s0, vcc_lo
	s_nor_b32 s0, s6, s0
	s_waitcnt lgkmcnt(0)
	v_add_f64 v[0:1], v[0:1], v[2:3]
	ds_bpermute_b32 v2, v9, v0
	ds_bpermute_b32 v3, v9, v1
	s_waitcnt lgkmcnt(0)
	v_add_f64 v[0:1], v[0:1], v[2:3]
	ds_bpermute_b32 v2, v10, v0
	ds_bpermute_b32 v3, v10, v1
	s_and_saveexec_b32 s1, s0
	s_xor_b32 s1, exec_lo, s1
	s_cbranch_execz .LBB124_102
; %bb.101:
	s_waitcnt lgkmcnt(0)
	v_add_f64 v[0:1], v[0:1], v[2:3]
	v_add_co_u32 v2, s0, s4, v5
	v_add_co_ci_u32_e64 v3, null, s5, 0, s0
	v_lshlrev_b64 v[2:3], 3, v[2:3]
	v_add_co_u32 v2, vcc_lo, s2, v2
	v_add_co_ci_u32_e64 v3, null, s3, v3, vcc_lo
	global_store_dwordx2 v[2:3], v[0:1], off offset:384
.LBB124_102:
	s_endpgm
	.section	.rodata,"a",@progbits
	.p2align	6, 0x0
	.amdhsa_kernel _ZN2at6native12_GLOBAL__N_135GammaBetaBackwardCUDAKernelTemplateIddLj64ELj8ELj64ELb0ELb0ELb1EEEvllPKT_S5_PKT0_S8_PS3_S9_
		.amdhsa_group_segment_fixed_size 0
		.amdhsa_private_segment_fixed_size 0
		.amdhsa_kernarg_size 320
		.amdhsa_user_sgpr_count 6
		.amdhsa_user_sgpr_private_segment_buffer 1
		.amdhsa_user_sgpr_dispatch_ptr 0
		.amdhsa_user_sgpr_queue_ptr 0
		.amdhsa_user_sgpr_kernarg_segment_ptr 1
		.amdhsa_user_sgpr_dispatch_id 0
		.amdhsa_user_sgpr_flat_scratch_init 0
		.amdhsa_user_sgpr_private_segment_size 0
		.amdhsa_wavefront_size32 1
		.amdhsa_uses_dynamic_stack 0
		.amdhsa_system_sgpr_private_segment_wavefront_offset 0
		.amdhsa_system_sgpr_workgroup_id_x 1
		.amdhsa_system_sgpr_workgroup_id_y 1
		.amdhsa_system_sgpr_workgroup_id_z 0
		.amdhsa_system_sgpr_workgroup_info 0
		.amdhsa_system_vgpr_workitem_id 1
		.amdhsa_next_free_vgpr 106
		.amdhsa_next_free_sgpr 30
		.amdhsa_reserve_vcc 1
		.amdhsa_reserve_flat_scratch 0
		.amdhsa_float_round_mode_32 0
		.amdhsa_float_round_mode_16_64 0
		.amdhsa_float_denorm_mode_32 3
		.amdhsa_float_denorm_mode_16_64 3
		.amdhsa_dx10_clamp 1
		.amdhsa_ieee_mode 1
		.amdhsa_fp16_overflow 0
		.amdhsa_workgroup_processor_mode 1
		.amdhsa_memory_ordered 1
		.amdhsa_forward_progress 1
		.amdhsa_shared_vgpr_count 0
		.amdhsa_exception_fp_ieee_invalid_op 0
		.amdhsa_exception_fp_denorm_src 0
		.amdhsa_exception_fp_ieee_div_zero 0
		.amdhsa_exception_fp_ieee_overflow 0
		.amdhsa_exception_fp_ieee_underflow 0
		.amdhsa_exception_fp_ieee_inexact 0
		.amdhsa_exception_int_div_zero 0
	.end_amdhsa_kernel
	.section	.text._ZN2at6native12_GLOBAL__N_135GammaBetaBackwardCUDAKernelTemplateIddLj64ELj8ELj64ELb0ELb0ELb1EEEvllPKT_S5_PKT0_S8_PS3_S9_,"axG",@progbits,_ZN2at6native12_GLOBAL__N_135GammaBetaBackwardCUDAKernelTemplateIddLj64ELj8ELj64ELb0ELb0ELb1EEEvllPKT_S5_PKT0_S8_PS3_S9_,comdat
.Lfunc_end124:
	.size	_ZN2at6native12_GLOBAL__N_135GammaBetaBackwardCUDAKernelTemplateIddLj64ELj8ELj64ELb0ELb0ELb1EEEvllPKT_S5_PKT0_S8_PS3_S9_, .Lfunc_end124-_ZN2at6native12_GLOBAL__N_135GammaBetaBackwardCUDAKernelTemplateIddLj64ELj8ELj64ELb0ELb0ELb1EEEvllPKT_S5_PKT0_S8_PS3_S9_
                                        ; -- End function
	.set _ZN2at6native12_GLOBAL__N_135GammaBetaBackwardCUDAKernelTemplateIddLj64ELj8ELj64ELb0ELb0ELb1EEEvllPKT_S5_PKT0_S8_PS3_S9_.num_vgpr, 106
	.set _ZN2at6native12_GLOBAL__N_135GammaBetaBackwardCUDAKernelTemplateIddLj64ELj8ELj64ELb0ELb0ELb1EEEvllPKT_S5_PKT0_S8_PS3_S9_.num_agpr, 0
	.set _ZN2at6native12_GLOBAL__N_135GammaBetaBackwardCUDAKernelTemplateIddLj64ELj8ELj64ELb0ELb0ELb1EEEvllPKT_S5_PKT0_S8_PS3_S9_.numbered_sgpr, 30
	.set _ZN2at6native12_GLOBAL__N_135GammaBetaBackwardCUDAKernelTemplateIddLj64ELj8ELj64ELb0ELb0ELb1EEEvllPKT_S5_PKT0_S8_PS3_S9_.num_named_barrier, 0
	.set _ZN2at6native12_GLOBAL__N_135GammaBetaBackwardCUDAKernelTemplateIddLj64ELj8ELj64ELb0ELb0ELb1EEEvllPKT_S5_PKT0_S8_PS3_S9_.private_seg_size, 0
	.set _ZN2at6native12_GLOBAL__N_135GammaBetaBackwardCUDAKernelTemplateIddLj64ELj8ELj64ELb0ELb0ELb1EEEvllPKT_S5_PKT0_S8_PS3_S9_.uses_vcc, 1
	.set _ZN2at6native12_GLOBAL__N_135GammaBetaBackwardCUDAKernelTemplateIddLj64ELj8ELj64ELb0ELb0ELb1EEEvllPKT_S5_PKT0_S8_PS3_S9_.uses_flat_scratch, 0
	.set _ZN2at6native12_GLOBAL__N_135GammaBetaBackwardCUDAKernelTemplateIddLj64ELj8ELj64ELb0ELb0ELb1EEEvllPKT_S5_PKT0_S8_PS3_S9_.has_dyn_sized_stack, 0
	.set _ZN2at6native12_GLOBAL__N_135GammaBetaBackwardCUDAKernelTemplateIddLj64ELj8ELj64ELb0ELb0ELb1EEEvllPKT_S5_PKT0_S8_PS3_S9_.has_recursion, 0
	.set _ZN2at6native12_GLOBAL__N_135GammaBetaBackwardCUDAKernelTemplateIddLj64ELj8ELj64ELb0ELb0ELb1EEEvllPKT_S5_PKT0_S8_PS3_S9_.has_indirect_call, 0
	.section	.AMDGPU.csdata,"",@progbits
; Kernel info:
; codeLenInByte = 9220
; TotalNumSgprs: 32
; NumVgprs: 106
; ScratchSize: 0
; MemoryBound: 1
; FloatMode: 240
; IeeeMode: 1
; LDSByteSize: 0 bytes/workgroup (compile time only)
; SGPRBlocks: 0
; VGPRBlocks: 13
; NumSGPRsForWavesPerEU: 32
; NumVGPRsForWavesPerEU: 106
; Occupancy: 9
; WaveLimiterHint : 0
; COMPUTE_PGM_RSRC2:SCRATCH_EN: 0
; COMPUTE_PGM_RSRC2:USER_SGPR: 6
; COMPUTE_PGM_RSRC2:TRAP_HANDLER: 0
; COMPUTE_PGM_RSRC2:TGID_X_EN: 1
; COMPUTE_PGM_RSRC2:TGID_Y_EN: 1
; COMPUTE_PGM_RSRC2:TGID_Z_EN: 0
; COMPUTE_PGM_RSRC2:TIDIG_COMP_CNT: 1
	.section	.text._ZN2at6native12_GLOBAL__N_135GammaBetaBackwardCUDAKernelTemplateIddLj64ELj16ELj128ELb0ELb1ELb1EEEvllPKT_S5_PKT0_S8_PS3_S9_,"axG",@progbits,_ZN2at6native12_GLOBAL__N_135GammaBetaBackwardCUDAKernelTemplateIddLj64ELj16ELj128ELb0ELb1ELb1EEEvllPKT_S5_PKT0_S8_PS3_S9_,comdat
	.globl	_ZN2at6native12_GLOBAL__N_135GammaBetaBackwardCUDAKernelTemplateIddLj64ELj16ELj128ELb0ELb1ELb1EEEvllPKT_S5_PKT0_S8_PS3_S9_ ; -- Begin function _ZN2at6native12_GLOBAL__N_135GammaBetaBackwardCUDAKernelTemplateIddLj64ELj16ELj128ELb0ELb1ELb1EEEvllPKT_S5_PKT0_S8_PS3_S9_
	.p2align	8
	.type	_ZN2at6native12_GLOBAL__N_135GammaBetaBackwardCUDAKernelTemplateIddLj64ELj16ELj128ELb0ELb1ELb1EEEvllPKT_S5_PKT0_S8_PS3_S9_,@function
_ZN2at6native12_GLOBAL__N_135GammaBetaBackwardCUDAKernelTemplateIddLj64ELj16ELj128ELb0ELb1ELb1EEEvllPKT_S5_PKT0_S8_PS3_S9_: ; @_ZN2at6native12_GLOBAL__N_135GammaBetaBackwardCUDAKernelTemplateIddLj64ELj16ELj128ELb0ELb1ELb1EEEvllPKT_S5_PKT0_S8_PS3_S9_
; %bb.0:
	s_load_dwordx4 s[8:11], s[4:5], 0x0
	s_lshl_b32 s16, s7, 7
	s_mov_b32 s17, 0
	s_waitcnt lgkmcnt(0)
	v_cmp_gt_i64_e64 s0, s[8:9], s[16:17]
	s_and_b32 vcc_lo, exec_lo, s0
	s_cbranch_vccnz .LBB125_2
; %bb.1:
	s_mov_b32 s0, s17
	s_branch .LBB125_3
.LBB125_2:
	s_mov_b32 s0, -1
.LBB125_3:
	s_load_dwordx2 s[2:3], s[4:5], 0x30
	v_mov_b32_e32 v8, 0
	v_mov_b32_e32 v9, 0
	s_andn2_b32 vcc_lo, exec_lo, s0
	s_cbranch_vccnz .LBB125_10
; %bb.4:
	s_clause 0x3
	s_load_dword s0, s[4:5], 0x4c
	s_load_dword s1, s[4:5], 0x44
	s_load_dwordx4 s[12:15], s[4:5], 0x10
	s_load_dwordx2 s[18:19], s[4:5], 0x28
	v_lshlrev_b32_e32 v4, 3, v1
	v_mov_b32_e32 v3, 0
	v_lshl_add_u32 v2, s6, 6, v0
	v_mov_b32_e32 v12, 8
	v_mov_b32_e32 v13, 4
	v_add_co_u32 v4, s4, v4, s16
	v_add_co_ci_u32_e64 v5, null, 0, 0, s4
	v_lshlrev_b64 v[8:9], 3, v[2:3]
	v_mul_lo_u32 v10, s11, v4
	v_mov_b32_e32 v14, 12
	v_mul_lo_u32 v11, s10, v5
	v_mov_b32_e32 v15, 16
	v_mov_b32_e32 v16, 20
	;; [unrolled: 1-line block ×3, first 2 shown]
	s_waitcnt lgkmcnt(0)
	s_and_b32 s0, s0, 0xffff
	s_lshl_b32 s4, s1, 7
	v_mad_u32_u24 v6, v1, s0, v0
	s_mul_i32 s1, s11, s4
	s_mul_hi_u32 s7, s10, s4
	v_mov_b32_e32 v18, 28
	s_mov_b32 s5, 0
	v_and_b32_e32 v21, 31, v6
	v_mad_u64_u32 v[6:7], null, s10, v4, 0
	s_add_i32 s21, s7, s1
	s_mul_i32 s20, s10, s4
	v_add_co_u32 v4, vcc_lo, v4, v21
	v_add_co_ci_u32_e64 v5, null, 0, v5, vcc_lo
	v_add3_u32 v7, v7, v11, v10
	v_cmp_gt_u32_e64 s0, 8, v21
	s_lshl_b64 s[20:21], s[20:21], 3
	v_lshlrev_b64 v[10:11], 3, v[4:5]
	s_lshl_b64 s[10:11], s[10:11], 3
	v_lshlrev_b64 v[19:20], 3, v[6:7]
	v_add_co_u32 v6, vcc_lo, s18, v10
	v_add_co_ci_u32_e64 v7, null, s19, v11, vcc_lo
	v_add_co_u32 v2, vcc_lo, v19, v8
	v_add_co_ci_u32_e64 v19, null, v20, v9, vcc_lo
	v_mov_b32_e32 v8, 0
	v_mov_b32_e32 v9, 0
	s_lshl_b64 s[18:19], s[4:5], 3
	s_branch .LBB125_7
.LBB125_5:                              ;   in Loop: Header=BB125_7 Depth=1
	s_or_b32 exec_lo, exec_lo, s5
.LBB125_6:                              ;   in Loop: Header=BB125_7 Depth=1
	s_or_b32 exec_lo, exec_lo, s1
	v_add_co_u32 v20, vcc_lo, s12, v2
	v_add_co_ci_u32_e64 v21, null, s13, v19, vcc_lo
	v_add_co_u32 v22, vcc_lo, s14, v2
	v_add_co_ci_u32_e64 v23, null, s15, v19, vcc_lo
	global_load_dwordx2 v[24:25], v[20:21], off
	global_load_dwordx2 v[26:27], v[22:23], off
	v_add_co_u32 v20, vcc_lo, v20, s10
	v_add_co_ci_u32_e64 v21, null, s11, v21, vcc_lo
	v_add_co_u32 v22, vcc_lo, v22, s10
	v_add_co_ci_u32_e64 v23, null, s11, v23, vcc_lo
	global_load_dwordx2 v[28:29], v[20:21], off
	global_load_dwordx2 v[30:31], v[22:23], off
	v_add_co_u32 v20, vcc_lo, v20, s10
	v_add_co_ci_u32_e64 v21, null, s11, v21, vcc_lo
	v_add_co_u32 v22, vcc_lo, v22, s10
	v_add_co_ci_u32_e64 v23, null, s11, v23, vcc_lo
	global_load_dwordx2 v[32:33], v[20:21], off
	global_load_dwordx2 v[34:35], v[22:23], off
	v_add_co_u32 v20, vcc_lo, v20, s10
	v_add_co_ci_u32_e64 v21, null, s11, v21, vcc_lo
	v_add_co_u32 v22, vcc_lo, v22, s10
	v_add_co_ci_u32_e64 v23, null, s11, v23, vcc_lo
	global_load_dwordx2 v[36:37], v[20:21], off
	global_load_dwordx2 v[38:39], v[22:23], off
	v_add_co_u32 v20, vcc_lo, v20, s10
	v_add_co_ci_u32_e64 v21, null, s11, v21, vcc_lo
	v_add_co_u32 v22, vcc_lo, v22, s10
	v_add_co_ci_u32_e64 v23, null, s11, v23, vcc_lo
	global_load_dwordx2 v[40:41], v[20:21], off
	global_load_dwordx2 v[42:43], v[22:23], off
	v_add_co_u32 v20, vcc_lo, v20, s10
	v_add_co_ci_u32_e64 v21, null, s11, v21, vcc_lo
	v_add_co_u32 v22, vcc_lo, v22, s10
	v_add_co_ci_u32_e64 v23, null, s11, v23, vcc_lo
	global_load_dwordx2 v[44:45], v[20:21], off
	global_load_dwordx2 v[46:47], v[22:23], off
	v_add_co_u32 v20, vcc_lo, v20, s10
	v_add_co_ci_u32_e64 v21, null, s11, v21, vcc_lo
	v_add_co_u32 v22, vcc_lo, v22, s10
	v_add_co_ci_u32_e64 v23, null, s11, v23, vcc_lo
	global_load_dwordx2 v[48:49], v[20:21], off
	global_load_dwordx2 v[50:51], v[22:23], off
	v_add_co_u32 v20, vcc_lo, v20, s10
	v_add_co_ci_u32_e64 v21, null, s11, v21, vcc_lo
	v_add_co_u32 v22, vcc_lo, v22, s10
	v_add_co_ci_u32_e64 v23, null, s11, v23, vcc_lo
	global_load_dwordx2 v[20:21], v[20:21], off
	global_load_dwordx2 v[22:23], v[22:23], off
	s_add_u32 s16, s16, s4
	v_add_co_u32 v6, vcc_lo, v6, s18
	s_addc_u32 s17, s17, 0
	v_add_co_ci_u32_e64 v7, null, s19, v7, vcc_lo
	v_add_co_u32 v4, vcc_lo, v4, s4
	v_cmp_lt_i64_e64 s1, s[16:17], s[8:9]
	v_add_co_ci_u32_e64 v5, null, 0, v5, vcc_lo
	v_add_co_u32 v2, vcc_lo, v2, s20
	v_add_co_ci_u32_e64 v19, null, s21, v19, vcc_lo
	s_and_b32 vcc_lo, exec_lo, s1
	s_waitcnt vmcnt(14)
	v_mul_f64 v[24:25], v[24:25], v[26:27]
	ds_bpermute_b32 v26, v3, v10
	ds_bpermute_b32 v27, v3, v11
	s_waitcnt vmcnt(12)
	v_mul_f64 v[28:29], v[28:29], v[30:31]
	s_waitcnt lgkmcnt(0)
	v_fma_f64 v[8:9], v[24:25], v[26:27], v[8:9]
	ds_bpermute_b32 v24, v13, v10
	ds_bpermute_b32 v25, v13, v11
	s_waitcnt vmcnt(10)
	v_mul_f64 v[26:27], v[32:33], v[34:35]
	s_waitcnt lgkmcnt(0)
	v_fma_f64 v[8:9], v[28:29], v[24:25], v[8:9]
	ds_bpermute_b32 v24, v12, v10
	ds_bpermute_b32 v25, v12, v11
	s_waitcnt vmcnt(8)
	v_mul_f64 v[28:29], v[36:37], v[38:39]
	s_waitcnt lgkmcnt(0)
	v_fma_f64 v[8:9], v[26:27], v[24:25], v[8:9]
	ds_bpermute_b32 v24, v14, v10
	ds_bpermute_b32 v25, v14, v11
	s_waitcnt vmcnt(6)
	v_mul_f64 v[26:27], v[40:41], v[42:43]
	s_waitcnt vmcnt(0)
	v_mul_f64 v[20:21], v[20:21], v[22:23]
	s_waitcnt lgkmcnt(0)
	v_fma_f64 v[8:9], v[28:29], v[24:25], v[8:9]
	ds_bpermute_b32 v24, v15, v10
	ds_bpermute_b32 v25, v15, v11
	v_mul_f64 v[28:29], v[44:45], v[46:47]
	s_waitcnt lgkmcnt(0)
	v_fma_f64 v[8:9], v[26:27], v[24:25], v[8:9]
	ds_bpermute_b32 v24, v16, v10
	ds_bpermute_b32 v25, v16, v11
	;; [unrolled: 5-line block ×3, first 2 shown]
	ds_bpermute_b32 v10, v18, v10
	ds_bpermute_b32 v11, v18, v11
	s_waitcnt lgkmcnt(2)
	v_fma_f64 v[8:9], v[26:27], v[24:25], v[8:9]
	s_waitcnt lgkmcnt(0)
	v_fma_f64 v[8:9], v[20:21], v[10:11], v[8:9]
	s_cbranch_vccz .LBB125_10
.LBB125_7:                              ; =>This Inner Loop Header: Depth=1
	v_mov_b32_e32 v10, 0
	v_mov_b32_e32 v11, 0
	s_and_saveexec_b32 s1, s0
	s_cbranch_execz .LBB125_6
; %bb.8:                                ;   in Loop: Header=BB125_7 Depth=1
	v_mov_b32_e32 v10, 0
	v_mov_b32_e32 v11, 0
	s_mov_b32 s5, exec_lo
	v_cmpx_gt_i64_e64 s[8:9], v[4:5]
	s_cbranch_execz .LBB125_5
; %bb.9:                                ;   in Loop: Header=BB125_7 Depth=1
	global_load_dwordx2 v[10:11], v[6:7], off
	s_branch .LBB125_5
.LBB125_10:
	v_mad_u32_u24 v2, 0x41, v1, v0
	v_mov_b32_e32 v4, 0
	s_mov_b32 s0, exec_lo
	v_lshl_add_u32 v6, v2, 3, 0
	v_sub_nc_u32_e32 v3, v2, v1
	v_mov_b32_e32 v5, v4
	ds_write_b64 v6, v[8:9]
	ds_write_b64 v6, v[4:5] offset:8320
	s_waitcnt lgkmcnt(0)
	s_barrier
	buffer_gl0_inv
	v_cmpx_gt_u32_e32 0x800, v3
	s_cbranch_execz .LBB125_20
; %bb.11:
	v_and_b32_e32 v1, 31, v0
	v_lshrrev_b32_e32 v2, 5, v3
	v_cmp_gt_u32_e32 vcc_lo, 16, v1
	v_mul_u32_u24_e32 v5, 0x41, v1
	v_lshlrev_b32_e32 v4, 3, v2
                                        ; implicit-def: $vgpr1_vgpr2
	s_and_saveexec_b32 s0, vcc_lo
; %bb.12:
	v_lshlrev_b32_e32 v1, 3, v5
	v_add3_u32 v1, 0, v4, v1
	ds_read_b64 v[1:2], v1
; %bb.13:
	s_or_b32 exec_lo, exec_lo, s0
	v_mbcnt_lo_u32_b32 v11, -1, 0
	s_cmp_lg_u64 s[2:3], 0
	s_mov_b32 s7, 0
	s_cselect_b32 s1, -1, 0
	s_lshl_b64 s[4:5], s[6:7], 9
	v_xor_b32_e32 v6, 8, v11
	v_cmp_gt_i32_e64 s0, 32, v6
	v_cndmask_b32_e64 v6, v11, v6, s0
	v_lshlrev_b32_e32 v6, 2, v6
	s_waitcnt lgkmcnt(0)
	ds_bpermute_b32 v7, v6, v1
	ds_bpermute_b32 v8, v6, v2
	s_waitcnt lgkmcnt(0)
	v_add_f64 v[1:2], v[1:2], v[7:8]
	v_xor_b32_e32 v7, 4, v11
	v_cmp_gt_i32_e64 s0, 32, v7
	v_cndmask_b32_e64 v7, v11, v7, s0
	v_lshlrev_b32_e32 v7, 2, v7
	ds_bpermute_b32 v8, v7, v1
	ds_bpermute_b32 v9, v7, v2
	s_waitcnt lgkmcnt(0)
	v_add_f64 v[1:2], v[1:2], v[8:9]
	v_xor_b32_e32 v8, 2, v11
	v_cmp_gt_i32_e64 s0, 32, v8
	v_cndmask_b32_e64 v8, v11, v8, s0
	v_lshlrev_b32_e32 v8, 2, v8
	ds_bpermute_b32 v9, v8, v1
	ds_bpermute_b32 v10, v8, v2
	s_waitcnt lgkmcnt(0)
	v_add_f64 v[1:2], v[1:2], v[9:10]
	v_xor_b32_e32 v9, 1, v11
	v_cmp_gt_i32_e64 s0, 32, v9
	v_cndmask_b32_e64 v9, v11, v9, s0
	v_cmp_eq_u32_e64 s0, 0, v0
	v_lshlrev_b32_e32 v9, 2, v9
	s_and_b32 s1, s0, s1
	s_add_u32 s2, s2, s4
	s_addc_u32 s3, s3, s5
	ds_bpermute_b32 v10, v9, v1
	ds_bpermute_b32 v11, v9, v2
	s_waitcnt lgkmcnt(0)
	v_add_f64 v[1:2], v[1:2], v[10:11]
	s_and_saveexec_b32 s0, s1
	s_cbranch_execz .LBB125_15
; %bb.14:
	global_store_dwordx2 v4, v[1:2], s[2:3]
.LBB125_15:
	s_or_b32 exec_lo, exec_lo, s0
	v_cmp_gt_u32_e64 s0, 0x400, v3
	s_and_b32 exec_lo, exec_lo, s0
	s_cbranch_execz .LBB125_20
; %bb.16:
	s_and_saveexec_b32 s0, vcc_lo
; %bb.17:
	v_lshlrev_b32_e32 v0, 3, v5
	v_add3_u32 v0, 0, v4, v0
	ds_read_b64 v[1:2], v0 offset:256
; %bb.18:
	s_or_b32 exec_lo, exec_lo, s0
	s_waitcnt lgkmcnt(0)
	ds_bpermute_b32 v5, v6, v1
	ds_bpermute_b32 v6, v6, v2
	s_waitcnt lgkmcnt(0)
	v_add_f64 v[0:1], v[1:2], v[5:6]
	ds_bpermute_b32 v2, v7, v0
	ds_bpermute_b32 v3, v7, v1
	s_waitcnt lgkmcnt(0)
	v_add_f64 v[0:1], v[0:1], v[2:3]
	;; [unrolled: 4-line block ×3, first 2 shown]
	ds_bpermute_b32 v2, v9, v0
	ds_bpermute_b32 v3, v9, v1
	s_and_saveexec_b32 s0, s1
	s_xor_b32 s0, exec_lo, s0
	s_cbranch_execz .LBB125_20
; %bb.19:
	s_waitcnt lgkmcnt(0)
	v_add_f64 v[0:1], v[0:1], v[2:3]
	global_store_dwordx2 v4, v[0:1], s[2:3] offset:256
.LBB125_20:
	s_endpgm
	.section	.rodata,"a",@progbits
	.p2align	6, 0x0
	.amdhsa_kernel _ZN2at6native12_GLOBAL__N_135GammaBetaBackwardCUDAKernelTemplateIddLj64ELj16ELj128ELb0ELb1ELb1EEEvllPKT_S5_PKT0_S8_PS3_S9_
		.amdhsa_group_segment_fixed_size 0
		.amdhsa_private_segment_fixed_size 0
		.amdhsa_kernarg_size 320
		.amdhsa_user_sgpr_count 6
		.amdhsa_user_sgpr_private_segment_buffer 1
		.amdhsa_user_sgpr_dispatch_ptr 0
		.amdhsa_user_sgpr_queue_ptr 0
		.amdhsa_user_sgpr_kernarg_segment_ptr 1
		.amdhsa_user_sgpr_dispatch_id 0
		.amdhsa_user_sgpr_flat_scratch_init 0
		.amdhsa_user_sgpr_private_segment_size 0
		.amdhsa_wavefront_size32 1
		.amdhsa_uses_dynamic_stack 0
		.amdhsa_system_sgpr_private_segment_wavefront_offset 0
		.amdhsa_system_sgpr_workgroup_id_x 1
		.amdhsa_system_sgpr_workgroup_id_y 1
		.amdhsa_system_sgpr_workgroup_id_z 0
		.amdhsa_system_sgpr_workgroup_info 0
		.amdhsa_system_vgpr_workitem_id 1
		.amdhsa_next_free_vgpr 52
		.amdhsa_next_free_sgpr 22
		.amdhsa_reserve_vcc 1
		.amdhsa_reserve_flat_scratch 0
		.amdhsa_float_round_mode_32 0
		.amdhsa_float_round_mode_16_64 0
		.amdhsa_float_denorm_mode_32 3
		.amdhsa_float_denorm_mode_16_64 3
		.amdhsa_dx10_clamp 1
		.amdhsa_ieee_mode 1
		.amdhsa_fp16_overflow 0
		.amdhsa_workgroup_processor_mode 1
		.amdhsa_memory_ordered 1
		.amdhsa_forward_progress 1
		.amdhsa_shared_vgpr_count 0
		.amdhsa_exception_fp_ieee_invalid_op 0
		.amdhsa_exception_fp_denorm_src 0
		.amdhsa_exception_fp_ieee_div_zero 0
		.amdhsa_exception_fp_ieee_overflow 0
		.amdhsa_exception_fp_ieee_underflow 0
		.amdhsa_exception_fp_ieee_inexact 0
		.amdhsa_exception_int_div_zero 0
	.end_amdhsa_kernel
	.section	.text._ZN2at6native12_GLOBAL__N_135GammaBetaBackwardCUDAKernelTemplateIddLj64ELj16ELj128ELb0ELb1ELb1EEEvllPKT_S5_PKT0_S8_PS3_S9_,"axG",@progbits,_ZN2at6native12_GLOBAL__N_135GammaBetaBackwardCUDAKernelTemplateIddLj64ELj16ELj128ELb0ELb1ELb1EEEvllPKT_S5_PKT0_S8_PS3_S9_,comdat
.Lfunc_end125:
	.size	_ZN2at6native12_GLOBAL__N_135GammaBetaBackwardCUDAKernelTemplateIddLj64ELj16ELj128ELb0ELb1ELb1EEEvllPKT_S5_PKT0_S8_PS3_S9_, .Lfunc_end125-_ZN2at6native12_GLOBAL__N_135GammaBetaBackwardCUDAKernelTemplateIddLj64ELj16ELj128ELb0ELb1ELb1EEEvllPKT_S5_PKT0_S8_PS3_S9_
                                        ; -- End function
	.set _ZN2at6native12_GLOBAL__N_135GammaBetaBackwardCUDAKernelTemplateIddLj64ELj16ELj128ELb0ELb1ELb1EEEvllPKT_S5_PKT0_S8_PS3_S9_.num_vgpr, 52
	.set _ZN2at6native12_GLOBAL__N_135GammaBetaBackwardCUDAKernelTemplateIddLj64ELj16ELj128ELb0ELb1ELb1EEEvllPKT_S5_PKT0_S8_PS3_S9_.num_agpr, 0
	.set _ZN2at6native12_GLOBAL__N_135GammaBetaBackwardCUDAKernelTemplateIddLj64ELj16ELj128ELb0ELb1ELb1EEEvllPKT_S5_PKT0_S8_PS3_S9_.numbered_sgpr, 22
	.set _ZN2at6native12_GLOBAL__N_135GammaBetaBackwardCUDAKernelTemplateIddLj64ELj16ELj128ELb0ELb1ELb1EEEvllPKT_S5_PKT0_S8_PS3_S9_.num_named_barrier, 0
	.set _ZN2at6native12_GLOBAL__N_135GammaBetaBackwardCUDAKernelTemplateIddLj64ELj16ELj128ELb0ELb1ELb1EEEvllPKT_S5_PKT0_S8_PS3_S9_.private_seg_size, 0
	.set _ZN2at6native12_GLOBAL__N_135GammaBetaBackwardCUDAKernelTemplateIddLj64ELj16ELj128ELb0ELb1ELb1EEEvllPKT_S5_PKT0_S8_PS3_S9_.uses_vcc, 1
	.set _ZN2at6native12_GLOBAL__N_135GammaBetaBackwardCUDAKernelTemplateIddLj64ELj16ELj128ELb0ELb1ELb1EEEvllPKT_S5_PKT0_S8_PS3_S9_.uses_flat_scratch, 0
	.set _ZN2at6native12_GLOBAL__N_135GammaBetaBackwardCUDAKernelTemplateIddLj64ELj16ELj128ELb0ELb1ELb1EEEvllPKT_S5_PKT0_S8_PS3_S9_.has_dyn_sized_stack, 0
	.set _ZN2at6native12_GLOBAL__N_135GammaBetaBackwardCUDAKernelTemplateIddLj64ELj16ELj128ELb0ELb1ELb1EEEvllPKT_S5_PKT0_S8_PS3_S9_.has_recursion, 0
	.set _ZN2at6native12_GLOBAL__N_135GammaBetaBackwardCUDAKernelTemplateIddLj64ELj16ELj128ELb0ELb1ELb1EEEvllPKT_S5_PKT0_S8_PS3_S9_.has_indirect_call, 0
	.section	.AMDGPU.csdata,"",@progbits
; Kernel info:
; codeLenInByte = 1776
; TotalNumSgprs: 24
; NumVgprs: 52
; ScratchSize: 0
; MemoryBound: 0
; FloatMode: 240
; IeeeMode: 1
; LDSByteSize: 0 bytes/workgroup (compile time only)
; SGPRBlocks: 0
; VGPRBlocks: 6
; NumSGPRsForWavesPerEU: 24
; NumVGPRsForWavesPerEU: 52
; Occupancy: 16
; WaveLimiterHint : 0
; COMPUTE_PGM_RSRC2:SCRATCH_EN: 0
; COMPUTE_PGM_RSRC2:USER_SGPR: 6
; COMPUTE_PGM_RSRC2:TRAP_HANDLER: 0
; COMPUTE_PGM_RSRC2:TGID_X_EN: 1
; COMPUTE_PGM_RSRC2:TGID_Y_EN: 1
; COMPUTE_PGM_RSRC2:TGID_Z_EN: 0
; COMPUTE_PGM_RSRC2:TIDIG_COMP_CNT: 1
	.section	.text._ZN2at6native12_GLOBAL__N_135GammaBetaBackwardCUDAKernelTemplateIddLj64ELj16ELj128ELb0ELb0ELb1EEEvllPKT_S5_PKT0_S8_PS3_S9_,"axG",@progbits,_ZN2at6native12_GLOBAL__N_135GammaBetaBackwardCUDAKernelTemplateIddLj64ELj16ELj128ELb0ELb0ELb1EEEvllPKT_S5_PKT0_S8_PS3_S9_,comdat
	.globl	_ZN2at6native12_GLOBAL__N_135GammaBetaBackwardCUDAKernelTemplateIddLj64ELj16ELj128ELb0ELb0ELb1EEEvllPKT_S5_PKT0_S8_PS3_S9_ ; -- Begin function _ZN2at6native12_GLOBAL__N_135GammaBetaBackwardCUDAKernelTemplateIddLj64ELj16ELj128ELb0ELb0ELb1EEEvllPKT_S5_PKT0_S8_PS3_S9_
	.p2align	8
	.type	_ZN2at6native12_GLOBAL__N_135GammaBetaBackwardCUDAKernelTemplateIddLj64ELj16ELj128ELb0ELb0ELb1EEEvllPKT_S5_PKT0_S8_PS3_S9_,@function
_ZN2at6native12_GLOBAL__N_135GammaBetaBackwardCUDAKernelTemplateIddLj64ELj16ELj128ELb0ELb0ELb1EEEvllPKT_S5_PKT0_S8_PS3_S9_: ; @_ZN2at6native12_GLOBAL__N_135GammaBetaBackwardCUDAKernelTemplateIddLj64ELj16ELj128ELb0ELb0ELb1EEEvllPKT_S5_PKT0_S8_PS3_S9_
; %bb.0:
	s_clause 0x1
	s_load_dwordx8 s[8:15], s[4:5], 0x0
	s_load_dwordx2 s[2:3], s[4:5], 0x28
	s_lshl_b32 s26, s6, 6
	s_mov_b32 s17, 0
	s_or_b32 s16, s26, 63
	s_waitcnt lgkmcnt(0)
	v_cmp_le_i64_e64 s0, s[10:11], s[16:17]
	s_lshl_b32 s16, s7, 7
	v_cmp_gt_i64_e64 s7, s[8:9], s[16:17]
	s_and_b32 vcc_lo, exec_lo, s0
	v_cndmask_b32_e64 v2, 0, 1, s7
	v_cmp_ne_u32_e64 s0, 1, v2
	s_cbranch_vccz .LBB126_48
; %bb.1:
	v_mov_b32_e32 v37, 0
	v_mov_b32_e32 v38, 0
	s_and_b32 vcc_lo, exec_lo, s0
	s_cbranch_vccnz .LBB126_49
; %bb.2:
	v_lshlrev_b32_e32 v43, 3, v1
	v_mov_b32_e32 v2, 0
	v_add_nc_u32_e32 v5, s26, v0
	s_load_dword s1, s[4:5], 0x44
	s_add_u32 s18, s4, 64
	v_add_co_u32 v11, s0, v43, s16
	v_add_co_ci_u32_e64 v12, null, 0, 0, s0
	v_mov_b32_e32 v6, v2
	v_mul_lo_u32 v7, s11, v11
	v_mad_u64_u32 v[3:4], null, s10, v11, 0
	v_mul_lo_u32 v8, s10, v12
	v_cmp_gt_i64_e64 s0, s[10:11], v[5:6]
	v_lshlrev_b64 v[35:36], 3, v[5:6]
	s_addc_u32 s19, s5, 0
	v_mov_b32_e32 v37, 0
	v_mov_b32_e32 v38, 0
	s_mov_b64 s[24:25], s[16:17]
	v_add3_u32 v4, v4, v8, v7
	v_add_co_u32 v7, vcc_lo, v11, 7
	v_add_co_ci_u32_e64 v8, null, 0, v12, vcc_lo
	v_lshlrev_b64 v[5:6], 3, v[3:4]
	v_mul_lo_u32 v13, s11, v7
	s_waitcnt lgkmcnt(0)
	s_lshl_b32 s27, s1, 7
	v_mul_lo_u32 v14, s10, v8
	v_mad_u64_u32 v[7:8], null, s10, v7, 0
	v_add_co_u32 v44, vcc_lo, s12, v5
	v_add_co_ci_u32_e64 v45, null, s13, v6, vcc_lo
	v_add_co_u32 v9, vcc_lo, v11, 6
	v_add_co_ci_u32_e64 v10, null, 0, v12, vcc_lo
	v_add_co_u32 v46, vcc_lo, s14, v5
	v_mul_lo_u32 v15, s11, v9
	v_mul_lo_u32 v16, s10, v10
	v_mad_u64_u32 v[9:10], null, s10, v9, 0
	v_add3_u32 v8, v8, v14, v13
	v_add_co_ci_u32_e64 v47, null, s15, v6, vcc_lo
	v_add_co_u32 v13, vcc_lo, v11, 5
	v_add_co_ci_u32_e64 v14, null, 0, v12, vcc_lo
	v_add3_u32 v10, v10, v16, v15
	v_lshlrev_b64 v[5:6], 3, v[7:8]
	v_mul_lo_u32 v15, s11, v13
	v_mul_lo_u32 v14, s10, v14
	s_mul_i32 s1, s11, s27
	v_lshlrev_b64 v[7:8], 3, v[9:10]
	v_mad_u64_u32 v[9:10], null, s10, v13, 0
	v_add_co_u32 v48, vcc_lo, s12, v5
	v_add_co_ci_u32_e64 v49, null, s13, v6, vcc_lo
	v_add_co_u32 v50, vcc_lo, s14, v5
	v_add_co_ci_u32_e64 v51, null, s15, v6, vcc_lo
	v_add_co_u32 v52, vcc_lo, s12, v7
	v_add3_u32 v10, v10, v14, v15
	s_mul_hi_u32 s20, s10, s27
	v_add_co_ci_u32_e64 v53, null, s13, v8, vcc_lo
	v_add_co_u32 v13, vcc_lo, v11, 4
	s_add_i32 s21, s20, s1
	v_add_co_u32 v54, s1, s14, v7
	v_add_co_ci_u32_e64 v7, null, 0, v12, vcc_lo
	v_lshlrev_b64 v[5:6], 3, v[9:10]
	v_add_co_u32 v9, vcc_lo, v11, 3
	v_add_co_ci_u32_e64 v10, null, 0, v12, vcc_lo
	v_add_co_ci_u32_e64 v55, null, s15, v8, s1
	v_mul_lo_u32 v14, s11, v13
	v_mul_lo_u32 v15, s10, v7
	v_mad_u64_u32 v[7:8], null, s10, v13, 0
	v_mul_lo_u32 v13, s11, v9
	v_mul_lo_u32 v16, s10, v10
	v_mad_u64_u32 v[9:10], null, s10, v9, 0
	v_add_co_u32 v56, vcc_lo, s12, v5
	v_add_co_ci_u32_e64 v57, null, s13, v6, vcc_lo
	v_add3_u32 v8, v8, v15, v14
	v_add_co_u32 v58, vcc_lo, s14, v5
	v_add_co_ci_u32_e64 v59, null, s15, v6, vcc_lo
	v_add_co_u32 v11, vcc_lo, v11, 2
	v_add3_u32 v10, v10, v16, v13
	v_add_co_ci_u32_e64 v12, null, 0, v12, vcc_lo
	v_lshlrev_b64 v[5:6], 3, v[7:8]
	v_mul_lo_u32 v13, s11, v11
	v_lshlrev_b64 v[7:8], 3, v[9:10]
	v_mul_lo_u32 v12, s10, v12
	v_mad_u64_u32 v[9:10], null, s10, v11, 0
	v_add_co_u32 v60, vcc_lo, s12, v5
	v_add_co_ci_u32_e64 v61, null, s13, v6, vcc_lo
	v_add_co_u32 v62, vcc_lo, s14, v5
	v_add_co_ci_u32_e64 v63, null, s15, v6, vcc_lo
	v_add_co_u32 v64, vcc_lo, s12, v7
	v_add_co_ci_u32_e64 v65, null, s13, v8, vcc_lo
	v_add3_u32 v10, v10, v12, v13
	v_add_co_u32 v66, vcc_lo, s14, v7
	v_add_co_ci_u32_e64 v67, null, s15, v8, vcc_lo
	v_add_co_u32 v3, vcc_lo, v3, s10
	v_add_co_ci_u32_e64 v4, null, s11, v4, vcc_lo
	v_lshlrev_b64 v[5:6], 3, v[9:10]
	s_mul_i32 s20, s10, s27
	v_lshlrev_b64 v[3:4], 3, v[3:4]
	s_lshl_b64 s[20:21], s[20:21], 3
	s_add_u32 s22, s16, 0x7f
	v_add_co_u32 v68, vcc_lo, s12, v5
	v_add_co_ci_u32_e64 v69, null, s13, v6, vcc_lo
	v_add_co_u32 v70, vcc_lo, s14, v5
	v_add_co_ci_u32_e64 v71, null, s15, v6, vcc_lo
	;; [unrolled: 2-line block ×4, first 2 shown]
	s_addc_u32 s23, 0, 0
	s_branch .LBB126_5
.LBB126_3:                              ;   in Loop: Header=BB126_5 Depth=1
	s_or_b32 exec_lo, exec_lo, s1
	s_waitcnt vmcnt(0)
	v_mul_f64 v[3:4], v[19:20], v[3:4]
	ds_bpermute_b32 v19, v2, v39
	ds_bpermute_b32 v20, v2, v40
	v_mul_f64 v[5:6], v[21:22], v[5:6]
	v_mul_f64 v[7:8], v[23:24], v[7:8]
	;; [unrolled: 1-line block ×3, first 2 shown]
	s_waitcnt lgkmcnt(0)
	v_fma_f64 v[3:4], v[3:4], v[19:20], v[37:38]
	ds_bpermute_b32 v19, v2, v39 offset:4
	ds_bpermute_b32 v20, v2, v40 offset:4
	s_waitcnt lgkmcnt(0)
	v_fma_f64 v[3:4], v[5:6], v[19:20], v[3:4]
	ds_bpermute_b32 v5, v2, v39 offset:8
	ds_bpermute_b32 v6, v2, v40 offset:8
	;; [unrolled: 4-line block ×3, first 2 shown]
	v_mul_f64 v[7:8], v[27:28], v[11:12]
	s_waitcnt lgkmcnt(0)
	v_fma_f64 v[3:4], v[9:10], v[5:6], v[3:4]
	ds_bpermute_b32 v5, v2, v39 offset:16
	ds_bpermute_b32 v6, v2, v40 offset:16
	v_mul_f64 v[9:10], v[29:30], v[13:14]
	s_waitcnt lgkmcnt(0)
	v_fma_f64 v[3:4], v[7:8], v[5:6], v[3:4]
	ds_bpermute_b32 v5, v2, v39 offset:20
	ds_bpermute_b32 v6, v2, v40 offset:20
	;; [unrolled: 1-line block ×4, first 2 shown]
	s_waitcnt lgkmcnt(2)
	v_fma_f64 v[3:4], v[9:10], v[5:6], v[3:4]
	v_mul_f64 v[5:6], v[31:32], v[15:16]
	s_waitcnt lgkmcnt(0)
	v_fma_f64 v[41:42], v[5:6], v[7:8], v[3:4]
	ds_bpermute_b32 v3, v2, v39 offset:28
	ds_bpermute_b32 v4, v2, v40 offset:28
.LBB126_4:                              ;   in Loop: Header=BB126_5 Depth=1
	v_mul_f64 v[5:6], v[17:18], v[33:34]
	v_add_co_u32 v44, vcc_lo, v44, s20
	v_add_co_ci_u32_e64 v45, null, s21, v45, vcc_lo
	v_add_co_u32 v46, vcc_lo, v46, s20
	v_add_co_ci_u32_e64 v47, null, s21, v47, vcc_lo
	;; [unrolled: 2-line block ×7, first 2 shown]
	v_add_co_u32 v58, vcc_lo, v58, s20
	s_waitcnt lgkmcnt(0)
	v_fma_f64 v[37:38], v[5:6], v[3:4], v[41:42]
	v_add_co_ci_u32_e64 v59, null, s21, v59, vcc_lo
	v_add_co_u32 v60, vcc_lo, v60, s20
	v_add_co_ci_u32_e64 v61, null, s21, v61, vcc_lo
	v_add_co_u32 v62, vcc_lo, v62, s20
	v_add_co_ci_u32_e64 v63, null, s21, v63, vcc_lo
	v_add_co_u32 v64, vcc_lo, v64, s20
	v_add_co_ci_u32_e64 v65, null, s21, v65, vcc_lo
	v_add_co_u32 v66, vcc_lo, v66, s20
	v_add_co_ci_u32_e64 v67, null, s21, v67, vcc_lo
	v_add_co_u32 v68, vcc_lo, v68, s20
	s_add_u32 s24, s24, s27
	v_add_co_ci_u32_e64 v69, null, s21, v69, vcc_lo
	v_add_co_u32 v70, vcc_lo, v70, s20
	s_addc_u32 s25, s25, 0
	v_add_co_ci_u32_e64 v71, null, s21, v71, vcc_lo
	v_add_co_u32 v72, vcc_lo, v72, s20
	v_cmp_lt_i64_e64 s1, s[24:25], s[8:9]
	v_add_co_ci_u32_e64 v73, null, s21, v73, vcc_lo
	v_add_co_u32 v74, vcc_lo, v74, s20
	v_add_co_ci_u32_e64 v75, null, s21, v75, vcc_lo
	s_add_u32 s22, s22, s27
	s_addc_u32 s23, s23, 0
	s_and_b32 vcc_lo, exec_lo, s1
	s_cbranch_vccz .LBB126_49
.LBB126_5:                              ; =>This Inner Loop Header: Depth=1
	v_cmp_ge_i64_e64 s1, s[22:23], s[8:9]
	v_add_co_u32 v76, s28, v43, s22
	v_add_co_ci_u32_e64 v77, null, 0, s23, s28
                                        ; implicit-def: $vgpr3_vgpr4_vgpr5_vgpr6_vgpr7_vgpr8_vgpr9_vgpr10_vgpr11_vgpr12_vgpr13_vgpr14_vgpr15_vgpr16_vgpr17_vgpr18
                                        ; implicit-def: $vgpr41_vgpr42
                                        ; implicit-def: $vgpr19_vgpr20_vgpr21_vgpr22_vgpr23_vgpr24_vgpr25_vgpr26_vgpr27_vgpr28_vgpr29_vgpr30_vgpr31_vgpr32_vgpr33_vgpr34
                                        ; implicit-def: $vgpr3
	s_and_b32 vcc_lo, exec_lo, s1
	s_mov_b32 s1, -1
	s_cbranch_vccz .LBB126_27
; %bb.6:                                ;   in Loop: Header=BB126_5 Depth=1
	s_load_dword s1, s[18:19], 0xc
	v_mov_b32_e32 v39, 0
	v_mov_b32_e32 v40, 0
	s_waitcnt lgkmcnt(0)
	s_and_b32 s1, s1, 0xffff
	v_mad_u32_u24 v3, v1, s1, v0
	s_mov_b32 s1, exec_lo
	v_and_b32_e32 v3, 31, v3
	v_cmpx_gt_u32_e32 8, v3
	s_cbranch_execz .LBB126_10
; %bb.7:                                ;   in Loop: Header=BB126_5 Depth=1
	v_add_co_u32 v3, vcc_lo, v76, v3
	v_add_co_ci_u32_e64 v4, null, 0, v77, vcc_lo
	v_mov_b32_e32 v39, 0
	v_add_co_u32 v3, vcc_lo, 0xffffff81, v3
	v_add_co_ci_u32_e64 v4, null, -1, v4, vcc_lo
	v_mov_b32_e32 v40, 0
	s_mov_b32 s28, exec_lo
	v_cmpx_gt_i64_e64 s[8:9], v[3:4]
	s_cbranch_execz .LBB126_9
; %bb.8:                                ;   in Loop: Header=BB126_5 Depth=1
	v_lshlrev_b64 v[3:4], 3, v[3:4]
	v_add_co_u32 v3, vcc_lo, s2, v3
	v_add_co_ci_u32_e64 v4, null, s3, v4, vcc_lo
	global_load_dwordx2 v[39:40], v[3:4], off
.LBB126_9:                              ;   in Loop: Header=BB126_5 Depth=1
	s_or_b32 exec_lo, exec_lo, s28
.LBB126_10:                             ;   in Loop: Header=BB126_5 Depth=1
	s_or_b32 exec_lo, exec_lo, s1
	v_add_co_u32 v18, vcc_lo, 0xffffff81, v76
	v_add_co_ci_u32_e64 v19, null, -1, v77, vcc_lo
	v_mov_b32_e32 v17, v2
	v_mov_b32_e32 v3, v2
	;; [unrolled: 1-line block ×15, first 2 shown]
	v_cmp_gt_i64_e32 vcc_lo, s[8:9], v[18:19]
	v_mov_b32_e32 v34, v17
	v_mov_b32_e32 v31, v14
	;; [unrolled: 1-line block ×32, first 2 shown]
	s_and_b32 s28, s0, vcc_lo
	s_and_saveexec_b32 s1, s28
	s_cbranch_execz .LBB126_12
; %bb.11:                               ;   in Loop: Header=BB126_5 Depth=1
	v_add_co_u32 v3, vcc_lo, v44, v35
	v_add_co_ci_u32_e64 v4, null, v45, v36, vcc_lo
	v_add_co_u32 v5, vcc_lo, v46, v35
	v_add_co_ci_u32_e64 v6, null, v47, v36, vcc_lo
	global_load_dwordx2 v[3:4], v[3:4], off
	global_load_dwordx2 v[19:20], v[5:6], off
	v_mov_b32_e32 v5, v2
	v_mov_b32_e32 v6, v2
	;; [unrolled: 1-line block ×28, first 2 shown]
.LBB126_12:                             ;   in Loop: Header=BB126_5 Depth=1
	s_or_b32 exec_lo, exec_lo, s1
	v_add_co_u32 v41, vcc_lo, 0xffffff82, v76
	v_add_co_ci_u32_e64 v42, null, -1, v77, vcc_lo
	v_cmp_gt_i64_e32 vcc_lo, s[8:9], v[41:42]
	s_and_b32 s28, s0, vcc_lo
	s_and_saveexec_b32 s1, s28
	s_cbranch_execz .LBB126_14
; %bb.13:                               ;   in Loop: Header=BB126_5 Depth=1
	v_add_co_u32 v5, vcc_lo, v72, v35
	v_add_co_ci_u32_e64 v6, null, v73, v36, vcc_lo
	v_add_co_u32 v21, vcc_lo, v74, v35
	v_add_co_ci_u32_e64 v22, null, v75, v36, vcc_lo
	global_load_dwordx2 v[5:6], v[5:6], off
	global_load_dwordx2 v[21:22], v[21:22], off
.LBB126_14:                             ;   in Loop: Header=BB126_5 Depth=1
	s_or_b32 exec_lo, exec_lo, s1
	v_add_co_u32 v41, vcc_lo, 0xffffff83, v76
	v_add_co_ci_u32_e64 v42, null, -1, v77, vcc_lo
	v_cmp_gt_i64_e32 vcc_lo, s[8:9], v[41:42]
	s_and_b32 s28, s0, vcc_lo
	s_and_saveexec_b32 s1, s28
	s_cbranch_execz .LBB126_16
; %bb.15:                               ;   in Loop: Header=BB126_5 Depth=1
	v_add_co_u32 v7, vcc_lo, v68, v35
	v_add_co_ci_u32_e64 v8, null, v69, v36, vcc_lo
	v_add_co_u32 v23, vcc_lo, v70, v35
	v_add_co_ci_u32_e64 v24, null, v71, v36, vcc_lo
	global_load_dwordx2 v[7:8], v[7:8], off
	global_load_dwordx2 v[23:24], v[23:24], off
.LBB126_16:                             ;   in Loop: Header=BB126_5 Depth=1
	;; [unrolled: 15-line block ×7, first 2 shown]
	s_or_b32 exec_lo, exec_lo, s1
	s_waitcnt vmcnt(0)
	v_mul_f64 v[3:4], v[19:20], v[3:4]
	ds_bpermute_b32 v19, v2, v39
	ds_bpermute_b32 v20, v2, v40
	v_mul_f64 v[5:6], v[21:22], v[5:6]
	v_mul_f64 v[7:8], v[23:24], v[7:8]
	;; [unrolled: 1-line block ×3, first 2 shown]
	s_mov_b32 s1, 0
	s_waitcnt lgkmcnt(0)
	v_fma_f64 v[3:4], v[3:4], v[19:20], v[37:38]
	ds_bpermute_b32 v19, v2, v39 offset:4
	ds_bpermute_b32 v20, v2, v40 offset:4
	s_waitcnt lgkmcnt(0)
	v_fma_f64 v[3:4], v[5:6], v[19:20], v[3:4]
	ds_bpermute_b32 v5, v2, v39 offset:8
	ds_bpermute_b32 v6, v2, v40 offset:8
	;; [unrolled: 4-line block ×3, first 2 shown]
	v_mul_f64 v[7:8], v[27:28], v[11:12]
	s_waitcnt lgkmcnt(0)
	v_fma_f64 v[3:4], v[9:10], v[5:6], v[3:4]
	ds_bpermute_b32 v5, v2, v39 offset:16
	ds_bpermute_b32 v6, v2, v40 offset:16
	v_mul_f64 v[9:10], v[29:30], v[13:14]
	s_waitcnt lgkmcnt(0)
	v_fma_f64 v[3:4], v[7:8], v[5:6], v[3:4]
	ds_bpermute_b32 v5, v2, v39 offset:20
	ds_bpermute_b32 v6, v2, v40 offset:20
	;; [unrolled: 1-line block ×4, first 2 shown]
	s_waitcnt lgkmcnt(2)
	v_fma_f64 v[3:4], v[9:10], v[5:6], v[3:4]
	v_mul_f64 v[5:6], v[31:32], v[15:16]
	s_waitcnt lgkmcnt(0)
	v_fma_f64 v[41:42], v[5:6], v[7:8], v[3:4]
	ds_bpermute_b32 v3, v2, v39 offset:28
	ds_bpermute_b32 v4, v2, v40 offset:28
.LBB126_27:                             ;   in Loop: Header=BB126_5 Depth=1
	s_and_b32 vcc_lo, exec_lo, s1
	s_cbranch_vccz .LBB126_4
; %bb.28:                               ;   in Loop: Header=BB126_5 Depth=1
	s_load_dword s1, s[18:19], 0x0
	v_mov_b32_e32 v39, 0
	v_mov_b32_e32 v40, 0
	s_waitcnt lgkmcnt(0)
	s_cmp_lt_u32 s6, s1
	s_cselect_b32 s1, 12, 18
	s_add_u32 s28, s18, s1
	s_addc_u32 s29, s19, 0
	s_mov_b32 s1, exec_lo
	global_load_ushort v3, v2, s[28:29]
	s_waitcnt vmcnt(0)
	v_mad_u32_u24 v3, v1, v3, v0
	v_and_b32_e32 v3, 31, v3
	v_cmpx_gt_u32_e32 8, v3
	s_cbranch_execz .LBB126_32
; %bb.29:                               ;   in Loop: Header=BB126_5 Depth=1
	v_add_co_u32 v3, vcc_lo, v76, v3
	v_add_co_ci_u32_e64 v4, null, 0, v77, vcc_lo
	v_mov_b32_e32 v39, 0
	v_add_co_u32 v3, vcc_lo, 0xffffff81, v3
	v_add_co_ci_u32_e64 v4, null, -1, v4, vcc_lo
	v_mov_b32_e32 v40, 0
	s_mov_b32 s28, exec_lo
	v_cmpx_gt_i64_e64 s[8:9], v[3:4]
	s_cbranch_execz .LBB126_31
; %bb.30:                               ;   in Loop: Header=BB126_5 Depth=1
	v_lshlrev_b64 v[3:4], 3, v[3:4]
	v_add_co_u32 v3, vcc_lo, s2, v3
	v_add_co_ci_u32_e64 v4, null, s3, v4, vcc_lo
	global_load_dwordx2 v[39:40], v[3:4], off
.LBB126_31:                             ;   in Loop: Header=BB126_5 Depth=1
	s_or_b32 exec_lo, exec_lo, s28
.LBB126_32:                             ;   in Loop: Header=BB126_5 Depth=1
	s_or_b32 exec_lo, exec_lo, s1
	v_mov_b32_e32 v17, v2
	v_mov_b32_e32 v3, v2
	;; [unrolled: 1-line block ×47, first 2 shown]
	s_and_saveexec_b32 s1, s0
	s_cbranch_execnz .LBB126_40
; %bb.33:                               ;   in Loop: Header=BB126_5 Depth=1
	s_or_b32 exec_lo, exec_lo, s1
	s_and_saveexec_b32 s1, s0
	s_cbranch_execnz .LBB126_41
.LBB126_34:                             ;   in Loop: Header=BB126_5 Depth=1
	s_or_b32 exec_lo, exec_lo, s1
	s_and_saveexec_b32 s1, s0
	s_cbranch_execnz .LBB126_42
.LBB126_35:                             ;   in Loop: Header=BB126_5 Depth=1
	s_or_b32 exec_lo, exec_lo, s1
	s_and_saveexec_b32 s1, s0
	s_cbranch_execnz .LBB126_43
.LBB126_36:                             ;   in Loop: Header=BB126_5 Depth=1
	s_or_b32 exec_lo, exec_lo, s1
	s_and_saveexec_b32 s1, s0
	s_cbranch_execnz .LBB126_44
.LBB126_37:                             ;   in Loop: Header=BB126_5 Depth=1
	s_or_b32 exec_lo, exec_lo, s1
	s_and_saveexec_b32 s1, s0
	s_cbranch_execnz .LBB126_45
.LBB126_38:                             ;   in Loop: Header=BB126_5 Depth=1
	s_or_b32 exec_lo, exec_lo, s1
	s_and_saveexec_b32 s1, s0
	s_cbranch_execnz .LBB126_46
.LBB126_39:                             ;   in Loop: Header=BB126_5 Depth=1
	s_or_b32 exec_lo, exec_lo, s1
	s_and_saveexec_b32 s1, s0
	s_cbranch_execz .LBB126_3
	s_branch .LBB126_47
.LBB126_40:                             ;   in Loop: Header=BB126_5 Depth=1
	v_add_co_u32 v3, vcc_lo, v44, v35
	v_add_co_ci_u32_e64 v4, null, v45, v36, vcc_lo
	v_add_co_u32 v5, vcc_lo, v46, v35
	v_add_co_ci_u32_e64 v6, null, v47, v36, vcc_lo
	global_load_dwordx2 v[3:4], v[3:4], off
	global_load_dwordx2 v[19:20], v[5:6], off
	v_mov_b32_e32 v5, v2
	v_mov_b32_e32 v6, v2
	;; [unrolled: 1-line block ×28, first 2 shown]
	s_or_b32 exec_lo, exec_lo, s1
	s_and_saveexec_b32 s1, s0
	s_cbranch_execz .LBB126_34
.LBB126_41:                             ;   in Loop: Header=BB126_5 Depth=1
	v_add_co_u32 v5, vcc_lo, v72, v35
	v_add_co_ci_u32_e64 v6, null, v73, v36, vcc_lo
	v_add_co_u32 v21, vcc_lo, v74, v35
	v_add_co_ci_u32_e64 v22, null, v75, v36, vcc_lo
	global_load_dwordx2 v[5:6], v[5:6], off
	global_load_dwordx2 v[21:22], v[21:22], off
	s_or_b32 exec_lo, exec_lo, s1
	s_and_saveexec_b32 s1, s0
	s_cbranch_execz .LBB126_35
.LBB126_42:                             ;   in Loop: Header=BB126_5 Depth=1
	v_add_co_u32 v7, vcc_lo, v68, v35
	v_add_co_ci_u32_e64 v8, null, v69, v36, vcc_lo
	v_add_co_u32 v23, vcc_lo, v70, v35
	v_add_co_ci_u32_e64 v24, null, v71, v36, vcc_lo
	global_load_dwordx2 v[7:8], v[7:8], off
	global_load_dwordx2 v[23:24], v[23:24], off
	s_or_b32 exec_lo, exec_lo, s1
	s_and_saveexec_b32 s1, s0
	s_cbranch_execz .LBB126_36
.LBB126_43:                             ;   in Loop: Header=BB126_5 Depth=1
	v_add_co_u32 v9, vcc_lo, v64, v35
	v_add_co_ci_u32_e64 v10, null, v65, v36, vcc_lo
	v_add_co_u32 v25, vcc_lo, v66, v35
	v_add_co_ci_u32_e64 v26, null, v67, v36, vcc_lo
	global_load_dwordx2 v[9:10], v[9:10], off
	global_load_dwordx2 v[25:26], v[25:26], off
	s_or_b32 exec_lo, exec_lo, s1
	s_and_saveexec_b32 s1, s0
	s_cbranch_execz .LBB126_37
.LBB126_44:                             ;   in Loop: Header=BB126_5 Depth=1
	v_add_co_u32 v11, vcc_lo, v60, v35
	v_add_co_ci_u32_e64 v12, null, v61, v36, vcc_lo
	v_add_co_u32 v27, vcc_lo, v62, v35
	v_add_co_ci_u32_e64 v28, null, v63, v36, vcc_lo
	global_load_dwordx2 v[11:12], v[11:12], off
	global_load_dwordx2 v[27:28], v[27:28], off
	s_or_b32 exec_lo, exec_lo, s1
	s_and_saveexec_b32 s1, s0
	s_cbranch_execz .LBB126_38
.LBB126_45:                             ;   in Loop: Header=BB126_5 Depth=1
	v_add_co_u32 v13, vcc_lo, v56, v35
	v_add_co_ci_u32_e64 v14, null, v57, v36, vcc_lo
	v_add_co_u32 v29, vcc_lo, v58, v35
	v_add_co_ci_u32_e64 v30, null, v59, v36, vcc_lo
	global_load_dwordx2 v[13:14], v[13:14], off
	global_load_dwordx2 v[29:30], v[29:30], off
	s_or_b32 exec_lo, exec_lo, s1
	s_and_saveexec_b32 s1, s0
	s_cbranch_execz .LBB126_39
.LBB126_46:                             ;   in Loop: Header=BB126_5 Depth=1
	v_add_co_u32 v15, vcc_lo, v52, v35
	v_add_co_ci_u32_e64 v16, null, v53, v36, vcc_lo
	v_add_co_u32 v31, vcc_lo, v54, v35
	v_add_co_ci_u32_e64 v32, null, v55, v36, vcc_lo
	global_load_dwordx2 v[15:16], v[15:16], off
	global_load_dwordx2 v[31:32], v[31:32], off
	s_or_b32 exec_lo, exec_lo, s1
	s_and_saveexec_b32 s1, s0
	s_cbranch_execz .LBB126_3
.LBB126_47:                             ;   in Loop: Header=BB126_5 Depth=1
	v_add_co_u32 v17, vcc_lo, v48, v35
	v_add_co_ci_u32_e64 v18, null, v49, v36, vcc_lo
	v_add_co_u32 v33, vcc_lo, v50, v35
	v_add_co_ci_u32_e64 v34, null, v51, v36, vcc_lo
	global_load_dwordx2 v[17:18], v[17:18], off
	global_load_dwordx2 v[33:34], v[33:34], off
	s_branch .LBB126_3
.LBB126_48:
                                        ; implicit-def: $vgpr37_vgpr38
	s_branch .LBB126_50
.LBB126_49:
	s_cbranch_execnz .LBB126_82
.LBB126_50:
	v_mov_b32_e32 v37, 0
	v_mov_b32_e32 v38, 0
	s_andn2_b32 vcc_lo, exec_lo, s7
	s_cbranch_vccnz .LBB126_82
; %bb.51:
	s_load_dword s7, s[4:5], 0x44
	v_lshlrev_b32_e32 v69, 3, v1
	v_lshlrev_b32_e32 v8, 6, v1
	v_mov_b32_e32 v67, 0
	v_mov_b32_e32 v68, 0
	v_add_co_u32 v4, s0, v69, s16
	v_add_co_ci_u32_e64 v5, null, 0, 0, s0
	s_add_u32 s0, s4, 64
	v_mul_lo_u32 v6, s11, v4
	v_mad_u64_u32 v[2:3], null, s10, v4, 0
	v_mul_lo_u32 v7, s10, v5
	s_addc_u32 s1, s5, 0
	s_waitcnt lgkmcnt(0)
	s_lshl_b32 s7, s7, 7
	v_add3_u32 v3, v3, v7, v6
	s_mul_i32 s19, s11, s7
	s_mul_hi_u32 s20, s10, s7
	s_mul_i32 s18, s10, s7
	s_add_i32 s19, s20, s19
	v_lshlrev_b64 v[6:7], 3, v[2:3]
	s_lshl_b64 s[18:19], s[18:19], 3
	s_add_u32 s20, s16, 0x7f
	s_addc_u32 s21, 0, 0
	s_lshl_b64 s[22:23], s[16:17], 3
	v_add_co_u32 v8, s22, v8, s22
	v_add_co_ci_u32_e64 v9, null, 0, s23, s22
	v_add_co_u32 v10, vcc_lo, v8, 8
	v_add_co_ci_u32_e64 v11, null, 0, v9, vcc_lo
	v_add_co_u32 v70, vcc_lo, s12, v6
	v_add_co_ci_u32_e64 v71, null, s13, v7, vcc_lo
	;; [unrolled: 2-line block ×6, first 2 shown]
	v_add_co_u32 v19, vcc_lo, v8, 40
	v_mad_u64_u32 v[39:40], null, s10, v6, s[12:13]
	v_mul_lo_u32 v7, s10, v7
	v_mul_lo_u32 v15, s11, v6
	v_mad_u64_u32 v[53:54], null, s10, v6, s[14:15]
	v_add_co_ci_u32_e64 v20, null, 0, v9, vcc_lo
	v_add_co_u32 v22, vcc_lo, v8, 48
	v_add_co_ci_u32_e64 v24, null, 0, v9, vcc_lo
	v_add_co_u32 v8, vcc_lo, v8, 56
	v_mad_u64_u32 v[35:36], null, s10, v10, s[12:13]
	v_mul_lo_u32 v11, s10, v11
	v_mul_lo_u32 v12, s11, v10
	v_mad_u64_u32 v[51:52], null, s10, v10, s[14:15]
	v_add_co_ci_u32_e64 v9, null, 0, v9, vcc_lo
	v_add_co_u32 v6, vcc_lo, v4, 7
	v_add3_u32 v40, v15, v40, v7
	v_add3_u32 v54, v15, v54, v7
	v_add_co_ci_u32_e64 v7, null, 0, v5, vcc_lo
	v_mul_lo_u32 v26, s10, v9
	v_add_co_u32 v9, vcc_lo, v4, 6
	v_add3_u32 v36, v12, v36, v11
	v_add3_u32 v52, v12, v52, v11
	v_add_co_ci_u32_e64 v12, null, 0, v5, vcc_lo
	v_mul_lo_u32 v10, s11, v6
	v_mul_lo_u32 v11, s10, v7
	v_mad_u64_u32 v[6:7], null, s10, v6, 0
	v_mad_u64_u32 v[41:42], null, s10, v13, s[12:13]
	v_mul_lo_u32 v17, s11, v13
	v_mad_u64_u32 v[49:50], null, s10, v8, s[12:13]
	v_mul_lo_u32 v27, s11, v8
	v_mad_u64_u32 v[55:56], null, s10, v13, s[14:15]
	v_mad_u64_u32 v[63:64], null, s10, v8, s[14:15]
	v_mul_lo_u32 v13, s11, v9
	v_mul_lo_u32 v12, s10, v12
	v_mad_u64_u32 v[8:9], null, s10, v9, 0
	v_add3_u32 v7, v7, v11, v10
	v_add_co_u32 v10, vcc_lo, v4, 5
	v_add_co_ci_u32_e64 v11, null, 0, v5, vcc_lo
	v_lshlrev_b64 v[6:7], 3, v[6:7]
	v_add3_u32 v9, v9, v12, v13
	v_mul_lo_u32 v12, s11, v10
	v_mul_lo_u32 v13, s10, v11
	v_mad_u64_u32 v[10:11], null, s10, v10, 0
	v_lshlrev_b64 v[8:9], 3, v[8:9]
	v_add_co_u32 v74, vcc_lo, s12, v6
	v_add_co_ci_u32_e64 v75, null, s13, v7, vcc_lo
	v_add_co_u32 v76, vcc_lo, s14, v6
	v_add_co_ci_u32_e64 v77, null, s15, v7, vcc_lo
	;; [unrolled: 2-line block ×3, first 2 shown]
	v_add3_u32 v11, v11, v13, v12
	v_add_co_u32 v12, vcc_lo, v4, 4
	v_add_co_ci_u32_e64 v13, null, 0, v5, vcc_lo
	v_add_co_u32 v80, vcc_lo, s14, v8
	v_mul_lo_u32 v14, s10, v14
	v_add_co_ci_u32_e64 v81, null, s15, v9, vcc_lo
	v_lshlrev_b64 v[6:7], 3, v[10:11]
	v_mul_lo_u32 v10, s11, v12
	v_mul_lo_u32 v11, s10, v13
	v_mad_u64_u32 v[8:9], null, s10, v12, 0
	v_add_co_u32 v12, vcc_lo, v4, 3
	v_add_co_ci_u32_e64 v13, null, 0, v5, vcc_lo
	v_add_co_u32 v82, vcc_lo, s12, v6
	v_add3_u32 v42, v17, v42, v14
	v_add3_u32 v56, v17, v56, v14
	v_add_co_ci_u32_e64 v83, null, s13, v7, vcc_lo
	v_add3_u32 v9, v9, v11, v10
	v_mul_lo_u32 v14, s11, v12
	v_mad_u64_u32 v[10:11], null, s10, v12, 0
	v_add_co_u32 v12, vcc_lo, v4, 2
	v_mul_lo_u32 v13, s10, v13
	v_add_co_ci_u32_e64 v15, null, 0, v5, vcc_lo
	v_add_co_u32 v84, vcc_lo, s14, v6
	v_lshlrev_b64 v[4:5], 3, v[8:9]
	v_add_co_ci_u32_e64 v85, null, s15, v7, vcc_lo
	v_mul_lo_u32 v8, s11, v12
	v_mul_lo_u32 v9, s10, v15
	v_mad_u64_u32 v[6:7], null, s10, v12, 0
	v_add3_u32 v11, v11, v13, v14
	v_add_co_u32 v86, vcc_lo, s12, v4
	v_add_co_ci_u32_e64 v87, null, s13, v5, vcc_lo
	v_add_co_u32 v88, vcc_lo, s14, v4
	v_add_co_ci_u32_e64 v89, null, s15, v5, vcc_lo
	v_lshlrev_b64 v[4:5], 3, v[10:11]
	v_add3_u32 v7, v7, v9, v8
	v_add_co_u32 v2, vcc_lo, v2, s10
	v_add_co_ci_u32_e64 v3, null, s11, v3, vcc_lo
	v_lshlrev_b64 v[6:7], 3, v[6:7]
	v_add_co_u32 v90, vcc_lo, s12, v4
	v_add_co_ci_u32_e64 v91, null, s13, v5, vcc_lo
	v_add_co_u32 v92, vcc_lo, s14, v4
	v_lshlrev_b64 v[3:4], 3, v[2:3]
	v_mov_b32_e32 v2, 0
	v_mad_u64_u32 v[43:44], null, s10, v16, s[12:13]
	v_mul_lo_u32 v18, s10, v18
	v_mul_lo_u32 v21, s11, v16
	v_mad_u64_u32 v[45:46], null, s10, v19, s[12:13]
	v_mul_lo_u32 v20, s10, v20
	v_mul_lo_u32 v23, s11, v19
	;; [unrolled: 3-line block ×3, first 2 shown]
	v_mad_u64_u32 v[57:58], null, s10, v16, s[14:15]
	v_mad_u64_u32 v[59:60], null, s10, v19, s[14:15]
	;; [unrolled: 1-line block ×3, first 2 shown]
	v_add_co_ci_u32_e64 v93, null, s15, v5, vcc_lo
	v_add_co_u32 v94, vcc_lo, s12, v6
	v_add_co_ci_u32_e64 v95, null, s13, v7, vcc_lo
	v_add_co_u32 v96, vcc_lo, s14, v6
	v_add_nc_u32_e32 v5, s26, v0
	v_mov_b32_e32 v6, v2
	v_add_co_ci_u32_e64 v97, null, s15, v7, vcc_lo
	v_add_co_u32 v98, vcc_lo, s12, v3
	v_add_co_ci_u32_e64 v99, null, s13, v4, vcc_lo
	v_add_co_u32 v100, vcc_lo, s14, v3
	v_lshlrev_b64 v[65:66], 3, v[5:6]
	v_add3_u32 v44, v21, v44, v18
	v_add3_u32 v46, v23, v46, v20
	;; [unrolled: 1-line block ×8, first 2 shown]
	v_add_co_ci_u32_e64 v101, null, s15, v4, vcc_lo
.LBB126_52:                             ; =>This Inner Loop Header: Depth=1
	v_cmp_ge_i64_e64 s12, s[20:21], s[8:9]
	v_add_co_u32 v102, s13, v69, s20
	v_add_co_ci_u32_e64 v103, null, 0, s21, s13
                                        ; implicit-def: $vgpr37_vgpr38
	s_and_b32 vcc_lo, exec_lo, s12
	s_mov_b32 s12, -1
	s_cbranch_vccz .LBB126_74
; %bb.53:                               ;   in Loop: Header=BB126_52 Depth=1
	s_load_dword s12, s[0:1], 0xc
	v_mov_b32_e32 v37, 0
	v_mov_b32_e32 v38, 0
	s_waitcnt lgkmcnt(0)
	s_and_b32 s12, s12, 0xffff
	v_mad_u32_u24 v3, v1, s12, v0
	s_mov_b32 s12, exec_lo
	v_and_b32_e32 v3, 31, v3
	v_cmpx_gt_u32_e32 8, v3
	s_cbranch_execz .LBB126_57
; %bb.54:                               ;   in Loop: Header=BB126_52 Depth=1
	v_add_co_u32 v3, vcc_lo, v102, v3
	v_add_co_ci_u32_e64 v4, null, 0, v103, vcc_lo
	v_mov_b32_e32 v37, 0
	v_add_co_u32 v3, vcc_lo, 0xffffff81, v3
	v_add_co_ci_u32_e64 v4, null, -1, v4, vcc_lo
	v_mov_b32_e32 v38, 0
	s_mov_b32 s13, exec_lo
	v_cmpx_gt_i64_e64 s[8:9], v[3:4]
	s_cbranch_execz .LBB126_56
; %bb.55:                               ;   in Loop: Header=BB126_52 Depth=1
	v_lshlrev_b64 v[3:4], 3, v[3:4]
	v_add_co_u32 v3, vcc_lo, s2, v3
	v_add_co_ci_u32_e64 v4, null, s3, v4, vcc_lo
	global_load_dwordx2 v[37:38], v[3:4], off
.LBB126_56:                             ;   in Loop: Header=BB126_52 Depth=1
	s_or_b32 exec_lo, exec_lo, s13
.LBB126_57:                             ;   in Loop: Header=BB126_52 Depth=1
	s_or_b32 exec_lo, exec_lo, s12
	v_add_co_u32 v18, vcc_lo, 0xffffff81, v102
	v_add_co_ci_u32_e64 v19, null, -1, v103, vcc_lo
	v_mov_b32_e32 v17, v2
	v_mov_b32_e32 v3, v2
	;; [unrolled: 1-line block ×15, first 2 shown]
	v_cmp_gt_i64_e32 vcc_lo, s[8:9], v[18:19]
	v_mov_b32_e32 v34, v17
	v_mov_b32_e32 v31, v14
	;; [unrolled: 1-line block ×32, first 2 shown]
	s_and_saveexec_b32 s12, vcc_lo
	s_cbranch_execz .LBB126_59
; %bb.58:                               ;   in Loop: Header=BB126_52 Depth=1
	v_add_co_u32 v3, vcc_lo, v70, v65
	v_add_co_ci_u32_e64 v4, null, v71, v66, vcc_lo
	v_add_co_u32 v5, vcc_lo, v72, v65
	v_add_co_ci_u32_e64 v6, null, v73, v66, vcc_lo
	global_load_dwordx2 v[3:4], v[3:4], off
	global_load_dwordx2 v[19:20], v[5:6], off
	v_mov_b32_e32 v5, v2
	v_mov_b32_e32 v6, v2
	;; [unrolled: 1-line block ×28, first 2 shown]
.LBB126_59:                             ;   in Loop: Header=BB126_52 Depth=1
	s_or_b32 exec_lo, exec_lo, s12
	v_add_co_u32 v104, vcc_lo, 0xffffff82, v102
	v_add_co_ci_u32_e64 v105, null, -1, v103, vcc_lo
	s_mov_b32 s12, exec_lo
	v_cmpx_gt_i64_e64 s[8:9], v[104:105]
	s_cbranch_execz .LBB126_61
; %bb.60:                               ;   in Loop: Header=BB126_52 Depth=1
	v_add_co_u32 v5, vcc_lo, v98, v65
	v_add_co_ci_u32_e64 v6, null, v99, v66, vcc_lo
	v_add_co_u32 v21, vcc_lo, v100, v65
	v_add_co_ci_u32_e64 v22, null, v101, v66, vcc_lo
	global_load_dwordx2 v[5:6], v[5:6], off
	global_load_dwordx2 v[21:22], v[21:22], off
.LBB126_61:                             ;   in Loop: Header=BB126_52 Depth=1
	s_or_b32 exec_lo, exec_lo, s12
	v_add_co_u32 v104, vcc_lo, 0xffffff83, v102
	v_add_co_ci_u32_e64 v105, null, -1, v103, vcc_lo
	s_mov_b32 s12, exec_lo
	v_cmpx_gt_i64_e64 s[8:9], v[104:105]
	s_cbranch_execz .LBB126_63
; %bb.62:                               ;   in Loop: Header=BB126_52 Depth=1
	v_add_co_u32 v7, vcc_lo, v94, v65
	v_add_co_ci_u32_e64 v8, null, v95, v66, vcc_lo
	v_add_co_u32 v23, vcc_lo, v96, v65
	v_add_co_ci_u32_e64 v24, null, v97, v66, vcc_lo
	global_load_dwordx2 v[7:8], v[7:8], off
	global_load_dwordx2 v[23:24], v[23:24], off
.LBB126_63:                             ;   in Loop: Header=BB126_52 Depth=1
	;; [unrolled: 14-line block ×7, first 2 shown]
	s_or_b32 exec_lo, exec_lo, s12
	s_waitcnt vmcnt(0)
	v_mul_f64 v[3:4], v[19:20], v[3:4]
	ds_bpermute_b32 v19, v2, v37
	ds_bpermute_b32 v20, v2, v38
	v_mul_f64 v[5:6], v[21:22], v[5:6]
	v_mul_f64 v[7:8], v[23:24], v[7:8]
	;; [unrolled: 1-line block ×3, first 2 shown]
	s_mov_b32 s12, 0
	s_waitcnt lgkmcnt(0)
	v_fma_f64 v[3:4], v[3:4], v[19:20], v[67:68]
	ds_bpermute_b32 v19, v2, v37 offset:4
	ds_bpermute_b32 v20, v2, v38 offset:4
	s_waitcnt lgkmcnt(0)
	v_fma_f64 v[3:4], v[5:6], v[19:20], v[3:4]
	ds_bpermute_b32 v5, v2, v37 offset:8
	ds_bpermute_b32 v6, v2, v38 offset:8
	;; [unrolled: 4-line block ×3, first 2 shown]
	v_mul_f64 v[7:8], v[27:28], v[11:12]
	s_waitcnt lgkmcnt(0)
	v_fma_f64 v[3:4], v[9:10], v[5:6], v[3:4]
	ds_bpermute_b32 v5, v2, v37 offset:16
	ds_bpermute_b32 v6, v2, v38 offset:16
	v_mul_f64 v[9:10], v[29:30], v[13:14]
	s_waitcnt lgkmcnt(0)
	v_fma_f64 v[3:4], v[7:8], v[5:6], v[3:4]
	ds_bpermute_b32 v5, v2, v37 offset:20
	ds_bpermute_b32 v6, v2, v38 offset:20
	;; [unrolled: 5-line block ×3, first 2 shown]
	s_waitcnt lgkmcnt(0)
	v_fma_f64 v[3:4], v[7:8], v[5:6], v[3:4]
	v_mul_f64 v[5:6], v[33:34], v[17:18]
	ds_bpermute_b32 v7, v2, v37 offset:28
	ds_bpermute_b32 v8, v2, v38 offset:28
	s_waitcnt lgkmcnt(0)
	v_fma_f64 v[37:38], v[5:6], v[7:8], v[3:4]
.LBB126_74:                             ;   in Loop: Header=BB126_52 Depth=1
	s_and_b32 vcc_lo, exec_lo, s12
	s_cbranch_vccz .LBB126_80
; %bb.75:                               ;   in Loop: Header=BB126_52 Depth=1
	s_load_dword s12, s[0:1], 0x0
	s_waitcnt lgkmcnt(0)
	s_cmp_lt_u32 s6, s12
	s_cselect_b32 s12, 12, 18
	s_add_u32 s12, s0, s12
	s_addc_u32 s13, s1, 0
	global_load_ushort v3, v2, s[12:13]
	s_mov_b32 s12, exec_lo
	s_waitcnt vmcnt(0)
	v_mad_u32_u24 v3, v1, v3, v0
	v_and_b32_e32 v5, 31, v3
	v_mov_b32_e32 v3, 0
	v_mov_b32_e32 v4, 0
	v_cmpx_gt_u32_e32 8, v5
	s_cbranch_execz .LBB126_79
; %bb.76:                               ;   in Loop: Header=BB126_52 Depth=1
	v_add_co_u32 v3, vcc_lo, v102, v5
	v_add_co_ci_u32_e64 v4, null, 0, v103, vcc_lo
	s_mov_b32 s13, exec_lo
	v_add_co_u32 v5, vcc_lo, 0xffffff81, v3
	v_add_co_ci_u32_e64 v6, null, -1, v4, vcc_lo
	v_mov_b32_e32 v3, 0
	v_mov_b32_e32 v4, 0
	v_cmpx_gt_i64_e64 s[8:9], v[5:6]
	s_cbranch_execz .LBB126_78
; %bb.77:                               ;   in Loop: Header=BB126_52 Depth=1
	v_lshlrev_b64 v[3:4], 3, v[5:6]
	v_add_co_u32 v3, vcc_lo, s2, v3
	v_add_co_ci_u32_e64 v4, null, s3, v4, vcc_lo
	global_load_dwordx2 v[3:4], v[3:4], off
.LBB126_78:                             ;   in Loop: Header=BB126_52 Depth=1
	s_or_b32 exec_lo, exec_lo, s13
.LBB126_79:                             ;   in Loop: Header=BB126_52 Depth=1
	s_or_b32 exec_lo, exec_lo, s12
	v_add_co_u32 v5, vcc_lo, v70, v65
	v_add_co_ci_u32_e64 v6, null, v71, v66, vcc_lo
	v_add_co_u32 v7, vcc_lo, v72, v65
	v_add_co_ci_u32_e64 v8, null, v73, v66, vcc_lo
	global_load_dwordx2 v[5:6], v[5:6], off
	global_load_dwordx2 v[7:8], v[7:8], off
	v_add_co_u32 v9, vcc_lo, v35, v65
	v_add_co_ci_u32_e64 v10, null, v36, v66, vcc_lo
	v_add_co_u32 v11, vcc_lo, v51, v65
	v_add_co_ci_u32_e64 v12, null, v52, v66, vcc_lo
	global_load_dwordx2 v[9:10], v[9:10], off
	global_load_dwordx2 v[11:12], v[11:12], off
	v_add_co_u32 v13, vcc_lo, v39, v65
	v_add_co_ci_u32_e64 v14, null, v40, v66, vcc_lo
	v_add_co_u32 v15, vcc_lo, v53, v65
	v_add_co_ci_u32_e64 v16, null, v54, v66, vcc_lo
	global_load_dwordx2 v[13:14], v[13:14], off
	global_load_dwordx2 v[15:16], v[15:16], off
	v_add_co_u32 v17, vcc_lo, v41, v65
	v_add_co_ci_u32_e64 v18, null, v42, v66, vcc_lo
	v_add_co_u32 v19, vcc_lo, v55, v65
	v_add_co_ci_u32_e64 v20, null, v56, v66, vcc_lo
	global_load_dwordx2 v[17:18], v[17:18], off
	global_load_dwordx2 v[19:20], v[19:20], off
	v_add_co_u32 v21, vcc_lo, v43, v65
	v_add_co_ci_u32_e64 v22, null, v44, v66, vcc_lo
	v_add_co_u32 v23, vcc_lo, v57, v65
	v_add_co_ci_u32_e64 v24, null, v58, v66, vcc_lo
	global_load_dwordx2 v[21:22], v[21:22], off
	global_load_dwordx2 v[23:24], v[23:24], off
	v_add_co_u32 v25, vcc_lo, v45, v65
	v_add_co_ci_u32_e64 v26, null, v46, v66, vcc_lo
	v_add_co_u32 v27, vcc_lo, v59, v65
	v_add_co_ci_u32_e64 v28, null, v60, v66, vcc_lo
	global_load_dwordx2 v[25:26], v[25:26], off
	global_load_dwordx2 v[27:28], v[27:28], off
	v_add_co_u32 v29, vcc_lo, v47, v65
	v_add_co_ci_u32_e64 v30, null, v48, v66, vcc_lo
	v_add_co_u32 v31, vcc_lo, v61, v65
	v_add_co_ci_u32_e64 v32, null, v62, v66, vcc_lo
	global_load_dwordx2 v[29:30], v[29:30], off
	global_load_dwordx2 v[31:32], v[31:32], off
	v_add_co_u32 v33, vcc_lo, v49, v65
	v_add_co_ci_u32_e64 v34, null, v50, v66, vcc_lo
	v_add_co_u32 v37, vcc_lo, v63, v65
	v_add_co_ci_u32_e64 v38, null, v64, v66, vcc_lo
	global_load_dwordx2 v[33:34], v[33:34], off
	global_load_dwordx2 v[37:38], v[37:38], off
	s_waitcnt vmcnt(14)
	v_mul_f64 v[5:6], v[5:6], v[7:8]
	ds_bpermute_b32 v7, v2, v3
	ds_bpermute_b32 v8, v2, v4
	s_waitcnt vmcnt(12)
	v_mul_f64 v[9:10], v[9:10], v[11:12]
	s_waitcnt vmcnt(10)
	v_mul_f64 v[11:12], v[13:14], v[15:16]
	s_waitcnt lgkmcnt(0)
	v_fma_f64 v[5:6], v[5:6], v[7:8], v[67:68]
	ds_bpermute_b32 v7, v2, v3 offset:4
	ds_bpermute_b32 v8, v2, v4 offset:4
	s_waitcnt lgkmcnt(0)
	v_fma_f64 v[5:6], v[9:10], v[7:8], v[5:6]
	ds_bpermute_b32 v7, v2, v3 offset:8
	ds_bpermute_b32 v8, v2, v4 offset:8
	s_waitcnt vmcnt(8)
	v_mul_f64 v[9:10], v[17:18], v[19:20]
	s_waitcnt lgkmcnt(0)
	v_fma_f64 v[5:6], v[11:12], v[7:8], v[5:6]
	ds_bpermute_b32 v7, v2, v3 offset:12
	ds_bpermute_b32 v8, v2, v4 offset:12
	s_waitcnt vmcnt(6)
	v_mul_f64 v[11:12], v[21:22], v[23:24]
	;; [unrolled: 6-line block ×4, first 2 shown]
	s_waitcnt lgkmcnt(0)
	v_fma_f64 v[5:6], v[9:10], v[7:8], v[5:6]
	ds_bpermute_b32 v7, v2, v3 offset:24
	ds_bpermute_b32 v8, v2, v4 offset:24
	;; [unrolled: 1-line block ×4, first 2 shown]
	s_waitcnt lgkmcnt(2)
	v_fma_f64 v[5:6], v[11:12], v[7:8], v[5:6]
	s_waitcnt vmcnt(0)
	v_mul_f64 v[7:8], v[33:34], v[37:38]
	s_waitcnt lgkmcnt(0)
	v_fma_f64 v[37:38], v[7:8], v[3:4], v[5:6]
.LBB126_80:                             ;   in Loop: Header=BB126_52 Depth=1
	v_add_co_u32 v70, vcc_lo, v70, s18
	v_add_co_ci_u32_e64 v71, null, s19, v71, vcc_lo
	v_add_co_u32 v72, vcc_lo, v72, s18
	v_add_co_ci_u32_e64 v73, null, s19, v73, vcc_lo
	;; [unrolled: 2-line block ×26, first 2 shown]
	v_add_co_u32 v94, vcc_lo, v94, s18
	s_add_u32 s16, s16, s7
	v_add_co_ci_u32_e64 v95, null, s19, v95, vcc_lo
	v_add_co_u32 v96, vcc_lo, v96, s18
	s_addc_u32 s17, s17, 0
	v_add_co_ci_u32_e64 v97, null, s19, v97, vcc_lo
	v_add_co_u32 v98, vcc_lo, v98, s18
	v_cmp_ge_i64_e64 s12, s[16:17], s[8:9]
	v_add_co_ci_u32_e64 v99, null, s19, v99, vcc_lo
	v_add_co_u32 v100, vcc_lo, v100, s18
	v_add_co_ci_u32_e64 v101, null, s19, v101, vcc_lo
	s_add_u32 s20, s20, s7
	s_addc_u32 s21, s21, 0
	s_and_b32 vcc_lo, exec_lo, s12
	s_cbranch_vccnz .LBB126_82
; %bb.81:                               ;   in Loop: Header=BB126_52 Depth=1
	v_mov_b32_e32 v68, v38
	v_mov_b32_e32 v67, v37
	s_branch .LBB126_52
.LBB126_82:
	v_mad_u32_u24 v3, 0x41, v1, v0
	v_mov_b32_e32 v2, 0
	s_mov_b32 s0, exec_lo
	v_lshl_add_u32 v4, v3, 3, 0
	v_sub_nc_u32_e32 v6, v3, v1
	v_mov_b32_e32 v3, v2
	ds_write_b64 v4, v[37:38]
	ds_write_b64 v4, v[2:3] offset:8320
	s_waitcnt lgkmcnt(0)
	s_barrier
	buffer_gl0_inv
	v_cmpx_gt_u32_e32 0x800, v6
	s_cbranch_execz .LBB126_92
; %bb.83:
	s_load_dwordx2 s[2:3], s[4:5], 0x30
	v_and_b32_e32 v1, 31, v0
	v_lshrrev_b32_e32 v5, 5, v6
	v_cmp_gt_u32_e32 vcc_lo, 16, v1
	v_mul_u32_u24_e32 v7, 0x41, v1
                                        ; implicit-def: $vgpr1_vgpr2
	s_and_saveexec_b32 s0, vcc_lo
	s_cbranch_execz .LBB126_85
; %bb.84:
	v_lshlrev_b32_e32 v1, 3, v5
	v_lshlrev_b32_e32 v2, 3, v7
	v_add3_u32 v1, 0, v1, v2
	ds_read_b64 v[1:2], v1
.LBB126_85:
	s_or_b32 exec_lo, exec_lo, s0
	v_mbcnt_lo_u32_b32 v11, -1, 0
	s_mov_b32 s7, 0
	s_lshl_b64 s[4:5], s[6:7], 6
	s_waitcnt lgkmcnt(0)
	s_cmp_eq_u64 s[2:3], 0
	v_xor_b32_e32 v3, 8, v11
	s_cselect_b32 s6, -1, 0
	v_cmp_gt_i32_e64 s0, 32, v3
	v_cndmask_b32_e64 v3, v11, v3, s0
	v_lshlrev_b32_e32 v8, 2, v3
	ds_bpermute_b32 v3, v8, v1
	ds_bpermute_b32 v4, v8, v2
	s_waitcnt lgkmcnt(0)
	v_add_f64 v[1:2], v[1:2], v[3:4]
	v_xor_b32_e32 v3, 4, v11
	v_cmp_gt_i32_e64 s0, 32, v3
	v_cndmask_b32_e64 v3, v11, v3, s0
	v_lshlrev_b32_e32 v9, 2, v3
	ds_bpermute_b32 v3, v9, v1
	ds_bpermute_b32 v4, v9, v2
	s_waitcnt lgkmcnt(0)
	v_add_f64 v[1:2], v[1:2], v[3:4]
	v_xor_b32_e32 v3, 2, v11
	;; [unrolled: 8-line block ×3, first 2 shown]
	v_cmp_gt_i32_e64 s0, 32, v3
	v_cndmask_b32_e64 v3, v11, v3, s0
	v_cmp_ne_u32_e64 s0, 0, v0
	v_lshlrev_b32_e32 v11, 2, v3
	ds_bpermute_b32 v3, v11, v1
	ds_bpermute_b32 v4, v11, v2
	s_waitcnt lgkmcnt(0)
	v_add_f64 v[1:2], v[1:2], v[3:4]
	v_or_b32_e32 v3, s4, v5
	v_mov_b32_e32 v4, s5
	v_cmp_le_i64_e64 s1, s[10:11], v[3:4]
	s_or_b32 s1, s0, s1
	s_nor_b32 s1, s6, s1
	s_and_saveexec_b32 s7, s1
	s_cbranch_execz .LBB126_87
; %bb.86:
	v_lshlrev_b64 v[3:4], 3, v[3:4]
	v_add_co_u32 v3, s1, s2, v3
	v_add_co_ci_u32_e64 v4, null, s3, v4, s1
	global_store_dwordx2 v[3:4], v[1:2], off
.LBB126_87:
	s_or_b32 exec_lo, exec_lo, s7
	v_cmp_gt_u32_e64 s1, 0x400, v6
	s_and_b32 exec_lo, exec_lo, s1
	s_cbranch_execz .LBB126_92
; %bb.88:
	s_and_saveexec_b32 s1, vcc_lo
	s_cbranch_execz .LBB126_90
; %bb.89:
	v_lshlrev_b32_e32 v0, 3, v5
	v_lshlrev_b32_e32 v1, 3, v7
	v_add3_u32 v0, 0, v0, v1
	ds_read_b64 v[1:2], v0 offset:256
.LBB126_90:
	s_or_b32 exec_lo, exec_lo, s1
	s_waitcnt lgkmcnt(0)
	ds_bpermute_b32 v3, v8, v1
	ds_bpermute_b32 v4, v8, v2
	v_mov_b32_e32 v7, s5
	s_waitcnt lgkmcnt(0)
	v_add_f64 v[0:1], v[1:2], v[3:4]
	v_add_nc_u32_e32 v4, 32, v5
	v_or_b32_e32 v6, s4, v4
	v_cmp_le_i64_e32 vcc_lo, s[10:11], v[6:7]
	s_or_b32 s0, s0, vcc_lo
	s_nor_b32 s0, s6, s0
	ds_bpermute_b32 v2, v9, v0
	ds_bpermute_b32 v3, v9, v1
	s_waitcnt lgkmcnt(0)
	v_add_f64 v[0:1], v[0:1], v[2:3]
	ds_bpermute_b32 v2, v10, v0
	ds_bpermute_b32 v3, v10, v1
	s_waitcnt lgkmcnt(0)
	v_add_f64 v[0:1], v[0:1], v[2:3]
	ds_bpermute_b32 v2, v11, v0
	ds_bpermute_b32 v3, v11, v1
	s_and_saveexec_b32 s1, s0
	s_xor_b32 s1, exec_lo, s1
	s_cbranch_execz .LBB126_92
; %bb.91:
	s_waitcnt lgkmcnt(0)
	v_add_f64 v[0:1], v[0:1], v[2:3]
	v_add_co_u32 v2, s0, s4, v5
	v_add_co_ci_u32_e64 v3, null, s5, 0, s0
	v_lshlrev_b64 v[2:3], 3, v[2:3]
	v_add_co_u32 v2, vcc_lo, s2, v2
	v_add_co_ci_u32_e64 v3, null, s3, v3, vcc_lo
	global_store_dwordx2 v[2:3], v[0:1], off offset:256
.LBB126_92:
	s_endpgm
	.section	.rodata,"a",@progbits
	.p2align	6, 0x0
	.amdhsa_kernel _ZN2at6native12_GLOBAL__N_135GammaBetaBackwardCUDAKernelTemplateIddLj64ELj16ELj128ELb0ELb0ELb1EEEvllPKT_S5_PKT0_S8_PS3_S9_
		.amdhsa_group_segment_fixed_size 0
		.amdhsa_private_segment_fixed_size 0
		.amdhsa_kernarg_size 320
		.amdhsa_user_sgpr_count 6
		.amdhsa_user_sgpr_private_segment_buffer 1
		.amdhsa_user_sgpr_dispatch_ptr 0
		.amdhsa_user_sgpr_queue_ptr 0
		.amdhsa_user_sgpr_kernarg_segment_ptr 1
		.amdhsa_user_sgpr_dispatch_id 0
		.amdhsa_user_sgpr_flat_scratch_init 0
		.amdhsa_user_sgpr_private_segment_size 0
		.amdhsa_wavefront_size32 1
		.amdhsa_uses_dynamic_stack 0
		.amdhsa_system_sgpr_private_segment_wavefront_offset 0
		.amdhsa_system_sgpr_workgroup_id_x 1
		.amdhsa_system_sgpr_workgroup_id_y 1
		.amdhsa_system_sgpr_workgroup_id_z 0
		.amdhsa_system_sgpr_workgroup_info 0
		.amdhsa_system_vgpr_workitem_id 1
		.amdhsa_next_free_vgpr 106
		.amdhsa_next_free_sgpr 30
		.amdhsa_reserve_vcc 1
		.amdhsa_reserve_flat_scratch 0
		.amdhsa_float_round_mode_32 0
		.amdhsa_float_round_mode_16_64 0
		.amdhsa_float_denorm_mode_32 3
		.amdhsa_float_denorm_mode_16_64 3
		.amdhsa_dx10_clamp 1
		.amdhsa_ieee_mode 1
		.amdhsa_fp16_overflow 0
		.amdhsa_workgroup_processor_mode 1
		.amdhsa_memory_ordered 1
		.amdhsa_forward_progress 1
		.amdhsa_shared_vgpr_count 0
		.amdhsa_exception_fp_ieee_invalid_op 0
		.amdhsa_exception_fp_denorm_src 0
		.amdhsa_exception_fp_ieee_div_zero 0
		.amdhsa_exception_fp_ieee_overflow 0
		.amdhsa_exception_fp_ieee_underflow 0
		.amdhsa_exception_fp_ieee_inexact 0
		.amdhsa_exception_int_div_zero 0
	.end_amdhsa_kernel
	.section	.text._ZN2at6native12_GLOBAL__N_135GammaBetaBackwardCUDAKernelTemplateIddLj64ELj16ELj128ELb0ELb0ELb1EEEvllPKT_S5_PKT0_S8_PS3_S9_,"axG",@progbits,_ZN2at6native12_GLOBAL__N_135GammaBetaBackwardCUDAKernelTemplateIddLj64ELj16ELj128ELb0ELb0ELb1EEEvllPKT_S5_PKT0_S8_PS3_S9_,comdat
.Lfunc_end126:
	.size	_ZN2at6native12_GLOBAL__N_135GammaBetaBackwardCUDAKernelTemplateIddLj64ELj16ELj128ELb0ELb0ELb1EEEvllPKT_S5_PKT0_S8_PS3_S9_, .Lfunc_end126-_ZN2at6native12_GLOBAL__N_135GammaBetaBackwardCUDAKernelTemplateIddLj64ELj16ELj128ELb0ELb0ELb1EEEvllPKT_S5_PKT0_S8_PS3_S9_
                                        ; -- End function
	.set _ZN2at6native12_GLOBAL__N_135GammaBetaBackwardCUDAKernelTemplateIddLj64ELj16ELj128ELb0ELb0ELb1EEEvllPKT_S5_PKT0_S8_PS3_S9_.num_vgpr, 106
	.set _ZN2at6native12_GLOBAL__N_135GammaBetaBackwardCUDAKernelTemplateIddLj64ELj16ELj128ELb0ELb0ELb1EEEvllPKT_S5_PKT0_S8_PS3_S9_.num_agpr, 0
	.set _ZN2at6native12_GLOBAL__N_135GammaBetaBackwardCUDAKernelTemplateIddLj64ELj16ELj128ELb0ELb0ELb1EEEvllPKT_S5_PKT0_S8_PS3_S9_.numbered_sgpr, 30
	.set _ZN2at6native12_GLOBAL__N_135GammaBetaBackwardCUDAKernelTemplateIddLj64ELj16ELj128ELb0ELb0ELb1EEEvllPKT_S5_PKT0_S8_PS3_S9_.num_named_barrier, 0
	.set _ZN2at6native12_GLOBAL__N_135GammaBetaBackwardCUDAKernelTemplateIddLj64ELj16ELj128ELb0ELb0ELb1EEEvllPKT_S5_PKT0_S8_PS3_S9_.private_seg_size, 0
	.set _ZN2at6native12_GLOBAL__N_135GammaBetaBackwardCUDAKernelTemplateIddLj64ELj16ELj128ELb0ELb0ELb1EEEvllPKT_S5_PKT0_S8_PS3_S9_.uses_vcc, 1
	.set _ZN2at6native12_GLOBAL__N_135GammaBetaBackwardCUDAKernelTemplateIddLj64ELj16ELj128ELb0ELb0ELb1EEEvllPKT_S5_PKT0_S8_PS3_S9_.uses_flat_scratch, 0
	.set _ZN2at6native12_GLOBAL__N_135GammaBetaBackwardCUDAKernelTemplateIddLj64ELj16ELj128ELb0ELb0ELb1EEEvllPKT_S5_PKT0_S8_PS3_S9_.has_dyn_sized_stack, 0
	.set _ZN2at6native12_GLOBAL__N_135GammaBetaBackwardCUDAKernelTemplateIddLj64ELj16ELj128ELb0ELb0ELb1EEEvllPKT_S5_PKT0_S8_PS3_S9_.has_recursion, 0
	.set _ZN2at6native12_GLOBAL__N_135GammaBetaBackwardCUDAKernelTemplateIddLj64ELj16ELj128ELb0ELb0ELb1EEEvllPKT_S5_PKT0_S8_PS3_S9_.has_indirect_call, 0
	.section	.AMDGPU.csdata,"",@progbits
; Kernel info:
; codeLenInByte = 8836
; TotalNumSgprs: 32
; NumVgprs: 106
; ScratchSize: 0
; MemoryBound: 1
; FloatMode: 240
; IeeeMode: 1
; LDSByteSize: 0 bytes/workgroup (compile time only)
; SGPRBlocks: 0
; VGPRBlocks: 13
; NumSGPRsForWavesPerEU: 32
; NumVGPRsForWavesPerEU: 106
; Occupancy: 9
; WaveLimiterHint : 0
; COMPUTE_PGM_RSRC2:SCRATCH_EN: 0
; COMPUTE_PGM_RSRC2:USER_SGPR: 6
; COMPUTE_PGM_RSRC2:TRAP_HANDLER: 0
; COMPUTE_PGM_RSRC2:TGID_X_EN: 1
; COMPUTE_PGM_RSRC2:TGID_Y_EN: 1
; COMPUTE_PGM_RSRC2:TGID_Z_EN: 0
; COMPUTE_PGM_RSRC2:TIDIG_COMP_CNT: 1
	.section	.text._ZN2at6native12_GLOBAL__N_135GammaBetaBackwardCUDAKernelTemplateIddLj64ELj16ELj256ELb0ELb1ELb1EEEvllPKT_S5_PKT0_S8_PS3_S9_,"axG",@progbits,_ZN2at6native12_GLOBAL__N_135GammaBetaBackwardCUDAKernelTemplateIddLj64ELj16ELj256ELb0ELb1ELb1EEEvllPKT_S5_PKT0_S8_PS3_S9_,comdat
	.globl	_ZN2at6native12_GLOBAL__N_135GammaBetaBackwardCUDAKernelTemplateIddLj64ELj16ELj256ELb0ELb1ELb1EEEvllPKT_S5_PKT0_S8_PS3_S9_ ; -- Begin function _ZN2at6native12_GLOBAL__N_135GammaBetaBackwardCUDAKernelTemplateIddLj64ELj16ELj256ELb0ELb1ELb1EEEvllPKT_S5_PKT0_S8_PS3_S9_
	.p2align	8
	.type	_ZN2at6native12_GLOBAL__N_135GammaBetaBackwardCUDAKernelTemplateIddLj64ELj16ELj256ELb0ELb1ELb1EEEvllPKT_S5_PKT0_S8_PS3_S9_,@function
_ZN2at6native12_GLOBAL__N_135GammaBetaBackwardCUDAKernelTemplateIddLj64ELj16ELj256ELb0ELb1ELb1EEEvllPKT_S5_PKT0_S8_PS3_S9_: ; @_ZN2at6native12_GLOBAL__N_135GammaBetaBackwardCUDAKernelTemplateIddLj64ELj16ELj256ELb0ELb1ELb1EEEvllPKT_S5_PKT0_S8_PS3_S9_
; %bb.0:
	s_load_dwordx4 s[8:11], s[4:5], 0x0
	s_lshl_b32 s16, s7, 8
	s_mov_b32 s17, 0
	s_waitcnt lgkmcnt(0)
	v_cmp_gt_i64_e64 s0, s[8:9], s[16:17]
	s_and_b32 vcc_lo, exec_lo, s0
	s_cbranch_vccnz .LBB127_2
; %bb.1:
	s_mov_b32 s0, s17
	s_branch .LBB127_3
.LBB127_2:
	s_mov_b32 s0, -1
.LBB127_3:
	s_load_dwordx2 s[2:3], s[4:5], 0x30
	v_mov_b32_e32 v10, 0
	v_mov_b32_e32 v11, 0
	s_andn2_b32 vcc_lo, exec_lo, s0
	s_cbranch_vccnz .LBB127_10
; %bb.4:
	s_clause 0x3
	s_load_dword s0, s[4:5], 0x4c
	s_load_dword s1, s[4:5], 0x44
	s_load_dwordx4 s[12:15], s[4:5], 0x10
	s_load_dwordx2 s[18:19], s[4:5], 0x28
	v_lshlrev_b32_e32 v4, 4, v1
	v_mov_b32_e32 v3, 0
	v_lshl_add_u32 v2, s6, 6, v0
	v_mov_b32_e32 v12, 16
	v_mov_b32_e32 v13, 4
	;; [unrolled: 1-line block ×4, first 2 shown]
	v_lshlrev_b64 v[27:28], 3, v[2:3]
	v_mov_b32_e32 v16, 20
	v_mov_b32_e32 v17, 24
	;; [unrolled: 1-line block ×8, first 2 shown]
	s_waitcnt lgkmcnt(0)
	s_and_b32 s0, s0, 0xffff
	s_lshl_b32 s4, s1, 8
	v_mad_u32_u24 v5, v1, s0, v0
	v_add_co_u32 v4, s0, v4, s16
	v_add_co_ci_u32_e64 v8, null, 0, 0, s0
	v_and_b32_e32 v5, 31, v5
	v_mul_lo_u32 v9, s11, v4
	v_mad_u64_u32 v[6:7], null, s10, v4, 0
	v_mul_lo_u32 v10, s10, v8
	v_add_co_u32 v4, vcc_lo, v4, v5
	v_cmp_gt_u32_e64 s0, 16, v5
	v_add_co_ci_u32_e64 v5, null, 0, v8, vcc_lo
	s_mul_i32 s1, s11, s4
	s_mul_hi_u32 s7, s10, s4
	v_add3_u32 v7, v7, v10, v9
	v_lshlrev_b64 v[8:9], 3, v[4:5]
	v_mov_b32_e32 v24, 52
	v_mov_b32_e32 v25, 56
	;; [unrolled: 1-line block ×3, first 2 shown]
	v_lshlrev_b64 v[10:11], 3, v[6:7]
	s_mov_b32 s5, 0
	v_add_co_u32 v6, vcc_lo, s18, v8
	v_add_co_ci_u32_e64 v7, null, s19, v9, vcc_lo
	v_add_co_u32 v2, vcc_lo, v10, v27
	v_add_co_ci_u32_e64 v27, null, v11, v28, vcc_lo
	v_mov_b32_e32 v10, 0
	v_mov_b32_e32 v11, 0
	s_add_i32 s21, s7, s1
	s_mul_i32 s20, s10, s4
	s_lshl_b64 s[18:19], s[4:5], 3
	s_lshl_b64 s[20:21], s[20:21], 3
	s_lshl_b64 s[10:11], s[10:11], 3
	s_branch .LBB127_7
.LBB127_5:                              ;   in Loop: Header=BB127_7 Depth=1
	s_or_b32 exec_lo, exec_lo, s5
.LBB127_6:                              ;   in Loop: Header=BB127_7 Depth=1
	s_or_b32 exec_lo, exec_lo, s1
	v_add_co_u32 v28, vcc_lo, s12, v2
	v_add_co_ci_u32_e64 v29, null, s13, v27, vcc_lo
	v_add_co_u32 v30, vcc_lo, s14, v2
	v_add_co_ci_u32_e64 v31, null, s15, v27, vcc_lo
	global_load_dwordx2 v[32:33], v[28:29], off
	global_load_dwordx2 v[34:35], v[30:31], off
	v_add_co_u32 v28, vcc_lo, v28, s10
	v_add_co_ci_u32_e64 v29, null, s11, v29, vcc_lo
	v_add_co_u32 v30, vcc_lo, v30, s10
	v_add_co_ci_u32_e64 v31, null, s11, v31, vcc_lo
	global_load_dwordx2 v[36:37], v[28:29], off
	global_load_dwordx2 v[38:39], v[30:31], off
	;; [unrolled: 6-line block ×6, first 2 shown]
	v_add_co_u32 v28, vcc_lo, v28, s10
	v_add_co_ci_u32_e64 v29, null, s11, v29, vcc_lo
	v_add_co_u32 v30, vcc_lo, v30, s10
	v_add_co_ci_u32_e64 v31, null, s11, v31, vcc_lo
	global_load_dwordx2 v[58:59], v[28:29], off
	v_add_co_u32 v28, vcc_lo, v28, s10
	v_add_co_ci_u32_e64 v29, null, s11, v29, vcc_lo
	s_waitcnt vmcnt(13)
	ds_bpermute_b32 v56, v3, v8
	ds_bpermute_b32 v57, v3, v9
	s_add_u32 s16, s16, s4
	s_addc_u32 s17, s17, 0
	v_cmp_lt_i64_e64 s1, s[16:17], s[8:9]
	s_waitcnt vmcnt(11)
	v_mul_f64 v[32:33], v[32:33], v[34:35]
	v_add_co_u32 v34, vcc_lo, v30, s10
	v_add_co_ci_u32_e64 v35, null, s11, v31, vcc_lo
	global_load_dwordx2 v[30:31], v[30:31], off
	s_waitcnt vmcnt(10)
	v_mul_f64 v[36:37], v[36:37], v[38:39]
	ds_bpermute_b32 v38, v13, v8
	ds_bpermute_b32 v39, v13, v9
	s_waitcnt vmcnt(8)
	v_mul_f64 v[40:41], v[40:41], v[42:43]
	s_waitcnt lgkmcnt(2)
	v_fma_f64 v[10:11], v[32:33], v[56:57], v[10:11]
	global_load_dwordx2 v[32:33], v[28:29], off
	global_load_dwordx2 v[56:57], v[34:35], off
	v_add_co_u32 v28, vcc_lo, v28, s10
	v_add_co_ci_u32_e64 v29, null, s11, v29, vcc_lo
	v_add_co_u32 v34, vcc_lo, v34, s10
	v_add_co_ci_u32_e64 v35, null, s11, v35, vcc_lo
	ds_bpermute_b32 v42, v14, v8
	ds_bpermute_b32 v43, v14, v9
	s_waitcnt vmcnt(8)
	v_mul_f64 v[44:45], v[44:45], v[46:47]
	ds_bpermute_b32 v46, v15, v8
	ds_bpermute_b32 v47, v15, v9
	s_waitcnt vmcnt(6)
	v_mul_f64 v[48:49], v[48:49], v[50:51]
	s_waitcnt lgkmcnt(4)
	v_fma_f64 v[10:11], v[36:37], v[38:39], v[10:11]
	global_load_dwordx2 v[36:37], v[28:29], off
	v_add_co_u32 v28, vcc_lo, v28, s10
	v_add_co_ci_u32_e64 v29, null, s11, v29, vcc_lo
	v_add_co_u32 v38, vcc_lo, v34, s10
	v_add_co_ci_u32_e64 v39, null, s11, v35, vcc_lo
	global_load_dwordx2 v[34:35], v[34:35], off
	ds_bpermute_b32 v50, v12, v8
	ds_bpermute_b32 v51, v12, v9
	s_waitcnt vmcnt(6)
	v_mul_f64 v[52:53], v[52:53], v[54:55]
	ds_bpermute_b32 v54, v16, v8
	ds_bpermute_b32 v55, v16, v9
	s_waitcnt lgkmcnt(6)
	v_fma_f64 v[10:11], v[40:41], v[42:43], v[10:11]
	global_load_dwordx2 v[40:41], v[28:29], off
	v_add_co_u32 v28, vcc_lo, v28, s10
	v_add_co_ci_u32_e64 v29, null, s11, v29, vcc_lo
	v_add_co_u32 v42, vcc_lo, v38, s10
	v_add_co_ci_u32_e64 v43, null, s11, v39, vcc_lo
	global_load_dwordx2 v[38:39], v[38:39], off
	s_waitcnt lgkmcnt(4)
	v_fma_f64 v[10:11], v[44:45], v[46:47], v[10:11]
	global_load_dwordx2 v[44:45], v[28:29], off
	v_add_co_u32 v28, vcc_lo, v28, s10
	v_add_co_ci_u32_e64 v29, null, s11, v29, vcc_lo
	v_add_co_u32 v46, vcc_lo, v42, s10
	v_add_co_ci_u32_e64 v47, null, s11, v43, vcc_lo
	global_load_dwordx2 v[42:43], v[42:43], off
	;; [unrolled: 8-line block ×4, first 2 shown]
	s_waitcnt vmcnt(12)
	v_mul_f64 v[30:31], v[58:59], v[30:31]
	ds_bpermute_b32 v58, v17, v8
	ds_bpermute_b32 v59, v17, v9
	s_waitcnt vmcnt(10)
	v_mul_f64 v[32:33], v[32:33], v[56:57]
	ds_bpermute_b32 v56, v18, v8
	s_waitcnt lgkmcnt(1)
	v_fma_f64 v[10:11], v[30:31], v[58:59], v[10:11]
	global_load_dwordx2 v[30:31], v[28:29], off
	v_add_co_u32 v28, vcc_lo, v28, s10
	ds_bpermute_b32 v57, v18, v9
	v_add_co_ci_u32_e64 v29, null, s11, v29, vcc_lo
	v_add_co_u32 v58, vcc_lo, v54, s10
	v_add_co_ci_u32_e64 v59, null, s11, v55, vcc_lo
	global_load_dwordx2 v[54:55], v[54:55], off
	s_waitcnt lgkmcnt(0)
	v_fma_f64 v[10:11], v[32:33], v[56:57], v[10:11]
	global_load_dwordx2 v[32:33], v[28:29], off
	v_add_co_u32 v28, vcc_lo, v28, s10
	v_add_co_ci_u32_e64 v29, null, s11, v29, vcc_lo
	v_add_co_u32 v56, vcc_lo, v58, s10
	v_add_co_ci_u32_e64 v57, null, s11, v59, vcc_lo
	global_load_dwordx2 v[58:59], v[58:59], off
	global_load_dwordx2 v[28:29], v[28:29], off
	;; [unrolled: 1-line block ×3, first 2 shown]
	s_waitcnt vmcnt(14)
	v_mul_f64 v[34:35], v[36:37], v[34:35]
	ds_bpermute_b32 v36, v19, v8
	ds_bpermute_b32 v37, v19, v9
	v_add_co_u32 v6, vcc_lo, v6, s18
	v_add_co_ci_u32_e64 v7, null, s19, v7, vcc_lo
	v_add_co_u32 v4, vcc_lo, v4, s4
	v_add_co_ci_u32_e64 v5, null, 0, v5, vcc_lo
	;; [unrolled: 2-line block ×3, first 2 shown]
	s_waitcnt vmcnt(12)
	v_mul_f64 v[38:39], v[40:41], v[38:39]
	s_and_b32 vcc_lo, exec_lo, s1
	s_waitcnt lgkmcnt(0)
	v_fma_f64 v[10:11], v[34:35], v[36:37], v[10:11]
	ds_bpermute_b32 v34, v20, v8
	ds_bpermute_b32 v35, v20, v9
	s_waitcnt vmcnt(10)
	v_mul_f64 v[36:37], v[44:45], v[42:43]
	s_waitcnt lgkmcnt(0)
	v_fma_f64 v[10:11], v[38:39], v[34:35], v[10:11]
	ds_bpermute_b32 v34, v21, v8
	ds_bpermute_b32 v35, v21, v9
	s_waitcnt vmcnt(8)
	v_mul_f64 v[38:39], v[48:49], v[46:47]
	;; [unrolled: 6-line block ×3, first 2 shown]
	s_waitcnt lgkmcnt(0)
	v_fma_f64 v[10:11], v[38:39], v[34:35], v[10:11]
	ds_bpermute_b32 v34, v23, v8
	ds_bpermute_b32 v35, v23, v9
	s_waitcnt lgkmcnt(0)
	v_fma_f64 v[10:11], v[36:37], v[34:35], v[10:11]
	ds_bpermute_b32 v34, v24, v8
	ds_bpermute_b32 v35, v24, v9
	s_waitcnt vmcnt(4)
	v_mul_f64 v[30:31], v[30:31], v[54:55]
	s_waitcnt lgkmcnt(0)
	v_fma_f64 v[10:11], v[30:31], v[34:35], v[10:11]
	s_waitcnt vmcnt(2)
	v_mul_f64 v[32:33], v[32:33], v[58:59]
	ds_bpermute_b32 v30, v25, v8
	ds_bpermute_b32 v31, v25, v9
	s_waitcnt vmcnt(0)
	v_mul_f64 v[28:29], v[28:29], v[56:57]
	ds_bpermute_b32 v8, v26, v8
	ds_bpermute_b32 v9, v26, v9
	s_waitcnt lgkmcnt(2)
	v_fma_f64 v[10:11], v[32:33], v[30:31], v[10:11]
	s_waitcnt lgkmcnt(0)
	v_fma_f64 v[10:11], v[28:29], v[8:9], v[10:11]
	s_cbranch_vccz .LBB127_10
.LBB127_7:                              ; =>This Inner Loop Header: Depth=1
	v_mov_b32_e32 v8, 0
	v_mov_b32_e32 v9, 0
	s_and_saveexec_b32 s1, s0
	s_cbranch_execz .LBB127_6
; %bb.8:                                ;   in Loop: Header=BB127_7 Depth=1
	v_mov_b32_e32 v8, 0
	v_mov_b32_e32 v9, 0
	s_mov_b32 s5, exec_lo
	v_cmpx_gt_i64_e64 s[8:9], v[4:5]
	s_cbranch_execz .LBB127_5
; %bb.9:                                ;   in Loop: Header=BB127_7 Depth=1
	global_load_dwordx2 v[8:9], v[6:7], off
	s_branch .LBB127_5
.LBB127_10:
	v_mad_u32_u24 v2, 0x41, v1, v0
	v_mov_b32_e32 v4, 0
	s_mov_b32 s0, exec_lo
	v_lshl_add_u32 v6, v2, 3, 0
	v_sub_nc_u32_e32 v3, v2, v1
	v_mov_b32_e32 v5, v4
	ds_write_b64 v6, v[10:11]
	ds_write_b64 v6, v[4:5] offset:8320
	s_waitcnt lgkmcnt(0)
	s_barrier
	buffer_gl0_inv
	v_cmpx_gt_u32_e32 0x800, v3
	s_cbranch_execz .LBB127_20
; %bb.11:
	v_and_b32_e32 v1, 31, v0
	v_lshrrev_b32_e32 v2, 5, v3
	v_cmp_gt_u32_e32 vcc_lo, 16, v1
	v_mul_u32_u24_e32 v5, 0x41, v1
	v_lshlrev_b32_e32 v4, 3, v2
                                        ; implicit-def: $vgpr1_vgpr2
	s_and_saveexec_b32 s0, vcc_lo
; %bb.12:
	v_lshlrev_b32_e32 v1, 3, v5
	v_add3_u32 v1, 0, v4, v1
	ds_read_b64 v[1:2], v1
; %bb.13:
	s_or_b32 exec_lo, exec_lo, s0
	v_mbcnt_lo_u32_b32 v11, -1, 0
	s_cmp_lg_u64 s[2:3], 0
	s_mov_b32 s7, 0
	s_cselect_b32 s1, -1, 0
	s_lshl_b64 s[4:5], s[6:7], 9
	v_xor_b32_e32 v6, 8, v11
	v_cmp_gt_i32_e64 s0, 32, v6
	v_cndmask_b32_e64 v6, v11, v6, s0
	v_lshlrev_b32_e32 v6, 2, v6
	s_waitcnt lgkmcnt(0)
	ds_bpermute_b32 v7, v6, v1
	ds_bpermute_b32 v8, v6, v2
	s_waitcnt lgkmcnt(0)
	v_add_f64 v[1:2], v[1:2], v[7:8]
	v_xor_b32_e32 v7, 4, v11
	v_cmp_gt_i32_e64 s0, 32, v7
	v_cndmask_b32_e64 v7, v11, v7, s0
	v_lshlrev_b32_e32 v7, 2, v7
	ds_bpermute_b32 v8, v7, v1
	ds_bpermute_b32 v9, v7, v2
	s_waitcnt lgkmcnt(0)
	v_add_f64 v[1:2], v[1:2], v[8:9]
	v_xor_b32_e32 v8, 2, v11
	v_cmp_gt_i32_e64 s0, 32, v8
	v_cndmask_b32_e64 v8, v11, v8, s0
	v_lshlrev_b32_e32 v8, 2, v8
	ds_bpermute_b32 v9, v8, v1
	ds_bpermute_b32 v10, v8, v2
	s_waitcnt lgkmcnt(0)
	v_add_f64 v[1:2], v[1:2], v[9:10]
	v_xor_b32_e32 v9, 1, v11
	v_cmp_gt_i32_e64 s0, 32, v9
	v_cndmask_b32_e64 v9, v11, v9, s0
	v_cmp_eq_u32_e64 s0, 0, v0
	v_lshlrev_b32_e32 v9, 2, v9
	s_and_b32 s1, s0, s1
	s_add_u32 s2, s2, s4
	s_addc_u32 s3, s3, s5
	ds_bpermute_b32 v10, v9, v1
	ds_bpermute_b32 v11, v9, v2
	s_waitcnt lgkmcnt(0)
	v_add_f64 v[1:2], v[1:2], v[10:11]
	s_and_saveexec_b32 s0, s1
	s_cbranch_execz .LBB127_15
; %bb.14:
	global_store_dwordx2 v4, v[1:2], s[2:3]
.LBB127_15:
	s_or_b32 exec_lo, exec_lo, s0
	v_cmp_gt_u32_e64 s0, 0x400, v3
	s_and_b32 exec_lo, exec_lo, s0
	s_cbranch_execz .LBB127_20
; %bb.16:
	s_and_saveexec_b32 s0, vcc_lo
; %bb.17:
	v_lshlrev_b32_e32 v0, 3, v5
	v_add3_u32 v0, 0, v4, v0
	ds_read_b64 v[1:2], v0 offset:256
; %bb.18:
	s_or_b32 exec_lo, exec_lo, s0
	s_waitcnt lgkmcnt(0)
	ds_bpermute_b32 v5, v6, v1
	ds_bpermute_b32 v6, v6, v2
	s_waitcnt lgkmcnt(0)
	v_add_f64 v[0:1], v[1:2], v[5:6]
	ds_bpermute_b32 v2, v7, v0
	ds_bpermute_b32 v3, v7, v1
	s_waitcnt lgkmcnt(0)
	v_add_f64 v[0:1], v[0:1], v[2:3]
	;; [unrolled: 4-line block ×3, first 2 shown]
	ds_bpermute_b32 v2, v9, v0
	ds_bpermute_b32 v3, v9, v1
	s_and_saveexec_b32 s0, s1
	s_xor_b32 s0, exec_lo, s0
	s_cbranch_execz .LBB127_20
; %bb.19:
	s_waitcnt lgkmcnt(0)
	v_add_f64 v[0:1], v[0:1], v[2:3]
	global_store_dwordx2 v4, v[0:1], s[2:3] offset:256
.LBB127_20:
	s_endpgm
	.section	.rodata,"a",@progbits
	.p2align	6, 0x0
	.amdhsa_kernel _ZN2at6native12_GLOBAL__N_135GammaBetaBackwardCUDAKernelTemplateIddLj64ELj16ELj256ELb0ELb1ELb1EEEvllPKT_S5_PKT0_S8_PS3_S9_
		.amdhsa_group_segment_fixed_size 0
		.amdhsa_private_segment_fixed_size 0
		.amdhsa_kernarg_size 320
		.amdhsa_user_sgpr_count 6
		.amdhsa_user_sgpr_private_segment_buffer 1
		.amdhsa_user_sgpr_dispatch_ptr 0
		.amdhsa_user_sgpr_queue_ptr 0
		.amdhsa_user_sgpr_kernarg_segment_ptr 1
		.amdhsa_user_sgpr_dispatch_id 0
		.amdhsa_user_sgpr_flat_scratch_init 0
		.amdhsa_user_sgpr_private_segment_size 0
		.amdhsa_wavefront_size32 1
		.amdhsa_uses_dynamic_stack 0
		.amdhsa_system_sgpr_private_segment_wavefront_offset 0
		.amdhsa_system_sgpr_workgroup_id_x 1
		.amdhsa_system_sgpr_workgroup_id_y 1
		.amdhsa_system_sgpr_workgroup_id_z 0
		.amdhsa_system_sgpr_workgroup_info 0
		.amdhsa_system_vgpr_workitem_id 1
		.amdhsa_next_free_vgpr 60
		.amdhsa_next_free_sgpr 22
		.amdhsa_reserve_vcc 1
		.amdhsa_reserve_flat_scratch 0
		.amdhsa_float_round_mode_32 0
		.amdhsa_float_round_mode_16_64 0
		.amdhsa_float_denorm_mode_32 3
		.amdhsa_float_denorm_mode_16_64 3
		.amdhsa_dx10_clamp 1
		.amdhsa_ieee_mode 1
		.amdhsa_fp16_overflow 0
		.amdhsa_workgroup_processor_mode 1
		.amdhsa_memory_ordered 1
		.amdhsa_forward_progress 1
		.amdhsa_shared_vgpr_count 0
		.amdhsa_exception_fp_ieee_invalid_op 0
		.amdhsa_exception_fp_denorm_src 0
		.amdhsa_exception_fp_ieee_div_zero 0
		.amdhsa_exception_fp_ieee_overflow 0
		.amdhsa_exception_fp_ieee_underflow 0
		.amdhsa_exception_fp_ieee_inexact 0
		.amdhsa_exception_int_div_zero 0
	.end_amdhsa_kernel
	.section	.text._ZN2at6native12_GLOBAL__N_135GammaBetaBackwardCUDAKernelTemplateIddLj64ELj16ELj256ELb0ELb1ELb1EEEvllPKT_S5_PKT0_S8_PS3_S9_,"axG",@progbits,_ZN2at6native12_GLOBAL__N_135GammaBetaBackwardCUDAKernelTemplateIddLj64ELj16ELj256ELb0ELb1ELb1EEEvllPKT_S5_PKT0_S8_PS3_S9_,comdat
.Lfunc_end127:
	.size	_ZN2at6native12_GLOBAL__N_135GammaBetaBackwardCUDAKernelTemplateIddLj64ELj16ELj256ELb0ELb1ELb1EEEvllPKT_S5_PKT0_S8_PS3_S9_, .Lfunc_end127-_ZN2at6native12_GLOBAL__N_135GammaBetaBackwardCUDAKernelTemplateIddLj64ELj16ELj256ELb0ELb1ELb1EEEvllPKT_S5_PKT0_S8_PS3_S9_
                                        ; -- End function
	.set _ZN2at6native12_GLOBAL__N_135GammaBetaBackwardCUDAKernelTemplateIddLj64ELj16ELj256ELb0ELb1ELb1EEEvllPKT_S5_PKT0_S8_PS3_S9_.num_vgpr, 60
	.set _ZN2at6native12_GLOBAL__N_135GammaBetaBackwardCUDAKernelTemplateIddLj64ELj16ELj256ELb0ELb1ELb1EEEvllPKT_S5_PKT0_S8_PS3_S9_.num_agpr, 0
	.set _ZN2at6native12_GLOBAL__N_135GammaBetaBackwardCUDAKernelTemplateIddLj64ELj16ELj256ELb0ELb1ELb1EEEvllPKT_S5_PKT0_S8_PS3_S9_.numbered_sgpr, 22
	.set _ZN2at6native12_GLOBAL__N_135GammaBetaBackwardCUDAKernelTemplateIddLj64ELj16ELj256ELb0ELb1ELb1EEEvllPKT_S5_PKT0_S8_PS3_S9_.num_named_barrier, 0
	.set _ZN2at6native12_GLOBAL__N_135GammaBetaBackwardCUDAKernelTemplateIddLj64ELj16ELj256ELb0ELb1ELb1EEEvllPKT_S5_PKT0_S8_PS3_S9_.private_seg_size, 0
	.set _ZN2at6native12_GLOBAL__N_135GammaBetaBackwardCUDAKernelTemplateIddLj64ELj16ELj256ELb0ELb1ELb1EEEvllPKT_S5_PKT0_S8_PS3_S9_.uses_vcc, 1
	.set _ZN2at6native12_GLOBAL__N_135GammaBetaBackwardCUDAKernelTemplateIddLj64ELj16ELj256ELb0ELb1ELb1EEEvllPKT_S5_PKT0_S8_PS3_S9_.uses_flat_scratch, 0
	.set _ZN2at6native12_GLOBAL__N_135GammaBetaBackwardCUDAKernelTemplateIddLj64ELj16ELj256ELb0ELb1ELb1EEEvllPKT_S5_PKT0_S8_PS3_S9_.has_dyn_sized_stack, 0
	.set _ZN2at6native12_GLOBAL__N_135GammaBetaBackwardCUDAKernelTemplateIddLj64ELj16ELj256ELb0ELb1ELb1EEEvllPKT_S5_PKT0_S8_PS3_S9_.has_recursion, 0
	.set _ZN2at6native12_GLOBAL__N_135GammaBetaBackwardCUDAKernelTemplateIddLj64ELj16ELj256ELb0ELb1ELb1EEEvllPKT_S5_PKT0_S8_PS3_S9_.has_indirect_call, 0
	.section	.AMDGPU.csdata,"",@progbits
; Kernel info:
; codeLenInByte = 2524
; TotalNumSgprs: 24
; NumVgprs: 60
; ScratchSize: 0
; MemoryBound: 0
; FloatMode: 240
; IeeeMode: 1
; LDSByteSize: 0 bytes/workgroup (compile time only)
; SGPRBlocks: 0
; VGPRBlocks: 7
; NumSGPRsForWavesPerEU: 24
; NumVGPRsForWavesPerEU: 60
; Occupancy: 16
; WaveLimiterHint : 0
; COMPUTE_PGM_RSRC2:SCRATCH_EN: 0
; COMPUTE_PGM_RSRC2:USER_SGPR: 6
; COMPUTE_PGM_RSRC2:TRAP_HANDLER: 0
; COMPUTE_PGM_RSRC2:TGID_X_EN: 1
; COMPUTE_PGM_RSRC2:TGID_Y_EN: 1
; COMPUTE_PGM_RSRC2:TGID_Z_EN: 0
; COMPUTE_PGM_RSRC2:TIDIG_COMP_CNT: 1
	.section	.text._ZN2at6native12_GLOBAL__N_135GammaBetaBackwardCUDAKernelTemplateIddLj64ELj16ELj256ELb0ELb0ELb1EEEvllPKT_S5_PKT0_S8_PS3_S9_,"axG",@progbits,_ZN2at6native12_GLOBAL__N_135GammaBetaBackwardCUDAKernelTemplateIddLj64ELj16ELj256ELb0ELb0ELb1EEEvllPKT_S5_PKT0_S8_PS3_S9_,comdat
	.globl	_ZN2at6native12_GLOBAL__N_135GammaBetaBackwardCUDAKernelTemplateIddLj64ELj16ELj256ELb0ELb0ELb1EEEvllPKT_S5_PKT0_S8_PS3_S9_ ; -- Begin function _ZN2at6native12_GLOBAL__N_135GammaBetaBackwardCUDAKernelTemplateIddLj64ELj16ELj256ELb0ELb0ELb1EEEvllPKT_S5_PKT0_S8_PS3_S9_
	.p2align	8
	.type	_ZN2at6native12_GLOBAL__N_135GammaBetaBackwardCUDAKernelTemplateIddLj64ELj16ELj256ELb0ELb0ELb1EEEvllPKT_S5_PKT0_S8_PS3_S9_,@function
_ZN2at6native12_GLOBAL__N_135GammaBetaBackwardCUDAKernelTemplateIddLj64ELj16ELj256ELb0ELb0ELb1EEEvllPKT_S5_PKT0_S8_PS3_S9_: ; @_ZN2at6native12_GLOBAL__N_135GammaBetaBackwardCUDAKernelTemplateIddLj64ELj16ELj256ELb0ELb0ELb1EEEvllPKT_S5_PKT0_S8_PS3_S9_
; %bb.0:
	s_mov_b64 s[38:39], s[2:3]
	s_mov_b64 s[36:37], s[0:1]
	s_mov_b32 s17, 0
	s_add_u32 s36, s36, s8
	s_addc_u32 s37, s37, 0
	s_lshl_b32 s26, s6, 6
	buffer_store_dword v1, off, s[36:39], 0 offset:12 ; 4-byte Folded Spill
	s_clause 0x1
	s_load_dwordx8 s[8:15], s[4:5], 0x0
	s_load_dwordx2 s[2:3], s[4:5], 0x28
	s_or_b32 s16, s26, 63
	v_mov_b32_e32 v97, v0
	s_waitcnt lgkmcnt(0)
	v_cmp_le_i64_e64 s0, s[10:11], s[16:17]
	s_lshl_b32 s16, s7, 8
	v_cmp_gt_i64_e64 s7, s[8:9], s[16:17]
	s_and_b32 vcc_lo, exec_lo, s0
	v_cndmask_b32_e64 v0, 0, 1, s7
	v_cmp_ne_u32_e64 s0, 1, v0
	s_cbranch_vccz .LBB128_80
; %bb.1:
	v_mov_b32_e32 v95, 0
	v_mov_b32_e32 v96, 0
	s_and_b32 vcc_lo, exec_lo, s0
	s_cbranch_vccnz .LBB128_82
; %bb.2:
	buffer_load_dword v0, off, s[36:39], 0 offset:12 ; 4-byte Folded Reload
	v_mov_b32_e32 v2, 0
	v_add_nc_u32_e32 v5, s26, v97
	s_load_dword s1, s[4:5], 0x44
	s_add_u32 s18, s4, 64
	s_addc_u32 s19, s5, 0
	v_mov_b32_e32 v6, v2
	buffer_store_dword v97, off, s[36:39], 0 offset:232 ; 4-byte Folded Spill
	v_mov_b32_e32 v95, 0
	v_mov_b32_e32 v96, 0
	s_mov_b64 s[24:25], s[16:17]
	v_lshlrev_b64 v[35:36], 3, v[5:6]
	s_waitcnt lgkmcnt(0)
	s_lshl_b32 s27, s1, 8
	s_mul_i32 s1, s11, s27
	s_mul_hi_u32 s20, s10, s27
	s_add_i32 s21, s20, s1
	s_mul_i32 s20, s10, s27
	s_lshl_b64 s[20:21], s[20:21], 3
	s_add_u32 s22, s16, 0xff
	s_addc_u32 s23, 0, 0
	s_waitcnt vmcnt(0)
	v_lshlrev_b32_e32 v0, 4, v0
	buffer_store_dword v0, off, s[36:39], 0 offset:48 ; 4-byte Folded Spill
	v_add_co_u32 v0, s0, v0, s16
	v_add_co_ci_u32_e64 v1, null, 0, 0, s0
	v_cmp_gt_i64_e64 s0, s[10:11], v[5:6]
	v_mul_lo_u32 v7, s11, v0
	v_mad_u64_u32 v[3:4], null, s10, v0, 0
	v_mul_lo_u32 v8, s10, v1
	v_add_co_u32 v9, vcc_lo, v0, 15
	v_add_co_ci_u32_e64 v10, null, 0, v1, vcc_lo
	v_mul_lo_u32 v11, s11, v9
	v_add3_u32 v4, v4, v8, v7
	v_mul_lo_u32 v10, s10, v10
	v_mad_u64_u32 v[7:8], null, s10, v9, 0
	v_add_co_u32 v9, vcc_lo, v0, 14
	v_lshlrev_b64 v[5:6], 3, v[3:4]
	v_add3_u32 v8, v8, v10, v11
	v_add_co_ci_u32_e64 v10, null, 0, v1, vcc_lo
	v_add_co_u32 v11, vcc_lo, s12, v5
	v_lshlrev_b64 v[7:8], 3, v[7:8]
	v_mul_lo_u32 v12, s10, v10
	buffer_store_dword v11, off, s[36:39], 0 ; 4-byte Folded Spill
	v_add_co_ci_u32_e64 v11, null, s13, v6, vcc_lo
	v_add_co_u32 v5, vcc_lo, s14, v5
	v_add_co_ci_u32_e64 v75, null, s15, v6, vcc_lo
	buffer_store_dword v11, off, s[36:39], 0 offset:4 ; 4-byte Folded Spill
	v_mul_lo_u32 v11, s11, v9
	v_mad_u64_u32 v[9:10], null, s10, v9, 0
	v_add_co_u32 v76, vcc_lo, s12, v7
	v_add_co_ci_u32_e64 v77, null, s13, v8, vcc_lo
	buffer_store_dword v5, off, s[36:39], 0 offset:8 ; 4-byte Folded Spill
	v_add_co_u32 v78, s1, s14, v7
	v_add3_u32 v10, v10, v12, v11
	v_add_co_u32 v11, vcc_lo, v0, 13
	v_add_co_ci_u32_e64 v7, null, 0, v1, vcc_lo
	v_lshlrev_b64 v[5:6], 3, v[9:10]
	v_add_co_u32 v9, vcc_lo, v0, 12
	v_add_co_ci_u32_e64 v10, null, 0, v1, vcc_lo
	v_add_co_ci_u32_e64 v79, null, s15, v8, s1
	v_mul_lo_u32 v12, s11, v11
	v_mul_lo_u32 v13, s10, v7
	v_mad_u64_u32 v[7:8], null, s10, v11, 0
	v_mul_lo_u32 v11, s11, v9
	v_mul_lo_u32 v14, s10, v10
	v_mad_u64_u32 v[9:10], null, s10, v9, 0
	v_add_co_u32 v80, vcc_lo, s12, v5
	v_add_co_ci_u32_e64 v81, null, s13, v6, vcc_lo
	v_add_co_u32 v82, vcc_lo, s14, v5
	v_add_co_ci_u32_e64 v83, null, s15, v6, vcc_lo
	v_add3_u32 v10, v10, v14, v11
	v_add_co_u32 v11, vcc_lo, v0, 11
	v_add3_u32 v8, v8, v13, v12
	v_add_co_ci_u32_e64 v12, null, 0, v1, vcc_lo
	v_mul_lo_u32 v13, s11, v11
	v_lshlrev_b64 v[5:6], 3, v[7:8]
	v_lshlrev_b64 v[7:8], 3, v[9:10]
	v_mul_lo_u32 v12, s10, v12
	v_mad_u64_u32 v[9:10], null, s10, v11, 0
	v_add_co_u32 v84, vcc_lo, s12, v5
	v_add_co_ci_u32_e64 v85, null, s13, v6, vcc_lo
	v_add_co_u32 v86, vcc_lo, s14, v5
	v_add3_u32 v10, v10, v12, v13
	v_add_co_ci_u32_e64 v87, null, s15, v6, vcc_lo
	v_add_co_u32 v88, vcc_lo, s12, v7
	v_add_co_ci_u32_e64 v89, null, s13, v8, vcc_lo
	v_add_co_u32 v11, vcc_lo, v0, 10
	v_add_co_u32 v90, s1, s14, v7
	v_lshlrev_b64 v[5:6], 3, v[9:10]
	v_add_co_ci_u32_e64 v7, null, 0, v1, vcc_lo
	v_add_co_u32 v9, vcc_lo, v0, 9
	v_add_co_ci_u32_e64 v10, null, 0, v1, vcc_lo
	v_add_co_ci_u32_e64 v91, null, s15, v8, s1
	v_mul_lo_u32 v12, s11, v11
	v_mul_lo_u32 v13, s10, v7
	v_mad_u64_u32 v[7:8], null, s10, v11, 0
	v_mul_lo_u32 v11, s11, v9
	v_mul_lo_u32 v14, s10, v10
	v_mad_u64_u32 v[9:10], null, s10, v9, 0
	v_add_co_u32 v92, vcc_lo, s12, v5
	v_add_co_ci_u32_e64 v93, null, s13, v6, vcc_lo
	v_add_co_u32 v94, vcc_lo, s14, v5
	v_add3_u32 v8, v8, v13, v12
	v_add_co_ci_u32_e64 v97, null, s15, v6, vcc_lo
	v_add3_u32 v10, v10, v14, v11
	v_add_co_u32 v11, vcc_lo, v0, 8
	v_add_co_ci_u32_e64 v12, null, 0, v1, vcc_lo
	v_lshlrev_b64 v[5:6], 3, v[7:8]
	v_lshlrev_b64 v[7:8], 3, v[9:10]
	v_mul_lo_u32 v13, s11, v11
	v_mul_lo_u32 v12, s10, v12
	v_mad_u64_u32 v[9:10], null, s10, v11, 0
	v_add_co_u32 v98, vcc_lo, s12, v5
	v_add_co_ci_u32_e64 v99, null, s13, v6, vcc_lo
	v_add_co_u32 v100, vcc_lo, s14, v5
	v_add_co_ci_u32_e64 v101, null, s15, v6, vcc_lo
	v_add_co_u32 v102, vcc_lo, s12, v7
	v_add3_u32 v10, v10, v12, v13
	v_add_co_ci_u32_e64 v103, null, s13, v8, vcc_lo
	v_add_co_u32 v11, vcc_lo, v0, 7
	v_add_co_u32 v104, s1, s14, v7
	v_add_co_ci_u32_e64 v7, null, 0, v1, vcc_lo
	v_lshlrev_b64 v[5:6], 3, v[9:10]
	v_add_co_u32 v9, vcc_lo, v0, 6
	v_add_co_ci_u32_e64 v10, null, 0, v1, vcc_lo
	v_add_co_ci_u32_e64 v105, null, s15, v8, s1
	v_mul_lo_u32 v12, s11, v11
	v_mul_lo_u32 v13, s10, v7
	v_mad_u64_u32 v[7:8], null, s10, v11, 0
	v_mul_lo_u32 v11, s11, v9
	v_mul_lo_u32 v14, s10, v10
	v_mad_u64_u32 v[9:10], null, s10, v9, 0
	v_add_co_u32 v106, vcc_lo, s12, v5
	v_add3_u32 v8, v8, v13, v12
	v_add_co_ci_u32_e64 v107, null, s13, v6, vcc_lo
	v_add_co_u32 v108, vcc_lo, s14, v5
	v_add_co_ci_u32_e64 v109, null, s15, v6, vcc_lo
	v_add3_u32 v10, v10, v14, v11
	v_add_co_u32 v11, vcc_lo, v0, 5
	v_lshlrev_b64 v[5:6], 3, v[7:8]
	v_add_co_ci_u32_e64 v12, null, 0, v1, vcc_lo
	v_lshlrev_b64 v[7:8], 3, v[9:10]
	v_mul_lo_u32 v13, s11, v11
	v_mad_u64_u32 v[9:10], null, s10, v11, 0
	v_add_co_u32 v110, vcc_lo, s12, v5
	v_mul_lo_u32 v12, s10, v12
	v_add_co_ci_u32_e64 v111, null, s13, v6, vcc_lo
	v_add_co_u32 v112, vcc_lo, s14, v5
	v_add_co_ci_u32_e64 v113, null, s15, v6, vcc_lo
	v_add_co_u32 v114, vcc_lo, s12, v7
	;; [unrolled: 2-line block ×3, first 2 shown]
	v_add3_u32 v10, v10, v12, v13
	v_add_co_u32 v116, s1, s14, v7
	v_add_co_ci_u32_e64 v7, null, 0, v1, vcc_lo
	v_add_co_ci_u32_e64 v117, null, s15, v8, s1
	v_lshlrev_b64 v[5:6], 3, v[9:10]
	v_mul_lo_u32 v12, s11, v11
	v_add_co_u32 v9, vcc_lo, v0, 3
	v_mul_lo_u32 v13, s10, v7
	v_mad_u64_u32 v[7:8], null, s10, v11, 0
	v_add_co_ci_u32_e64 v10, null, 0, v1, vcc_lo
	v_mul_lo_u32 v11, s11, v9
	v_add_co_u32 v118, vcc_lo, s12, v5
	v_mul_lo_u32 v14, s10, v10
	v_mad_u64_u32 v[9:10], null, s10, v9, 0
	v_add3_u32 v8, v8, v13, v12
	v_add_co_ci_u32_e64 v119, null, s13, v6, vcc_lo
	v_add_co_u32 v120, vcc_lo, s14, v5
	v_add_co_ci_u32_e64 v121, null, s15, v6, vcc_lo
	v_lshlrev_b64 v[5:6], 3, v[7:8]
	v_add_co_u32 v7, vcc_lo, v0, 2
	v_add3_u32 v10, v10, v14, v11
	v_add_co_ci_u32_e64 v8, null, 0, v1, vcc_lo
	v_add_co_u32 v122, vcc_lo, s12, v5
	v_lshlrev_b64 v[0:1], 3, v[9:10]
	v_mul_lo_u32 v9, s11, v7
	v_mul_lo_u32 v10, s10, v8
	v_mad_u64_u32 v[7:8], null, s10, v7, 0
	v_add_co_ci_u32_e64 v123, null, s13, v6, vcc_lo
	v_add_co_u32 v124, vcc_lo, s14, v5
	v_add_co_ci_u32_e64 v125, null, s15, v6, vcc_lo
	v_add_co_u32 v126, vcc_lo, s12, v0
	v_add_co_ci_u32_e64 v71, null, s13, v1, vcc_lo
	v_add3_u32 v8, v8, v10, v9
	v_add_co_u32 v127, vcc_lo, s14, v0
	v_add_co_ci_u32_e64 v39, null, s15, v1, vcc_lo
	v_add_co_u32 v3, vcc_lo, v3, s10
	v_add_co_ci_u32_e64 v4, null, s11, v4, vcc_lo
	v_lshlrev_b64 v[0:1], 3, v[7:8]
	v_lshlrev_b64 v[3:4], 3, v[3:4]
	v_add_co_u32 v40, vcc_lo, s12, v0
	v_add_co_ci_u32_e64 v41, null, s13, v1, vcc_lo
	v_add_co_u32 v42, vcc_lo, s14, v0
	v_add_co_ci_u32_e64 v43, null, s15, v1, vcc_lo
	;; [unrolled: 2-line block ×4, first 2 shown]
	s_branch .LBB128_5
.LBB128_3:                              ;   in Loop: Header=BB128_5 Depth=1
	s_or_b32 exec_lo, exec_lo, s1
	s_clause 0x1
	buffer_load_dword v0, off, s[36:39], 0 offset:16
	buffer_load_dword v1, off, s[36:39], 0 offset:20
	s_waitcnt vmcnt(0)
	v_mul_f64 v[3:4], v[0:1], v[3:4]
	ds_bpermute_b32 v0, v2, v37
	ds_bpermute_b32 v1, v2, v38
	s_waitcnt lgkmcnt(0)
	v_fma_f64 v[0:1], v[3:4], v[0:1], v[95:96]
	s_clause 0x1
	buffer_load_dword v3, off, s[36:39], 0 offset:32
	buffer_load_dword v4, off, s[36:39], 0 offset:36
	s_waitcnt vmcnt(0)
	v_mul_f64 v[3:4], v[3:4], v[5:6]
	ds_bpermute_b32 v5, v2, v37 offset:4
	ds_bpermute_b32 v6, v2, v38 offset:4
	s_waitcnt lgkmcnt(0)
	v_fma_f64 v[0:1], v[3:4], v[5:6], v[0:1]
	s_clause 0x1
	buffer_load_dword v3, off, s[36:39], 0 offset:24
	buffer_load_dword v4, off, s[36:39], 0 offset:28
	ds_bpermute_b32 v5, v2, v37 offset:8
	ds_bpermute_b32 v6, v2, v38 offset:8
	s_waitcnt vmcnt(0)
	v_mul_f64 v[3:4], v[3:4], v[7:8]
	s_waitcnt lgkmcnt(0)
	v_fma_f64 v[0:1], v[3:4], v[5:6], v[0:1]
	v_mul_f64 v[3:4], v[47:48], v[9:10]
	ds_bpermute_b32 v5, v2, v37 offset:12
	ds_bpermute_b32 v6, v2, v38 offset:12
	s_waitcnt lgkmcnt(0)
	v_fma_f64 v[0:1], v[3:4], v[5:6], v[0:1]
	v_mul_f64 v[3:4], v[45:46], v[11:12]
	ds_bpermute_b32 v5, v2, v37 offset:16
	ds_bpermute_b32 v6, v2, v38 offset:16
	;; [unrolled: 5-line block ×12, first 2 shown]
	s_waitcnt lgkmcnt(0)
	v_fma_f64 v[0:1], v[3:4], v[5:6], v[0:1]
	ds_bpermute_b32 v3, v2, v37 offset:60
	ds_bpermute_b32 v4, v2, v38 offset:60
.LBB128_4:                              ;   in Loop: Header=BB128_5 Depth=1
	buffer_load_dword v7, off, s[36:39], 0  ; 4-byte Folded Reload
	v_mul_f64 v[5:6], v[49:50], v[33:34]
	s_add_u32 s24, s24, s27
	s_addc_u32 s25, s25, 0
	s_add_u32 s22, s22, s27
	v_cmp_lt_i64_e64 s1, s[24:25], s[8:9]
	s_addc_u32 s23, s23, 0
	s_waitcnt lgkmcnt(0)
	v_fma_f64 v[95:96], v[5:6], v[3:4], v[0:1]
	s_waitcnt vmcnt(0)
	v_add_co_u32 v7, vcc_lo, v7, s20
	buffer_store_dword v7, off, s[36:39], 0 ; 4-byte Folded Spill
	buffer_load_dword v7, off, s[36:39], 0 offset:4 ; 4-byte Folded Reload
	s_waitcnt vmcnt(0)
	v_add_co_ci_u32_e64 v7, null, s21, v7, vcc_lo
	buffer_store_dword v7, off, s[36:39], 0 offset:4 ; 4-byte Folded Spill
	buffer_load_dword v7, off, s[36:39], 0 offset:8 ; 4-byte Folded Reload
	s_waitcnt vmcnt(0)
	v_add_co_u32 v7, vcc_lo, v7, s20
	v_add_co_ci_u32_e64 v75, null, s21, v75, vcc_lo
	v_add_co_u32 v76, vcc_lo, v76, s20
	v_add_co_ci_u32_e64 v77, null, s21, v77, vcc_lo
	;; [unrolled: 2-line block ×31, first 2 shown]
	s_and_b32 vcc_lo, exec_lo, s1
	buffer_store_dword v7, off, s[36:39], 0 offset:8 ; 4-byte Folded Spill
	s_cbranch_vccz .LBB128_81
.LBB128_5:                              ; =>This Inner Loop Header: Depth=1
	buffer_load_dword v0, off, s[36:39], 0 offset:48 ; 4-byte Folded Reload
	v_cmp_ge_i64_e64 s1, s[22:23], s[8:9]
                                        ; implicit-def: $vgpr3_vgpr4_vgpr5_vgpr6_vgpr7_vgpr8_vgpr9_vgpr10_vgpr11_vgpr12_vgpr13_vgpr14_vgpr15_vgpr16_vgpr17_vgpr18_vgpr19_vgpr20_vgpr21_vgpr22_vgpr23_vgpr24_vgpr25_vgpr26_vgpr27_vgpr28_vgpr29_vgpr30_vgpr31_vgpr32_vgpr33_vgpr34
                                        ; implicit-def: $vgpr49_vgpr50
                                        ; implicit-def: $vgpr3
	s_and_b32 vcc_lo, exec_lo, s1
	s_mov_b32 s1, -1
	s_waitcnt vmcnt(0)
	v_add_co_u32 v45, s28, v0, s22
	v_add_co_ci_u32_e64 v46, null, 0, s23, s28
                                        ; implicit-def: $vgpr0_vgpr1
	s_cbranch_vccz .LBB128_43
; %bb.6:                                ;   in Loop: Header=BB128_5 Depth=1
	s_load_dword s1, s[18:19], 0xc
	s_clause 0x1
	buffer_load_dword v0, off, s[36:39], 0 offset:232
	buffer_load_dword v1, off, s[36:39], 0 offset:12
	v_mov_b32_e32 v3, 0
	v_mov_b32_e32 v37, 0
	;; [unrolled: 1-line block ×4, first 2 shown]
	buffer_store_dword v3, off, s[36:39], 0 offset:16 ; 4-byte Folded Spill
	buffer_store_dword v4, off, s[36:39], 0 offset:20 ; 4-byte Folded Spill
	s_waitcnt lgkmcnt(0)
	s_and_b32 s1, s1, 0xffff
	s_waitcnt vmcnt(0)
	v_mad_u32_u24 v0, v1, s1, v0
	s_mov_b32 s1, exec_lo
	v_and_b32_e32 v0, 31, v0
	v_cmpx_gt_u32_e32 16, v0
	s_cbranch_execz .LBB128_10
; %bb.7:                                ;   in Loop: Header=BB128_5 Depth=1
	v_add_co_u32 v0, vcc_lo, v45, v0
	v_add_co_ci_u32_e64 v1, null, 0, v46, vcc_lo
	v_mov_b32_e32 v37, 0
	v_add_co_u32 v0, vcc_lo, 0xffffff01, v0
	v_add_co_ci_u32_e64 v1, null, -1, v1, vcc_lo
	v_mov_b32_e32 v38, 0
	s_mov_b32 s28, exec_lo
	v_cmpx_gt_i64_e64 s[8:9], v[0:1]
	s_cbranch_execz .LBB128_9
; %bb.8:                                ;   in Loop: Header=BB128_5 Depth=1
	v_lshlrev_b64 v[0:1], 3, v[0:1]
	v_add_co_u32 v0, vcc_lo, s2, v0
	v_add_co_ci_u32_e64 v1, null, s3, v1, vcc_lo
	global_load_dwordx2 v[37:38], v[0:1], off
.LBB128_9:                              ;   in Loop: Header=BB128_5 Depth=1
	s_or_b32 exec_lo, exec_lo, s28
.LBB128_10:                             ;   in Loop: Header=BB128_5 Depth=1
	s_or_b32 exec_lo, exec_lo, s1
	v_add_co_u32 v0, vcc_lo, 0xffffff01, v45
	v_add_co_ci_u32_e64 v1, null, -1, v46, vcc_lo
	v_mov_b32_e32 v33, v2
	v_mov_b32_e32 v3, v2
	;; [unrolled: 1-line block ×3, first 2 shown]
	v_cmp_gt_i64_e32 vcc_lo, s[8:9], v[0:1]
	v_mov_b32_e32 v5, v2
	v_mov_b32_e32 v6, v2
	;; [unrolled: 1-line block ×60, first 2 shown]
	s_and_b32 s28, s0, vcc_lo
	s_and_saveexec_b32 s1, s28
	s_cbranch_execz .LBB128_12
; %bb.11:                               ;   in Loop: Header=BB128_5 Depth=1
	s_clause 0x2
	buffer_load_dword v0, off, s[36:39], 0
	buffer_load_dword v1, off, s[36:39], 0 offset:4
	buffer_load_dword v3, off, s[36:39], 0 offset:8
	v_mov_b32_e32 v7, v2
	v_mov_b32_e32 v8, v2
	v_mov_b32_e32 v9, v2
	v_mov_b32_e32 v10, v2
	v_mov_b32_e32 v11, v2
	v_mov_b32_e32 v12, v2
	v_mov_b32_e32 v13, v2
	v_mov_b32_e32 v14, v2
	v_mov_b32_e32 v15, v2
	v_mov_b32_e32 v16, v2
	v_mov_b32_e32 v17, v2
	v_mov_b32_e32 v18, v2
	v_mov_b32_e32 v19, v2
	v_mov_b32_e32 v20, v2
	v_mov_b32_e32 v21, v2
	v_mov_b32_e32 v22, v2
	v_mov_b32_e32 v23, v2
	v_mov_b32_e32 v24, v2
	v_mov_b32_e32 v25, v2
	v_mov_b32_e32 v26, v2
	v_mov_b32_e32 v27, v2
	v_mov_b32_e32 v28, v2
	v_mov_b32_e32 v29, v2
	v_mov_b32_e32 v30, v2
	v_mov_b32_e32 v31, v2
	v_mov_b32_e32 v32, v2
	v_mov_b32_e32 v33, v2
	v_mov_b32_e32 v34, v2
	s_waitcnt vmcnt(2)
	v_add_co_u32 v0, vcc_lo, v0, v35
	s_waitcnt vmcnt(1)
	v_add_co_ci_u32_e64 v1, null, v1, v36, vcc_lo
	s_waitcnt vmcnt(0)
	v_add_co_u32 v5, vcc_lo, v3, v35
	v_add_co_ci_u32_e64 v6, null, v75, v36, vcc_lo
	global_load_dwordx2 v[3:4], v[0:1], off
	global_load_dwordx2 v[0:1], v[5:6], off
	v_mov_b32_e32 v5, v2
	v_mov_b32_e32 v6, v2
	s_waitcnt vmcnt(0)
	buffer_store_dword v0, off, s[36:39], 0 offset:16 ; 4-byte Folded Spill
	buffer_store_dword v1, off, s[36:39], 0 offset:20 ; 4-byte Folded Spill
.LBB128_12:                             ;   in Loop: Header=BB128_5 Depth=1
	s_or_b32 exec_lo, exec_lo, s1
	v_add_co_u32 v0, vcc_lo, 0xffffff02, v45
	v_add_co_ci_u32_e64 v1, null, -1, v46, vcc_lo
	v_cmp_gt_i64_e32 vcc_lo, s[8:9], v[0:1]
	v_mov_b32_e32 v0, 0
	v_mov_b32_e32 v1, 0
	buffer_store_dword v0, off, s[36:39], 0 offset:24 ; 4-byte Folded Spill
	buffer_store_dword v1, off, s[36:39], 0 offset:28 ; 4-byte Folded Spill
	v_mov_b32_e32 v0, 0
	v_mov_b32_e32 v1, 0
	s_and_b32 s28, s0, vcc_lo
	buffer_store_dword v0, off, s[36:39], 0 offset:32 ; 4-byte Folded Spill
	buffer_store_dword v1, off, s[36:39], 0 offset:36 ; 4-byte Folded Spill
	s_and_saveexec_b32 s1, s28
	s_cbranch_execz .LBB128_14
; %bb.13:                               ;   in Loop: Header=BB128_5 Depth=1
	v_add_co_u32 v0, vcc_lo, v44, v35
	v_add_co_ci_u32_e64 v1, null, v72, v36, vcc_lo
	v_add_co_u32 v47, vcc_lo, v73, v35
	v_add_co_ci_u32_e64 v48, null, v74, v36, vcc_lo
	global_load_dwordx2 v[5:6], v[0:1], off
	global_load_dwordx2 v[0:1], v[47:48], off
	s_waitcnt vmcnt(0)
	buffer_store_dword v0, off, s[36:39], 0 offset:32 ; 4-byte Folded Spill
	buffer_store_dword v1, off, s[36:39], 0 offset:36 ; 4-byte Folded Spill
.LBB128_14:                             ;   in Loop: Header=BB128_5 Depth=1
	s_or_b32 exec_lo, exec_lo, s1
	v_add_co_u32 v0, vcc_lo, 0xffffff03, v45
	v_add_co_ci_u32_e64 v1, null, -1, v46, vcc_lo
	v_cmp_gt_i64_e32 vcc_lo, s[8:9], v[0:1]
	s_and_b32 s28, s0, vcc_lo
	s_and_saveexec_b32 s1, s28
	s_cbranch_execz .LBB128_16
; %bb.15:                               ;   in Loop: Header=BB128_5 Depth=1
	v_add_co_u32 v0, vcc_lo, v40, v35
	v_add_co_ci_u32_e64 v1, null, v41, v36, vcc_lo
	v_add_co_u32 v47, vcc_lo, v42, v35
	v_add_co_ci_u32_e64 v48, null, v43, v36, vcc_lo
	global_load_dwordx2 v[7:8], v[0:1], off
	global_load_dwordx2 v[0:1], v[47:48], off
	s_waitcnt vmcnt(0)
	buffer_store_dword v0, off, s[36:39], 0 offset:24 ; 4-byte Folded Spill
	buffer_store_dword v1, off, s[36:39], 0 offset:28 ; 4-byte Folded Spill
.LBB128_16:                             ;   in Loop: Header=BB128_5 Depth=1
	s_or_b32 exec_lo, exec_lo, s1
	v_add_co_u32 v0, vcc_lo, 0xffffff04, v45
	v_add_co_ci_u32_e64 v1, null, -1, v46, vcc_lo
	v_mov_b32_e32 v47, 0
	v_mov_b32_e32 v48, 0
	buffer_store_dword v47, off, s[36:39], 0 offset:40 ; 4-byte Folded Spill
	buffer_store_dword v48, off, s[36:39], 0 offset:44 ; 4-byte Folded Spill
	v_cmp_gt_i64_e32 vcc_lo, s[8:9], v[0:1]
	v_mov_b32_e32 v0, 0
	v_mov_b32_e32 v1, 0
	s_and_b32 s28, s0, vcc_lo
	s_and_saveexec_b32 s1, s28
	s_cbranch_execz .LBB128_18
; %bb.17:                               ;   in Loop: Header=BB128_5 Depth=1
	v_add_co_u32 v9, vcc_lo, v126, v35
	v_add_co_ci_u32_e64 v10, null, v71, v36, vcc_lo
	v_add_co_u32 v47, vcc_lo, v127, v35
	v_add_co_ci_u32_e64 v48, null, v39, v36, vcc_lo
	global_load_dwordx2 v[9:10], v[9:10], off
	global_load_dwordx2 v[47:48], v[47:48], off
	s_waitcnt vmcnt(0)
	buffer_store_dword v47, off, s[36:39], 0 offset:40 ; 4-byte Folded Spill
	buffer_store_dword v48, off, s[36:39], 0 offset:44 ; 4-byte Folded Spill
.LBB128_18:                             ;   in Loop: Header=BB128_5 Depth=1
	s_or_b32 exec_lo, exec_lo, s1
	v_add_co_u32 v49, vcc_lo, 0xffffff05, v45
	v_add_co_ci_u32_e64 v50, null, -1, v46, vcc_lo
	v_cmp_gt_i64_e32 vcc_lo, s[8:9], v[49:50]
	s_and_b32 s28, s0, vcc_lo
	s_and_saveexec_b32 s1, s28
	s_cbranch_execz .LBB128_20
; %bb.19:                               ;   in Loop: Header=BB128_5 Depth=1
	v_add_co_u32 v0, vcc_lo, v122, v35
	v_add_co_ci_u32_e64 v1, null, v123, v36, vcc_lo
	v_add_co_u32 v49, vcc_lo, v124, v35
	v_add_co_ci_u32_e64 v50, null, v125, v36, vcc_lo
	global_load_dwordx2 v[11:12], v[0:1], off
	global_load_dwordx2 v[0:1], v[49:50], off
.LBB128_20:                             ;   in Loop: Header=BB128_5 Depth=1
	s_or_b32 exec_lo, exec_lo, s1
	v_add_co_u32 v49, vcc_lo, 0xffffff06, v45
	v_add_co_ci_u32_e64 v50, null, -1, v46, vcc_lo
	v_mov_b32_e32 v51, 0
	v_mov_b32_e32 v53, 0
	v_mov_b32_e32 v52, 0
	v_cmp_gt_i64_e32 vcc_lo, s[8:9], v[49:50]
	v_mov_b32_e32 v54, 0
	s_and_b32 s28, s0, vcc_lo
	s_and_saveexec_b32 s1, s28
	s_cbranch_execz .LBB128_22
; %bb.21:                               ;   in Loop: Header=BB128_5 Depth=1
	v_add_co_u32 v13, vcc_lo, v118, v35
	v_add_co_ci_u32_e64 v14, null, v119, v36, vcc_lo
	v_add_co_u32 v49, vcc_lo, v120, v35
	v_add_co_ci_u32_e64 v50, null, v121, v36, vcc_lo
	global_load_dwordx2 v[13:14], v[13:14], off
	global_load_dwordx2 v[53:54], v[49:50], off
.LBB128_22:                             ;   in Loop: Header=BB128_5 Depth=1
	s_or_b32 exec_lo, exec_lo, s1
	v_add_co_u32 v49, vcc_lo, 0xffffff07, v45
	v_add_co_ci_u32_e64 v50, null, -1, v46, vcc_lo
	v_cmp_gt_i64_e32 vcc_lo, s[8:9], v[49:50]
	s_and_b32 s28, s0, vcc_lo
	s_and_saveexec_b32 s1, s28
	s_cbranch_execz .LBB128_24
; %bb.23:                               ;   in Loop: Header=BB128_5 Depth=1
	v_add_co_u32 v15, vcc_lo, v114, v35
	v_add_co_ci_u32_e64 v16, null, v115, v36, vcc_lo
	v_add_co_u32 v49, vcc_lo, v116, v35
	v_add_co_ci_u32_e64 v50, null, v117, v36, vcc_lo
	global_load_dwordx2 v[15:16], v[15:16], off
	global_load_dwordx2 v[51:52], v[49:50], off
.LBB128_24:                             ;   in Loop: Header=BB128_5 Depth=1
	s_or_b32 exec_lo, exec_lo, s1
	v_add_co_u32 v49, vcc_lo, 0xffffff08, v45
	v_add_co_ci_u32_e64 v50, null, -1, v46, vcc_lo
	v_mov_b32_e32 v55, 0
	v_mov_b32_e32 v57, 0
	v_mov_b32_e32 v56, 0
	v_cmp_gt_i64_e32 vcc_lo, s[8:9], v[49:50]
	v_mov_b32_e32 v58, 0
	s_and_b32 s28, s0, vcc_lo
	s_and_saveexec_b32 s1, s28
	s_cbranch_execz .LBB128_26
; %bb.25:                               ;   in Loop: Header=BB128_5 Depth=1
	v_add_co_u32 v17, vcc_lo, v110, v35
	v_add_co_ci_u32_e64 v18, null, v111, v36, vcc_lo
	v_add_co_u32 v49, vcc_lo, v112, v35
	v_add_co_ci_u32_e64 v50, null, v113, v36, vcc_lo
	global_load_dwordx2 v[17:18], v[17:18], off
	global_load_dwordx2 v[57:58], v[49:50], off
.LBB128_26:                             ;   in Loop: Header=BB128_5 Depth=1
	;; [unrolled: 34-line block ×5, first 2 shown]
	s_or_b32 exec_lo, exec_lo, s1
	v_add_co_u32 v49, vcc_lo, 0xffffff0f, v45
	v_add_co_ci_u32_e64 v50, null, -1, v46, vcc_lo
	v_cmp_gt_i64_e32 vcc_lo, s[8:9], v[49:50]
	s_and_b32 s28, s0, vcc_lo
	s_and_saveexec_b32 s1, s28
	s_cbranch_execz .LBB128_40
; %bb.39:                               ;   in Loop: Header=BB128_5 Depth=1
	v_add_co_u32 v31, vcc_lo, v80, v35
	v_add_co_ci_u32_e64 v32, null, v81, v36, vcc_lo
	v_add_co_u32 v49, vcc_lo, v82, v35
	v_add_co_ci_u32_e64 v50, null, v83, v36, vcc_lo
	global_load_dwordx2 v[31:32], v[31:32], off
	global_load_dwordx2 v[67:68], v[49:50], off
.LBB128_40:                             ;   in Loop: Header=BB128_5 Depth=1
	s_or_b32 exec_lo, exec_lo, s1
	v_add_co_u32 v49, vcc_lo, 0xffffff10, v45
	v_add_co_ci_u32_e64 v50, null, -1, v46, vcc_lo
	s_waitcnt vmcnt(0)
	v_mov_b32_e32 v48, v1
	v_mov_b32_e32 v47, v0
	v_cmp_gt_i64_e32 vcc_lo, s[8:9], v[49:50]
	v_mov_b32_e32 v49, 0
	v_mov_b32_e32 v50, 0
	s_and_b32 s28, s0, vcc_lo
	s_and_saveexec_b32 s1, s28
	s_cbranch_execz .LBB128_42
; %bb.41:                               ;   in Loop: Header=BB128_5 Depth=1
	v_add_co_u32 v33, vcc_lo, v76, v35
	v_add_co_ci_u32_e64 v34, null, v77, v36, vcc_lo
	v_add_co_u32 v49, vcc_lo, v78, v35
	v_add_co_ci_u32_e64 v50, null, v79, v36, vcc_lo
	global_load_dwordx2 v[33:34], v[33:34], off
	global_load_dwordx2 v[49:50], v[49:50], off
.LBB128_42:                             ;   in Loop: Header=BB128_5 Depth=1
	s_or_b32 exec_lo, exec_lo, s1
	s_clause 0x1
	buffer_load_dword v0, off, s[36:39], 0 offset:16
	buffer_load_dword v1, off, s[36:39], 0 offset:20
	s_mov_b32 s1, 0
	s_waitcnt vmcnt(0)
	v_mul_f64 v[3:4], v[0:1], v[3:4]
	ds_bpermute_b32 v0, v2, v37
	ds_bpermute_b32 v1, v2, v38
	s_waitcnt lgkmcnt(0)
	v_fma_f64 v[0:1], v[3:4], v[0:1], v[95:96]
	s_clause 0x1
	buffer_load_dword v3, off, s[36:39], 0 offset:32
	buffer_load_dword v4, off, s[36:39], 0 offset:36
	s_waitcnt vmcnt(0)
	v_mul_f64 v[3:4], v[3:4], v[5:6]
	ds_bpermute_b32 v5, v2, v37 offset:4
	ds_bpermute_b32 v6, v2, v38 offset:4
	s_waitcnt lgkmcnt(0)
	v_fma_f64 v[0:1], v[3:4], v[5:6], v[0:1]
	s_clause 0x1
	buffer_load_dword v3, off, s[36:39], 0 offset:24
	buffer_load_dword v4, off, s[36:39], 0 offset:28
	ds_bpermute_b32 v5, v2, v37 offset:8
	ds_bpermute_b32 v6, v2, v38 offset:8
	s_waitcnt vmcnt(0)
	v_mul_f64 v[3:4], v[3:4], v[7:8]
	s_waitcnt lgkmcnt(0)
	v_fma_f64 v[0:1], v[3:4], v[5:6], v[0:1]
	s_clause 0x1
	buffer_load_dword v3, off, s[36:39], 0 offset:40
	buffer_load_dword v4, off, s[36:39], 0 offset:44
	ds_bpermute_b32 v5, v2, v37 offset:12
	ds_bpermute_b32 v6, v2, v38 offset:12
	s_waitcnt vmcnt(0)
	v_mul_f64 v[3:4], v[3:4], v[9:10]
	s_waitcnt lgkmcnt(0)
	v_fma_f64 v[0:1], v[3:4], v[5:6], v[0:1]
	v_mul_f64 v[3:4], v[47:48], v[11:12]
	ds_bpermute_b32 v5, v2, v37 offset:16
	ds_bpermute_b32 v6, v2, v38 offset:16
	s_waitcnt lgkmcnt(0)
	v_fma_f64 v[0:1], v[3:4], v[5:6], v[0:1]
	v_mul_f64 v[3:4], v[53:54], v[13:14]
	ds_bpermute_b32 v5, v2, v37 offset:20
	ds_bpermute_b32 v6, v2, v38 offset:20
	s_waitcnt lgkmcnt(0)
	v_fma_f64 v[0:1], v[3:4], v[5:6], v[0:1]
	v_mul_f64 v[3:4], v[51:52], v[15:16]
	ds_bpermute_b32 v5, v2, v37 offset:24
	ds_bpermute_b32 v6, v2, v38 offset:24
	s_waitcnt lgkmcnt(0)
	v_fma_f64 v[0:1], v[3:4], v[5:6], v[0:1]
	v_mul_f64 v[3:4], v[57:58], v[17:18]
	ds_bpermute_b32 v5, v2, v37 offset:28
	ds_bpermute_b32 v6, v2, v38 offset:28
	s_waitcnt lgkmcnt(0)
	v_fma_f64 v[0:1], v[3:4], v[5:6], v[0:1]
	v_mul_f64 v[3:4], v[55:56], v[19:20]
	ds_bpermute_b32 v5, v2, v37 offset:32
	ds_bpermute_b32 v6, v2, v38 offset:32
	s_waitcnt lgkmcnt(0)
	v_fma_f64 v[0:1], v[3:4], v[5:6], v[0:1]
	v_mul_f64 v[3:4], v[61:62], v[21:22]
	ds_bpermute_b32 v5, v2, v37 offset:36
	ds_bpermute_b32 v6, v2, v38 offset:36
	s_waitcnt lgkmcnt(0)
	v_fma_f64 v[0:1], v[3:4], v[5:6], v[0:1]
	v_mul_f64 v[3:4], v[59:60], v[23:24]
	ds_bpermute_b32 v5, v2, v37 offset:40
	ds_bpermute_b32 v6, v2, v38 offset:40
	s_waitcnt lgkmcnt(0)
	v_fma_f64 v[0:1], v[3:4], v[5:6], v[0:1]
	v_mul_f64 v[3:4], v[65:66], v[25:26]
	ds_bpermute_b32 v5, v2, v37 offset:44
	ds_bpermute_b32 v6, v2, v38 offset:44
	s_waitcnt lgkmcnt(0)
	v_fma_f64 v[0:1], v[3:4], v[5:6], v[0:1]
	v_mul_f64 v[3:4], v[63:64], v[27:28]
	ds_bpermute_b32 v5, v2, v37 offset:48
	ds_bpermute_b32 v6, v2, v38 offset:48
	s_waitcnt lgkmcnt(0)
	v_fma_f64 v[0:1], v[3:4], v[5:6], v[0:1]
	v_mul_f64 v[3:4], v[69:70], v[29:30]
	ds_bpermute_b32 v5, v2, v37 offset:52
	ds_bpermute_b32 v6, v2, v38 offset:52
	s_waitcnt lgkmcnt(0)
	v_fma_f64 v[0:1], v[3:4], v[5:6], v[0:1]
	v_mul_f64 v[3:4], v[67:68], v[31:32]
	ds_bpermute_b32 v5, v2, v37 offset:56
	ds_bpermute_b32 v6, v2, v38 offset:56
	s_waitcnt lgkmcnt(0)
	v_fma_f64 v[0:1], v[3:4], v[5:6], v[0:1]
	ds_bpermute_b32 v3, v2, v37 offset:60
	ds_bpermute_b32 v4, v2, v38 offset:60
.LBB128_43:                             ;   in Loop: Header=BB128_5 Depth=1
	s_and_b32 vcc_lo, exec_lo, s1
	s_cbranch_vccz .LBB128_4
; %bb.44:                               ;   in Loop: Header=BB128_5 Depth=1
	s_load_dword s1, s[18:19], 0x0
	v_mov_b32_e32 v37, 0
	v_mov_b32_e32 v38, 0
	s_waitcnt lgkmcnt(0)
	s_cmp_lt_u32 s6, s1
	s_cselect_b32 s1, 12, 18
	s_add_u32 s28, s18, s1
	s_addc_u32 s29, s19, 0
	s_mov_b32 s1, exec_lo
	global_load_ushort v0, v2, s[28:29]
	s_clause 0x1
	buffer_load_dword v1, off, s[36:39], 0 offset:232
	buffer_load_dword v3, off, s[36:39], 0 offset:12
	s_waitcnt vmcnt(0)
	v_mad_u32_u24 v0, v3, v0, v1
	v_mov_b32_e32 v3, 0
	v_mov_b32_e32 v4, 0
	buffer_store_dword v3, off, s[36:39], 0 offset:16 ; 4-byte Folded Spill
	buffer_store_dword v4, off, s[36:39], 0 offset:20 ; 4-byte Folded Spill
	v_and_b32_e32 v0, 31, v0
	v_cmpx_gt_u32_e32 16, v0
	s_cbranch_execz .LBB128_48
; %bb.45:                               ;   in Loop: Header=BB128_5 Depth=1
	v_add_co_u32 v0, vcc_lo, v45, v0
	v_add_co_ci_u32_e64 v1, null, 0, v46, vcc_lo
	v_mov_b32_e32 v37, 0
	v_add_co_u32 v0, vcc_lo, 0xffffff01, v0
	v_add_co_ci_u32_e64 v1, null, -1, v1, vcc_lo
	v_mov_b32_e32 v38, 0
	s_mov_b32 s28, exec_lo
	v_cmpx_gt_i64_e64 s[8:9], v[0:1]
	s_cbranch_execz .LBB128_47
; %bb.46:                               ;   in Loop: Header=BB128_5 Depth=1
	v_lshlrev_b64 v[0:1], 3, v[0:1]
	v_add_co_u32 v0, vcc_lo, s2, v0
	v_add_co_ci_u32_e64 v1, null, s3, v1, vcc_lo
	global_load_dwordx2 v[37:38], v[0:1], off
.LBB128_47:                             ;   in Loop: Header=BB128_5 Depth=1
	s_or_b32 exec_lo, exec_lo, s28
.LBB128_48:                             ;   in Loop: Header=BB128_5 Depth=1
	s_or_b32 exec_lo, exec_lo, s1
	v_mov_b32_e32 v33, v2
	v_mov_b32_e32 v3, v2
	;; [unrolled: 1-line block ×63, first 2 shown]
	s_and_saveexec_b32 s1, s0
	s_cbranch_execz .LBB128_50
; %bb.49:                               ;   in Loop: Header=BB128_5 Depth=1
	s_clause 0x2
	buffer_load_dword v0, off, s[36:39], 0
	buffer_load_dword v1, off, s[36:39], 0 offset:4
	buffer_load_dword v3, off, s[36:39], 0 offset:8
	v_mov_b32_e32 v7, v2
	v_mov_b32_e32 v8, v2
	;; [unrolled: 1-line block ×28, first 2 shown]
	s_waitcnt vmcnt(2)
	v_add_co_u32 v0, vcc_lo, v0, v35
	s_waitcnt vmcnt(1)
	v_add_co_ci_u32_e64 v1, null, v1, v36, vcc_lo
	s_waitcnt vmcnt(0)
	v_add_co_u32 v5, vcc_lo, v3, v35
	v_add_co_ci_u32_e64 v6, null, v75, v36, vcc_lo
	global_load_dwordx2 v[3:4], v[0:1], off
	global_load_dwordx2 v[0:1], v[5:6], off
	v_mov_b32_e32 v5, v2
	v_mov_b32_e32 v6, v2
	s_waitcnt vmcnt(0)
	buffer_store_dword v0, off, s[36:39], 0 offset:16 ; 4-byte Folded Spill
	buffer_store_dword v1, off, s[36:39], 0 offset:20 ; 4-byte Folded Spill
.LBB128_50:                             ;   in Loop: Header=BB128_5 Depth=1
	s_or_b32 exec_lo, exec_lo, s1
	v_mov_b32_e32 v0, 0
	v_mov_b32_e32 v1, 0
	buffer_store_dword v0, off, s[36:39], 0 offset:24 ; 4-byte Folded Spill
	buffer_store_dword v1, off, s[36:39], 0 offset:28 ; 4-byte Folded Spill
	v_mov_b32_e32 v0, 0
	v_mov_b32_e32 v1, 0
	buffer_store_dword v0, off, s[36:39], 0 offset:32 ; 4-byte Folded Spill
	buffer_store_dword v1, off, s[36:39], 0 offset:36 ; 4-byte Folded Spill
	s_and_saveexec_b32 s1, s0
	s_cbranch_execz .LBB128_52
; %bb.51:                               ;   in Loop: Header=BB128_5 Depth=1
	v_add_co_u32 v0, vcc_lo, v44, v35
	v_add_co_ci_u32_e64 v1, null, v72, v36, vcc_lo
	v_add_co_u32 v45, vcc_lo, v73, v35
	v_add_co_ci_u32_e64 v46, null, v74, v36, vcc_lo
	global_load_dwordx2 v[5:6], v[0:1], off
	global_load_dwordx2 v[0:1], v[45:46], off
	s_waitcnt vmcnt(0)
	buffer_store_dword v0, off, s[36:39], 0 offset:32 ; 4-byte Folded Spill
	buffer_store_dword v1, off, s[36:39], 0 offset:36 ; 4-byte Folded Spill
.LBB128_52:                             ;   in Loop: Header=BB128_5 Depth=1
	s_or_b32 exec_lo, exec_lo, s1
	s_and_saveexec_b32 s1, s0
	s_cbranch_execz .LBB128_54
; %bb.53:                               ;   in Loop: Header=BB128_5 Depth=1
	v_add_co_u32 v7, vcc_lo, v40, v35
	v_add_co_ci_u32_e64 v8, null, v41, v36, vcc_lo
	v_add_co_u32 v45, vcc_lo, v42, v35
	v_add_co_ci_u32_e64 v46, null, v43, v36, vcc_lo
	global_load_dwordx2 v[7:8], v[7:8], off
	global_load_dwordx2 v[0:1], v[45:46], off
	s_waitcnt vmcnt(0)
	buffer_store_dword v0, off, s[36:39], 0 offset:24 ; 4-byte Folded Spill
	buffer_store_dword v1, off, s[36:39], 0 offset:28 ; 4-byte Folded Spill
.LBB128_54:                             ;   in Loop: Header=BB128_5 Depth=1
	s_or_b32 exec_lo, exec_lo, s1
	v_mov_b32_e32 v45, 0
	v_mov_b32_e32 v47, 0
	v_mov_b32_e32 v46, 0
	v_mov_b32_e32 v48, 0
	s_and_saveexec_b32 s1, s0
	s_cbranch_execz .LBB128_56
; %bb.55:                               ;   in Loop: Header=BB128_5 Depth=1
	v_add_co_u32 v9, vcc_lo, v126, v35
	v_add_co_ci_u32_e64 v10, null, v71, v36, vcc_lo
	v_add_co_u32 v47, vcc_lo, v127, v35
	v_add_co_ci_u32_e64 v48, null, v39, v36, vcc_lo
	global_load_dwordx2 v[9:10], v[9:10], off
	global_load_dwordx2 v[47:48], v[47:48], off
.LBB128_56:                             ;   in Loop: Header=BB128_5 Depth=1
	s_or_b32 exec_lo, exec_lo, s1
	s_and_saveexec_b32 s1, s0
	s_cbranch_execz .LBB128_58
; %bb.57:                               ;   in Loop: Header=BB128_5 Depth=1
	v_add_co_u32 v11, vcc_lo, v122, v35
	v_add_co_ci_u32_e64 v12, null, v123, v36, vcc_lo
	v_add_co_u32 v45, vcc_lo, v124, v35
	v_add_co_ci_u32_e64 v46, null, v125, v36, vcc_lo
	global_load_dwordx2 v[11:12], v[11:12], off
	global_load_dwordx2 v[45:46], v[45:46], off
.LBB128_58:                             ;   in Loop: Header=BB128_5 Depth=1
	s_or_b32 exec_lo, exec_lo, s1
	v_mov_b32_e32 v51, 0
	v_mov_b32_e32 v53, 0
	v_mov_b32_e32 v52, 0
	v_mov_b32_e32 v54, 0
	s_and_saveexec_b32 s1, s0
	s_cbranch_execz .LBB128_60
; %bb.59:                               ;   in Loop: Header=BB128_5 Depth=1
	v_add_co_u32 v13, vcc_lo, v118, v35
	v_add_co_ci_u32_e64 v14, null, v119, v36, vcc_lo
	v_add_co_u32 v49, vcc_lo, v120, v35
	v_add_co_ci_u32_e64 v50, null, v121, v36, vcc_lo
	global_load_dwordx2 v[13:14], v[13:14], off
	global_load_dwordx2 v[53:54], v[49:50], off
.LBB128_60:                             ;   in Loop: Header=BB128_5 Depth=1
	s_or_b32 exec_lo, exec_lo, s1
	s_and_saveexec_b32 s1, s0
	s_cbranch_execz .LBB128_62
; %bb.61:                               ;   in Loop: Header=BB128_5 Depth=1
	v_add_co_u32 v15, vcc_lo, v114, v35
	v_add_co_ci_u32_e64 v16, null, v115, v36, vcc_lo
	v_add_co_u32 v49, vcc_lo, v116, v35
	v_add_co_ci_u32_e64 v50, null, v117, v36, vcc_lo
	global_load_dwordx2 v[15:16], v[15:16], off
	global_load_dwordx2 v[51:52], v[49:50], off
.LBB128_62:                             ;   in Loop: Header=BB128_5 Depth=1
	s_or_b32 exec_lo, exec_lo, s1
	v_mov_b32_e32 v55, 0
	v_mov_b32_e32 v57, 0
	v_mov_b32_e32 v56, 0
	v_mov_b32_e32 v58, 0
	s_and_saveexec_b32 s1, s0
	s_cbranch_execz .LBB128_64
; %bb.63:                               ;   in Loop: Header=BB128_5 Depth=1
	v_add_co_u32 v17, vcc_lo, v110, v35
	v_add_co_ci_u32_e64 v18, null, v111, v36, vcc_lo
	v_add_co_u32 v49, vcc_lo, v112, v35
	v_add_co_ci_u32_e64 v50, null, v113, v36, vcc_lo
	global_load_dwordx2 v[17:18], v[17:18], off
	global_load_dwordx2 v[57:58], v[49:50], off
.LBB128_64:                             ;   in Loop: Header=BB128_5 Depth=1
	s_or_b32 exec_lo, exec_lo, s1
	s_and_saveexec_b32 s1, s0
	s_cbranch_execz .LBB128_66
; %bb.65:                               ;   in Loop: Header=BB128_5 Depth=1
	v_add_co_u32 v19, vcc_lo, v106, v35
	v_add_co_ci_u32_e64 v20, null, v107, v36, vcc_lo
	v_add_co_u32 v49, vcc_lo, v108, v35
	v_add_co_ci_u32_e64 v50, null, v109, v36, vcc_lo
	global_load_dwordx2 v[19:20], v[19:20], off
	global_load_dwordx2 v[55:56], v[49:50], off
.LBB128_66:                             ;   in Loop: Header=BB128_5 Depth=1
	s_or_b32 exec_lo, exec_lo, s1
	v_mov_b32_e32 v59, 0
	v_mov_b32_e32 v61, 0
	v_mov_b32_e32 v60, 0
	v_mov_b32_e32 v62, 0
	s_and_saveexec_b32 s1, s0
	s_cbranch_execz .LBB128_68
; %bb.67:                               ;   in Loop: Header=BB128_5 Depth=1
	v_add_co_u32 v21, vcc_lo, v102, v35
	v_add_co_ci_u32_e64 v22, null, v103, v36, vcc_lo
	v_add_co_u32 v49, vcc_lo, v104, v35
	v_add_co_ci_u32_e64 v50, null, v105, v36, vcc_lo
	global_load_dwordx2 v[21:22], v[21:22], off
	global_load_dwordx2 v[61:62], v[49:50], off
.LBB128_68:                             ;   in Loop: Header=BB128_5 Depth=1
	s_or_b32 exec_lo, exec_lo, s1
	s_and_saveexec_b32 s1, s0
	s_cbranch_execz .LBB128_70
; %bb.69:                               ;   in Loop: Header=BB128_5 Depth=1
	v_add_co_u32 v23, vcc_lo, v98, v35
	v_add_co_ci_u32_e64 v24, null, v99, v36, vcc_lo
	v_add_co_u32 v49, vcc_lo, v100, v35
	v_add_co_ci_u32_e64 v50, null, v101, v36, vcc_lo
	global_load_dwordx2 v[23:24], v[23:24], off
	global_load_dwordx2 v[59:60], v[49:50], off
.LBB128_70:                             ;   in Loop: Header=BB128_5 Depth=1
	s_or_b32 exec_lo, exec_lo, s1
	v_mov_b32_e32 v63, 0
	v_mov_b32_e32 v65, 0
	v_mov_b32_e32 v64, 0
	v_mov_b32_e32 v66, 0
	s_and_saveexec_b32 s1, s0
	s_cbranch_execz .LBB128_72
; %bb.71:                               ;   in Loop: Header=BB128_5 Depth=1
	v_add_co_u32 v25, vcc_lo, v92, v35
	v_add_co_ci_u32_e64 v26, null, v93, v36, vcc_lo
	v_add_co_u32 v49, vcc_lo, v94, v35
	v_add_co_ci_u32_e64 v50, null, v97, v36, vcc_lo
	global_load_dwordx2 v[25:26], v[25:26], off
	global_load_dwordx2 v[65:66], v[49:50], off
.LBB128_72:                             ;   in Loop: Header=BB128_5 Depth=1
	s_or_b32 exec_lo, exec_lo, s1
	s_and_saveexec_b32 s1, s0
	s_cbranch_execz .LBB128_74
; %bb.73:                               ;   in Loop: Header=BB128_5 Depth=1
	v_add_co_u32 v27, vcc_lo, v88, v35
	v_add_co_ci_u32_e64 v28, null, v89, v36, vcc_lo
	v_add_co_u32 v49, vcc_lo, v90, v35
	v_add_co_ci_u32_e64 v50, null, v91, v36, vcc_lo
	global_load_dwordx2 v[27:28], v[27:28], off
	global_load_dwordx2 v[63:64], v[49:50], off
.LBB128_74:                             ;   in Loop: Header=BB128_5 Depth=1
	s_or_b32 exec_lo, exec_lo, s1
	v_mov_b32_e32 v67, 0
	v_mov_b32_e32 v69, 0
	v_mov_b32_e32 v68, 0
	v_mov_b32_e32 v70, 0
	s_and_saveexec_b32 s1, s0
	s_cbranch_execz .LBB128_76
; %bb.75:                               ;   in Loop: Header=BB128_5 Depth=1
	v_add_co_u32 v29, vcc_lo, v84, v35
	v_add_co_ci_u32_e64 v30, null, v85, v36, vcc_lo
	v_add_co_u32 v49, vcc_lo, v86, v35
	v_add_co_ci_u32_e64 v50, null, v87, v36, vcc_lo
	global_load_dwordx2 v[29:30], v[29:30], off
	global_load_dwordx2 v[69:70], v[49:50], off
.LBB128_76:                             ;   in Loop: Header=BB128_5 Depth=1
	s_or_b32 exec_lo, exec_lo, s1
	s_and_saveexec_b32 s1, s0
	s_cbranch_execz .LBB128_78
; %bb.77:                               ;   in Loop: Header=BB128_5 Depth=1
	v_add_co_u32 v31, vcc_lo, v80, v35
	v_add_co_ci_u32_e64 v32, null, v81, v36, vcc_lo
	v_add_co_u32 v49, vcc_lo, v82, v35
	v_add_co_ci_u32_e64 v50, null, v83, v36, vcc_lo
	global_load_dwordx2 v[31:32], v[31:32], off
	global_load_dwordx2 v[67:68], v[49:50], off
.LBB128_78:                             ;   in Loop: Header=BB128_5 Depth=1
	s_or_b32 exec_lo, exec_lo, s1
	v_mov_b32_e32 v49, 0
	v_mov_b32_e32 v50, 0
	s_and_saveexec_b32 s1, s0
	s_cbranch_execz .LBB128_3
; %bb.79:                               ;   in Loop: Header=BB128_5 Depth=1
	v_add_co_u32 v33, vcc_lo, v76, v35
	v_add_co_ci_u32_e64 v34, null, v77, v36, vcc_lo
	v_add_co_u32 v49, vcc_lo, v78, v35
	v_add_co_ci_u32_e64 v50, null, v79, v36, vcc_lo
	global_load_dwordx2 v[33:34], v[33:34], off
	global_load_dwordx2 v[49:50], v[49:50], off
	s_branch .LBB128_3
.LBB128_80:
                                        ; implicit-def: $vgpr95_vgpr96
	s_branch .LBB128_83
.LBB128_81:
	buffer_load_dword v97, off, s[36:39], 0 offset:232 ; 4-byte Folded Reload
.LBB128_82:
	s_cbranch_execnz .LBB128_132
.LBB128_83:
	v_mov_b32_e32 v95, 0
	v_mov_b32_e32 v96, 0
	s_andn2_b32 vcc_lo, exec_lo, s7
	s_cbranch_vccnz .LBB128_132
; %bb.84:
	buffer_load_dword v2, off, s[36:39], 0 offset:12 ; 4-byte Folded Reload
	s_load_dword s7, s[4:5], 0x44
	s_add_u32 s0, s4, 64
	s_waitcnt vmcnt(1)
	buffer_store_dword v97, off, s[36:39], 0 offset:232 ; 4-byte Folded Spill
	s_waitcnt vmcnt(0)
	v_lshlrev_b32_e32 v0, 4, v2
	v_lshlrev_b32_e32 v4, 7, v2
	buffer_store_dword v0, off, s[36:39], 0 offset:308 ; 4-byte Folded Spill
	v_add_co_u32 v0, s1, v0, s16
	v_add_co_ci_u32_e64 v1, null, 0, 0, s1
	s_addc_u32 s1, s5, 0
	s_waitcnt lgkmcnt(0)
	s_lshl_b32 s7, s7, 8
	v_mul_lo_u32 v6, s11, v0
	s_mul_i32 s19, s11, s7
	s_mul_hi_u32 s20, s10, s7
	s_mul_i32 s18, s10, s7
	s_add_i32 s19, s20, s19
	v_mul_lo_u32 v7, s10, v1
	s_lshl_b64 s[18:19], s[18:19], 3
	v_mad_u64_u32 v[2:3], null, s10, v0, 0
	s_add_u32 s20, s16, 0xff
	s_addc_u32 s21, 0, 0
	s_lshl_b64 s[22:23], s[16:17], 3
	v_add_co_u32 v4, s22, v4, s22
	v_add_co_ci_u32_e64 v5, null, 0, s23, s22
	v_add3_u32 v3, v3, v7, v6
	v_add_co_u32 v6, vcc_lo, v4, 8
	v_add_co_ci_u32_e64 v7, null, 0, v5, vcc_lo
	v_add_co_u32 v8, vcc_lo, v4, 16
	v_add_co_ci_u32_e64 v9, null, 0, v5, vcc_lo
	;; [unrolled: 2-line block ×5, first 2 shown]
	v_add_co_u32 v21, vcc_lo, v4, 48
	v_mad_u64_u32 v[35:36], null, s10, v6, s[12:13]
	v_mul_lo_u32 v7, s10, v7
	v_mul_lo_u32 v10, s11, v6
	v_add_co_ci_u32_e64 v22, null, 0, v5, vcc_lo
	v_add_co_u32 v23, vcc_lo, v4, 56
	v_mad_u64_u32 v[53:54], null, s10, v6, s[14:15]
	v_add_co_ci_u32_e64 v25, null, 0, v5, vcc_lo
	v_add_co_u32 v26, vcc_lo, v4, 64
	v_add_co_ci_u32_e64 v27, null, 0, v5, vcc_lo
	v_add_co_u32 v29, vcc_lo, 0x48, v4
	v_mad_u64_u32 v[37:38], null, s10, v8, s[12:13]
	v_mul_lo_u32 v9, s10, v9
	v_mul_lo_u32 v13, s11, v8
	v_mad_u64_u32 v[57:58], null, s10, v8, s[14:15]
	v_add_co_ci_u32_e64 v31, null, 0, v5, vcc_lo
	v_add_co_u32 v6, vcc_lo, 0x50, v4
	v_add3_u32 v36, v10, v36, v7
	v_add_co_ci_u32_e64 v32, null, 0, v5, vcc_lo
	v_add3_u32 v54, v10, v54, v7
	v_add_co_u32 v7, vcc_lo, 0x58, v4
	v_mad_u64_u32 v[55:56], null, s10, v6, s[12:13]
	v_mul_lo_u32 v34, s11, v6
	v_add_co_ci_u32_e64 v8, null, 0, v5, vcc_lo
	v_mad_u64_u32 v[75:76], null, s10, v6, s[14:15]
	v_add_co_u32 v6, vcc_lo, 0x60, v4
	v_add3_u32 v38, v13, v38, v9
	v_add3_u32 v58, v13, v58, v9
	v_mad_u64_u32 v[73:74], null, s10, v7, s[12:13]
	v_mul_lo_u32 v9, s11, v7
	v_mad_u64_u32 v[77:78], null, s10, v7, s[14:15]
	v_add_co_ci_u32_e64 v7, null, 0, v5, vcc_lo
	v_mad_u64_u32 v[79:80], null, s10, v6, s[12:13]
	v_mul_lo_u32 v10, s11, v6
	v_mul_lo_u32 v7, s10, v7
	v_mad_u64_u32 v[81:82], null, s10, v6, s[14:15]
	v_mul_lo_u32 v8, s10, v8
	v_add_co_u32 v6, vcc_lo, 0x68, v4
	v_mad_u64_u32 v[39:40], null, s10, v11, s[12:13]
	v_add3_u32 v80, v10, v80, v7
	v_add3_u32 v82, v10, v82, v7
	v_add_co_ci_u32_e64 v7, null, 0, v5, vcc_lo
	v_add3_u32 v74, v9, v74, v8
	v_add3_u32 v78, v9, v78, v8
	v_mul_lo_u32 v8, s11, v6
	v_mul_lo_u32 v7, s10, v7
	v_mad_u64_u32 v[83:84], null, s10, v6, s[12:13]
	v_mad_u64_u32 v[85:86], null, s10, v6, s[14:15]
	v_add_co_u32 v6, vcc_lo, 0x70, v4
	v_mul_lo_u32 v15, s11, v11
	v_mad_u64_u32 v[59:60], null, s10, v11, s[14:15]
	v_add3_u32 v84, v8, v84, v7
	v_add3_u32 v86, v8, v86, v7
	v_add_co_ci_u32_e64 v7, null, 0, v5, vcc_lo
	v_add_co_u32 v4, vcc_lo, 0x78, v4
	v_add_co_ci_u32_e64 v5, null, 0, v5, vcc_lo
	v_mul_lo_u32 v8, s11, v6
	v_mad_u64_u32 v[87:88], null, s10, v6, s[12:13]
	v_mad_u64_u32 v[89:90], null, s10, v6, s[14:15]
	v_mul_lo_u32 v5, s10, v5
	v_mul_lo_u32 v6, s11, v4
	v_mad_u64_u32 v[91:92], null, s10, v4, s[12:13]
	v_mad_u64_u32 v[93:94], null, s10, v4, s[14:15]
	v_mul_lo_u32 v7, s10, v7
	v_add_co_u32 v4, vcc_lo, v0, 15
	v_mul_lo_u32 v12, s10, v12
	v_add3_u32 v92, v6, v92, v5
	v_mad_u64_u32 v[41:42], null, s10, v14, s[12:13]
	v_add3_u32 v94, v6, v94, v5
	v_add_co_ci_u32_e64 v5, null, 0, v1, vcc_lo
	v_add3_u32 v88, v8, v88, v7
	v_add3_u32 v90, v8, v90, v7
	v_mul_lo_u32 v7, s11, v4
	v_mul_lo_u32 v6, s10, v5
	v_mad_u64_u32 v[4:5], null, s10, v4, 0
	v_add3_u32 v40, v15, v40, v12
	v_add3_u32 v60, v15, v60, v12
	v_mul_lo_u32 v19, s11, v14
	v_mad_u64_u32 v[61:62], null, s10, v14, s[14:15]
	v_mul_lo_u32 v16, s10, v16
	v_add3_u32 v5, v5, v6, v7
	v_add_co_u32 v6, vcc_lo, v0, 14
	v_add_co_ci_u32_e64 v7, null, 0, v1, vcc_lo
	v_mad_u64_u32 v[43:44], null, s10, v17, s[12:13]
	v_mul_lo_u32 v9, s11, v6
	v_mul_lo_u32 v8, s10, v7
	v_mad_u64_u32 v[6:7], null, s10, v6, 0
	v_mul_lo_u32 v20, s11, v17
	v_add3_u32 v42, v19, v42, v16
	v_mad_u64_u32 v[63:64], null, s10, v17, s[14:15]
	v_add3_u32 v62, v19, v62, v16
	v_mul_lo_u32 v18, s10, v18
	v_add3_u32 v7, v7, v8, v9
	v_add_co_u32 v8, vcc_lo, v0, 13
	v_add_co_ci_u32_e64 v9, null, 0, v1, vcc_lo
	v_mad_u64_u32 v[45:46], null, s10, v21, s[12:13]
	v_mul_lo_u32 v11, s11, v8
	v_mul_lo_u32 v10, s10, v9
	v_mad_u64_u32 v[8:9], null, s10, v8, 0
	v_add3_u32 v44, v20, v44, v18
	v_add3_u32 v64, v20, v64, v18
	v_mul_lo_u32 v24, s11, v21
	v_mad_u64_u32 v[65:66], null, s10, v21, s[14:15]
	v_mul_lo_u32 v22, s10, v22
	v_add3_u32 v9, v9, v10, v11
	v_add_co_u32 v10, vcc_lo, v0, 12
	v_add_co_ci_u32_e64 v11, null, 0, v1, vcc_lo
	v_mad_u64_u32 v[47:48], null, s10, v23, s[12:13]
	v_mul_lo_u32 v13, s11, v10
	v_mul_lo_u32 v12, s10, v11
	v_mad_u64_u32 v[10:11], null, s10, v10, 0
	v_mul_lo_u32 v28, s11, v23
	v_add3_u32 v46, v24, v46, v22
	v_mad_u64_u32 v[67:68], null, s10, v23, s[14:15]
	v_add3_u32 v66, v24, v66, v22
	v_mul_lo_u32 v25, s10, v25
	v_add3_u32 v11, v11, v12, v13
	v_add_co_u32 v12, vcc_lo, v0, 11
	v_add_co_ci_u32_e64 v13, null, 0, v1, vcc_lo
	v_mad_u64_u32 v[49:50], null, s10, v26, s[12:13]
	v_mul_lo_u32 v15, s11, v12
	v_mul_lo_u32 v14, s10, v13
	v_mad_u64_u32 v[12:13], null, s10, v12, 0
	v_add3_u32 v48, v28, v48, v25
	v_add3_u32 v68, v28, v68, v25
	v_mul_lo_u32 v27, s10, v27
	v_mul_lo_u32 v30, s11, v26
	v_mad_u64_u32 v[69:70], null, s10, v26, s[14:15]
	v_add3_u32 v13, v13, v14, v15
	v_add_co_u32 v14, vcc_lo, v0, 10
	v_add_co_ci_u32_e64 v15, null, 0, v1, vcc_lo
	v_add3_u32 v50, v30, v50, v27
	v_mul_lo_u32 v17, s11, v14
	v_add3_u32 v70, v30, v70, v27
	v_mul_lo_u32 v16, s10, v15
	v_mad_u64_u32 v[14:15], null, s10, v14, 0
	v_mad_u64_u32 v[51:52], null, s10, v29, s[12:13]
	v_mul_lo_u32 v33, s11, v29
	v_mad_u64_u32 v[71:72], null, s10, v29, s[14:15]
	v_mul_lo_u32 v31, s10, v31
	v_add3_u32 v15, v15, v16, v17
	v_add_co_u32 v16, vcc_lo, v0, 9
	v_add_co_ci_u32_e64 v17, null, 0, v1, vcc_lo
	v_mul_lo_u32 v32, s10, v32
	v_mul_lo_u32 v19, s11, v16
	v_add3_u32 v52, v33, v52, v31
	v_mul_lo_u32 v18, s10, v17
	v_mad_u64_u32 v[16:17], null, s10, v16, 0
	v_add3_u32 v72, v33, v72, v31
	v_add3_u32 v56, v34, v56, v32
	;; [unrolled: 1-line block ×4, first 2 shown]
	v_add_co_u32 v18, vcc_lo, v0, 8
	v_add_co_ci_u32_e64 v19, null, 0, v1, vcc_lo
	v_mul_lo_u32 v21, s11, v18
	v_mul_lo_u32 v20, s10, v19
	v_mad_u64_u32 v[18:19], null, s10, v18, 0
	v_add3_u32 v19, v19, v20, v21
	v_add_co_u32 v20, vcc_lo, v0, 7
	v_add_co_ci_u32_e64 v21, null, 0, v1, vcc_lo
	v_mul_lo_u32 v23, s11, v20
	v_mul_lo_u32 v22, s10, v21
	v_mad_u64_u32 v[20:21], null, s10, v20, 0
	v_add3_u32 v21, v21, v22, v23
	;; [unrolled: 6-line block ×5, first 2 shown]
	v_add_co_u32 v28, vcc_lo, v0, 3
	v_add_co_ci_u32_e64 v29, null, 0, v1, vcc_lo
	v_add_co_u32 v0, vcc_lo, v0, 2
	v_mul_lo_u32 v31, s11, v28
	v_mul_lo_u32 v30, s10, v29
	v_mad_u64_u32 v[28:29], null, s10, v28, 0
	v_add_co_ci_u32_e64 v1, null, 0, v1, vcc_lo
	v_add3_u32 v29, v29, v30, v31
	v_mul_lo_u32 v30, s10, v1
	v_mul_lo_u32 v31, s11, v0
	v_mad_u64_u32 v[0:1], null, s10, v0, 0
	v_add3_u32 v1, v1, v30, v31
	v_add_co_u32 v30, vcc_lo, v2, s10
	v_add_co_ci_u32_e64 v31, null, s11, v3, vcc_lo
	v_lshlrev_b64 v[2:3], 3, v[2:3]
	v_lshlrev_b64 v[0:1], 3, v[0:1]
	v_add_co_u32 v127, vcc_lo, s12, v2
	v_add_co_ci_u32_e64 v103, null, s13, v3, vcc_lo
	v_add_co_u32 v104, vcc_lo, s14, v2
	v_add_co_ci_u32_e64 v105, null, s15, v3, vcc_lo
	v_lshlrev_b64 v[2:3], 3, v[4:5]
	v_add_co_u32 v4, vcc_lo, s12, v2
	buffer_store_dword v4, off, s[36:39], 0 ; 4-byte Folded Spill
	v_add_co_ci_u32_e64 v4, null, s13, v3, vcc_lo
	v_add_co_u32 v2, vcc_lo, s14, v2
	buffer_store_dword v4, off, s[36:39], 0 offset:4 ; 4-byte Folded Spill
	buffer_store_dword v2, off, s[36:39], 0 offset:8 ; 4-byte Folded Spill
	v_add_co_ci_u32_e64 v2, null, s15, v3, vcc_lo
	buffer_store_dword v2, off, s[36:39], 0 offset:16 ; 4-byte Folded Spill
	v_lshlrev_b64 v[2:3], 3, v[6:7]
	v_add_co_u32 v4, vcc_lo, s12, v2
	buffer_store_dword v4, off, s[36:39], 0 offset:24 ; 4-byte Folded Spill
	v_add_co_ci_u32_e64 v4, null, s13, v3, vcc_lo
	v_add_co_u32 v2, vcc_lo, s14, v2
	buffer_store_dword v4, off, s[36:39], 0 offset:32 ; 4-byte Folded Spill
	buffer_store_dword v2, off, s[36:39], 0 offset:40 ; 4-byte Folded Spill
	v_add_co_ci_u32_e64 v2, null, s15, v3, vcc_lo
	buffer_store_dword v2, off, s[36:39], 0 offset:48 ; 4-byte Folded Spill
	v_lshlrev_b64 v[2:3], 3, v[8:9]
	v_add_co_u32 v4, vcc_lo, s12, v2
	buffer_store_dword v4, off, s[36:39], 0 offset:52 ; 4-byte Folded Spill
	;; [unrolled: 9-line block ×12, first 2 shown]
	v_add_co_ci_u32_e64 v4, null, s13, v3, vcc_lo
	v_add_co_u32 v2, vcc_lo, s14, v2
	buffer_store_dword v4, off, s[36:39], 0 offset:216 ; 4-byte Folded Spill
	buffer_store_dword v2, off, s[36:39], 0 offset:220 ; 4-byte Folded Spill
	v_add_co_ci_u32_e64 v2, null, s15, v3, vcc_lo
	buffer_store_dword v2, off, s[36:39], 0 offset:224 ; 4-byte Folded Spill
	v_add_co_u32 v2, vcc_lo, s12, v0
	v_add_co_ci_u32_e64 v113, null, s13, v1, vcc_lo
	v_add_co_u32 v114, vcc_lo, s14, v0
	v_add_co_ci_u32_e64 v115, null, s15, v1, vcc_lo
	v_lshlrev_b64 v[0:1], 3, v[30:31]
	buffer_store_dword v2, off, s[36:39], 0 offset:228 ; 4-byte Folded Spill
	v_mov_b32_e32 v2, 0
	v_add_co_u32 v116, vcc_lo, s12, v0
	v_add_co_ci_u32_e64 v106, null, s13, v1, vcc_lo
	v_add_co_u32 v107, vcc_lo, s14, v0
	v_add_co_ci_u32_e64 v108, null, s15, v1, vcc_lo
	v_add_nc_u32_e32 v0, s26, v97
	v_mov_b32_e32 v1, v2
	v_lshlrev_b64 v[97:98], 3, v[0:1]
	v_mov_b32_e32 v0, 0
	v_mov_b32_e32 v1, 0
	buffer_store_dword v0, off, s[36:39], 0 offset:236 ; 4-byte Folded Spill
	buffer_store_dword v1, off, s[36:39], 0 offset:240 ; 4-byte Folded Spill
.LBB128_85:                             ; =>This Inner Loop Header: Depth=1
	buffer_load_dword v0, off, s[36:39], 0 offset:308 ; 4-byte Folded Reload
	v_cmp_ge_i64_e64 s13, s[20:21], s[8:9]
                                        ; implicit-def: $vgpr95_vgpr96
	s_and_b32 vcc_lo, exec_lo, s13
	s_waitcnt vmcnt(0)
	v_add_co_u32 v109, s12, v0, s20
	v_add_co_ci_u32_e64 v110, null, 0, s21, s12
	s_mov_b32 s12, -1
	s_cbranch_vccz .LBB128_123
; %bb.86:                               ;   in Loop: Header=BB128_85 Depth=1
	s_load_dword s12, s[0:1], 0xc
	s_clause 0x1
	buffer_load_dword v0, off, s[36:39], 0 offset:232
	buffer_load_dword v1, off, s[36:39], 0 offset:12
	v_mov_b32_e32 v3, 0
	v_mov_b32_e32 v95, 0
	;; [unrolled: 1-line block ×4, first 2 shown]
	buffer_store_dword v3, off, s[36:39], 0 offset:244 ; 4-byte Folded Spill
	buffer_store_dword v4, off, s[36:39], 0 offset:248 ; 4-byte Folded Spill
	s_waitcnt lgkmcnt(0)
	s_and_b32 s12, s12, 0xffff
	s_waitcnt vmcnt(0)
	v_mad_u32_u24 v0, v1, s12, v0
	s_mov_b32 s12, exec_lo
	v_and_b32_e32 v0, 31, v0
	v_cmpx_gt_u32_e32 16, v0
	s_cbranch_execz .LBB128_90
; %bb.87:                               ;   in Loop: Header=BB128_85 Depth=1
	v_add_co_u32 v0, vcc_lo, v109, v0
	v_add_co_ci_u32_e64 v1, null, 0, v110, vcc_lo
	v_mov_b32_e32 v95, 0
	v_add_co_u32 v0, vcc_lo, 0xffffff01, v0
	v_add_co_ci_u32_e64 v1, null, -1, v1, vcc_lo
	v_mov_b32_e32 v96, 0
	s_mov_b32 s13, exec_lo
	v_cmpx_gt_i64_e64 s[8:9], v[0:1]
	s_cbranch_execz .LBB128_89
; %bb.88:                               ;   in Loop: Header=BB128_85 Depth=1
	v_lshlrev_b64 v[0:1], 3, v[0:1]
	v_add_co_u32 v0, vcc_lo, s2, v0
	v_add_co_ci_u32_e64 v1, null, s3, v1, vcc_lo
	global_load_dwordx2 v[95:96], v[0:1], off
.LBB128_89:                             ;   in Loop: Header=BB128_85 Depth=1
	s_or_b32 exec_lo, exec_lo, s13
.LBB128_90:                             ;   in Loop: Header=BB128_85 Depth=1
	s_or_b32 exec_lo, exec_lo, s12
	v_mov_b32_e32 v33, v2
	v_add_co_u32 v0, vcc_lo, 0xffffff01, v109
	v_mov_b32_e32 v3, v2
	v_mov_b32_e32 v4, v2
	;; [unrolled: 1-line block ×31, first 2 shown]
	v_add_co_ci_u32_e64 v1, null, -1, v110, vcc_lo
	v_mov_b32_e32 v33, v32
	v_mov_b32_e32 v32, v31
	;; [unrolled: 1-line block ×31, first 2 shown]
	s_mov_b32 s12, exec_lo
	v_cmpx_gt_i64_e64 s[8:9], v[0:1]
	s_cbranch_execz .LBB128_92
; %bb.91:                               ;   in Loop: Header=BB128_85 Depth=1
	v_add_co_u32 v0, vcc_lo, v104, v97
	v_add_co_ci_u32_e64 v1, null, v105, v98, vcc_lo
	v_add_co_u32 v3, vcc_lo, v127, v97
	v_add_co_ci_u32_e64 v4, null, v103, v98, vcc_lo
	global_load_dwordx2 v[0:1], v[0:1], off
	v_mov_b32_e32 v5, v2
	v_mov_b32_e32 v6, v2
	;; [unrolled: 1-line block ×30, first 2 shown]
	s_waitcnt vmcnt(0)
	buffer_store_dword v0, off, s[36:39], 0 offset:244 ; 4-byte Folded Spill
	buffer_store_dword v1, off, s[36:39], 0 offset:248 ; 4-byte Folded Spill
	global_load_dwordx2 v[3:4], v[3:4], off
.LBB128_92:                             ;   in Loop: Header=BB128_85 Depth=1
	s_or_b32 exec_lo, exec_lo, s12
	v_add_co_u32 v0, vcc_lo, 0xffffff02, v109
	v_add_co_ci_u32_e64 v1, null, -1, v110, vcc_lo
	v_mov_b32_e32 v117, 0
	v_mov_b32_e32 v118, 0
	v_cmp_gt_i64_e32 vcc_lo, s[8:9], v[0:1]
	v_mov_b32_e32 v0, 0
	v_mov_b32_e32 v1, 0
	buffer_store_dword v0, off, s[36:39], 0 offset:252 ; 4-byte Folded Spill
	buffer_store_dword v1, off, s[36:39], 0 offset:256 ; 4-byte Folded Spill
	s_and_saveexec_b32 s12, vcc_lo
	s_cbranch_execz .LBB128_94
; %bb.93:                               ;   in Loop: Header=BB128_85 Depth=1
	v_add_co_u32 v0, vcc_lo, v116, v97
	v_add_co_ci_u32_e64 v1, null, v106, v98, vcc_lo
	v_add_co_u32 v99, vcc_lo, v107, v97
	v_add_co_ci_u32_e64 v100, null, v108, v98, vcc_lo
	global_load_dwordx2 v[5:6], v[0:1], off
	global_load_dwordx2 v[0:1], v[99:100], off
	s_waitcnt vmcnt(0)
	buffer_store_dword v0, off, s[36:39], 0 offset:252 ; 4-byte Folded Spill
	buffer_store_dword v1, off, s[36:39], 0 offset:256 ; 4-byte Folded Spill
.LBB128_94:                             ;   in Loop: Header=BB128_85 Depth=1
	s_or_b32 exec_lo, exec_lo, s12
	v_add_co_u32 v0, vcc_lo, 0xffffff03, v109
	v_add_co_ci_u32_e64 v1, null, -1, v110, vcc_lo
	s_mov_b32 s12, exec_lo
	v_cmpx_gt_i64_e64 s[8:9], v[0:1]
	s_cbranch_execz .LBB128_96
; %bb.95:                               ;   in Loop: Header=BB128_85 Depth=1
	buffer_load_dword v0, off, s[36:39], 0 offset:228 ; 4-byte Folded Reload
	s_waitcnt vmcnt(0)
	v_add_co_u32 v0, vcc_lo, v0, v97
	v_add_co_ci_u32_e64 v1, null, v113, v98, vcc_lo
	v_add_co_u32 v99, vcc_lo, v114, v97
	v_add_co_ci_u32_e64 v100, null, v115, v98, vcc_lo
	global_load_dwordx2 v[7:8], v[0:1], off
	global_load_dwordx2 v[117:118], v[99:100], off
.LBB128_96:                             ;   in Loop: Header=BB128_85 Depth=1
	s_or_b32 exec_lo, exec_lo, s12
	v_add_co_u32 v0, vcc_lo, 0xffffff04, v109
	v_add_co_ci_u32_e64 v1, null, -1, v110, vcc_lo
	v_mov_b32_e32 v99, 0
	v_mov_b32_e32 v100, 0
	buffer_store_dword v99, off, s[36:39], 0 offset:260 ; 4-byte Folded Spill
	buffer_store_dword v100, off, s[36:39], 0 offset:264 ; 4-byte Folded Spill
	v_cmp_gt_i64_e32 vcc_lo, s[8:9], v[0:1]
	v_mov_b32_e32 v0, 0
	v_mov_b32_e32 v1, 0
	buffer_store_dword v0, off, s[36:39], 0 offset:268 ; 4-byte Folded Spill
	buffer_store_dword v1, off, s[36:39], 0 offset:272 ; 4-byte Folded Spill
	s_and_saveexec_b32 s12, vcc_lo
	s_cbranch_execz .LBB128_98
; %bb.97:                               ;   in Loop: Header=BB128_85 Depth=1
	s_clause 0x2
	buffer_load_dword v0, off, s[36:39], 0 offset:212
	buffer_load_dword v1, off, s[36:39], 0 offset:216
	;; [unrolled: 1-line block ×3, first 2 shown]
	s_waitcnt vmcnt(2)
	v_add_co_u32 v0, vcc_lo, v0, v97
	s_waitcnt vmcnt(1)
	v_add_co_ci_u32_e64 v1, null, v1, v98, vcc_lo
	s_waitcnt vmcnt(0)
	v_add_co_u32 v99, vcc_lo, v9, v97
	buffer_load_dword v9, off, s[36:39], 0 offset:224 ; 4-byte Folded Reload
	s_waitcnt vmcnt(0)
	v_add_co_ci_u32_e64 v100, null, v9, v98, vcc_lo
	global_load_dwordx2 v[9:10], v[0:1], off
	global_load_dwordx2 v[0:1], v[99:100], off
	s_waitcnt vmcnt(0)
	buffer_store_dword v0, off, s[36:39], 0 offset:268 ; 4-byte Folded Spill
	buffer_store_dword v1, off, s[36:39], 0 offset:272 ; 4-byte Folded Spill
.LBB128_98:                             ;   in Loop: Header=BB128_85 Depth=1
	s_or_b32 exec_lo, exec_lo, s12
	v_add_co_u32 v0, vcc_lo, 0xffffff05, v109
	v_add_co_ci_u32_e64 v1, null, -1, v110, vcc_lo
	s_mov_b32 s12, exec_lo
	v_cmpx_gt_i64_e64 s[8:9], v[0:1]
	s_cbranch_execz .LBB128_100
; %bb.99:                               ;   in Loop: Header=BB128_85 Depth=1
	s_clause 0x2
	buffer_load_dword v0, off, s[36:39], 0 offset:196
	buffer_load_dword v1, off, s[36:39], 0 offset:200
	;; [unrolled: 1-line block ×3, first 2 shown]
	s_waitcnt vmcnt(2)
	v_add_co_u32 v0, vcc_lo, v0, v97
	s_waitcnt vmcnt(1)
	v_add_co_ci_u32_e64 v1, null, v1, v98, vcc_lo
	s_waitcnt vmcnt(0)
	v_add_co_u32 v99, vcc_lo, v11, v97
	buffer_load_dword v11, off, s[36:39], 0 offset:208 ; 4-byte Folded Reload
	s_waitcnt vmcnt(0)
	v_add_co_ci_u32_e64 v100, null, v11, v98, vcc_lo
	global_load_dwordx2 v[11:12], v[0:1], off
	global_load_dwordx2 v[0:1], v[99:100], off
	s_waitcnt vmcnt(0)
	buffer_store_dword v0, off, s[36:39], 0 offset:260 ; 4-byte Folded Spill
	buffer_store_dword v1, off, s[36:39], 0 offset:264 ; 4-byte Folded Spill
.LBB128_100:                            ;   in Loop: Header=BB128_85 Depth=1
	s_or_b32 exec_lo, exec_lo, s12
	v_add_co_u32 v0, vcc_lo, 0xffffff06, v109
	v_add_co_ci_u32_e64 v1, null, -1, v110, vcc_lo
	v_mov_b32_e32 v99, 0
	v_mov_b32_e32 v100, 0
	buffer_store_dword v99, off, s[36:39], 0 offset:276 ; 4-byte Folded Spill
	buffer_store_dword v100, off, s[36:39], 0 offset:280 ; 4-byte Folded Spill
	v_cmp_gt_i64_e32 vcc_lo, s[8:9], v[0:1]
	v_mov_b32_e32 v0, 0
	v_mov_b32_e32 v1, 0
	buffer_store_dword v0, off, s[36:39], 0 offset:284 ; 4-byte Folded Spill
	buffer_store_dword v1, off, s[36:39], 0 offset:288 ; 4-byte Folded Spill
	s_and_saveexec_b32 s12, vcc_lo
	s_cbranch_execz .LBB128_102
; %bb.101:                              ;   in Loop: Header=BB128_85 Depth=1
	s_clause 0x2
	buffer_load_dword v0, off, s[36:39], 0 offset:180
	buffer_load_dword v1, off, s[36:39], 0 offset:184
	;; [unrolled: 1-line block ×3, first 2 shown]
	s_waitcnt vmcnt(2)
	v_add_co_u32 v0, vcc_lo, v0, v97
	s_waitcnt vmcnt(1)
	v_add_co_ci_u32_e64 v1, null, v1, v98, vcc_lo
	s_waitcnt vmcnt(0)
	v_add_co_u32 v99, vcc_lo, v13, v97
	buffer_load_dword v13, off, s[36:39], 0 offset:192 ; 4-byte Folded Reload
	s_waitcnt vmcnt(0)
	v_add_co_ci_u32_e64 v100, null, v13, v98, vcc_lo
	global_load_dwordx2 v[13:14], v[0:1], off
	global_load_dwordx2 v[0:1], v[99:100], off
	s_waitcnt vmcnt(0)
	buffer_store_dword v0, off, s[36:39], 0 offset:284 ; 4-byte Folded Spill
	buffer_store_dword v1, off, s[36:39], 0 offset:288 ; 4-byte Folded Spill
.LBB128_102:                            ;   in Loop: Header=BB128_85 Depth=1
	s_or_b32 exec_lo, exec_lo, s12
	v_add_co_u32 v0, vcc_lo, 0xffffff07, v109
	v_add_co_ci_u32_e64 v1, null, -1, v110, vcc_lo
	s_mov_b32 s12, exec_lo
	v_cmpx_gt_i64_e64 s[8:9], v[0:1]
	s_cbranch_execz .LBB128_104
; %bb.103:                              ;   in Loop: Header=BB128_85 Depth=1
	s_clause 0x2
	buffer_load_dword v0, off, s[36:39], 0 offset:164
	buffer_load_dword v1, off, s[36:39], 0 offset:168
	;; [unrolled: 1-line block ×3, first 2 shown]
	s_waitcnt vmcnt(2)
	v_add_co_u32 v0, vcc_lo, v0, v97
	s_waitcnt vmcnt(1)
	v_add_co_ci_u32_e64 v1, null, v1, v98, vcc_lo
	s_waitcnt vmcnt(0)
	v_add_co_u32 v99, vcc_lo, v15, v97
	buffer_load_dword v15, off, s[36:39], 0 offset:176 ; 4-byte Folded Reload
	s_waitcnt vmcnt(0)
	v_add_co_ci_u32_e64 v100, null, v15, v98, vcc_lo
	global_load_dwordx2 v[15:16], v[0:1], off
	global_load_dwordx2 v[0:1], v[99:100], off
	s_waitcnt vmcnt(0)
	buffer_store_dword v0, off, s[36:39], 0 offset:276 ; 4-byte Folded Spill
	buffer_store_dword v1, off, s[36:39], 0 offset:280 ; 4-byte Folded Spill
.LBB128_104:                            ;   in Loop: Header=BB128_85 Depth=1
	s_or_b32 exec_lo, exec_lo, s12
	v_add_co_u32 v0, vcc_lo, 0xffffff08, v109
	v_add_co_ci_u32_e64 v1, null, -1, v110, vcc_lo
	v_mov_b32_e32 v99, 0
	v_mov_b32_e32 v100, 0
	buffer_store_dword v99, off, s[36:39], 0 offset:292 ; 4-byte Folded Spill
	buffer_store_dword v100, off, s[36:39], 0 offset:296 ; 4-byte Folded Spill
	v_cmp_gt_i64_e32 vcc_lo, s[8:9], v[0:1]
	v_mov_b32_e32 v0, 0
	v_mov_b32_e32 v1, 0
	buffer_store_dword v0, off, s[36:39], 0 offset:300 ; 4-byte Folded Spill
	buffer_store_dword v1, off, s[36:39], 0 offset:304 ; 4-byte Folded Spill
	s_and_saveexec_b32 s12, vcc_lo
	s_cbranch_execz .LBB128_106
; %bb.105:                              ;   in Loop: Header=BB128_85 Depth=1
	s_clause 0x2
	buffer_load_dword v0, off, s[36:39], 0 offset:148
	buffer_load_dword v1, off, s[36:39], 0 offset:152
	;; [unrolled: 1-line block ×3, first 2 shown]
	s_waitcnt vmcnt(2)
	v_add_co_u32 v0, vcc_lo, v0, v97
	s_waitcnt vmcnt(1)
	v_add_co_ci_u32_e64 v1, null, v1, v98, vcc_lo
	s_waitcnt vmcnt(0)
	v_add_co_u32 v99, vcc_lo, v17, v97
	buffer_load_dword v17, off, s[36:39], 0 offset:160 ; 4-byte Folded Reload
	s_waitcnt vmcnt(0)
	v_add_co_ci_u32_e64 v100, null, v17, v98, vcc_lo
	global_load_dwordx2 v[17:18], v[0:1], off
	global_load_dwordx2 v[0:1], v[99:100], off
	s_waitcnt vmcnt(0)
	buffer_store_dword v0, off, s[36:39], 0 offset:300 ; 4-byte Folded Spill
	buffer_store_dword v1, off, s[36:39], 0 offset:304 ; 4-byte Folded Spill
.LBB128_106:                            ;   in Loop: Header=BB128_85 Depth=1
	s_or_b32 exec_lo, exec_lo, s12
	v_add_co_u32 v0, vcc_lo, 0xffffff09, v109
	v_add_co_ci_u32_e64 v1, null, -1, v110, vcc_lo
	s_mov_b32 s12, exec_lo
	v_cmpx_gt_i64_e64 s[8:9], v[0:1]
	s_cbranch_execz .LBB128_108
; %bb.107:                              ;   in Loop: Header=BB128_85 Depth=1
	s_clause 0x2
	buffer_load_dword v0, off, s[36:39], 0 offset:132
	buffer_load_dword v1, off, s[36:39], 0 offset:136
	;; [unrolled: 1-line block ×3, first 2 shown]
	s_waitcnt vmcnt(2)
	v_add_co_u32 v0, vcc_lo, v0, v97
	s_waitcnt vmcnt(1)
	v_add_co_ci_u32_e64 v1, null, v1, v98, vcc_lo
	s_waitcnt vmcnt(0)
	v_add_co_u32 v99, vcc_lo, v19, v97
	buffer_load_dword v19, off, s[36:39], 0 offset:144 ; 4-byte Folded Reload
	s_waitcnt vmcnt(0)
	v_add_co_ci_u32_e64 v100, null, v19, v98, vcc_lo
	global_load_dwordx2 v[19:20], v[0:1], off
	global_load_dwordx2 v[0:1], v[99:100], off
	s_waitcnt vmcnt(0)
	buffer_store_dword v0, off, s[36:39], 0 offset:292 ; 4-byte Folded Spill
	buffer_store_dword v1, off, s[36:39], 0 offset:296 ; 4-byte Folded Spill
.LBB128_108:                            ;   in Loop: Header=BB128_85 Depth=1
	s_or_b32 exec_lo, exec_lo, s12
	v_add_co_u32 v0, vcc_lo, 0xffffff0a, v109
	v_mov_b32_e32 v119, 0
	v_mov_b32_e32 v121, 0
	v_add_co_ci_u32_e64 v1, null, -1, v110, vcc_lo
	v_mov_b32_e32 v120, 0
	v_mov_b32_e32 v122, 0
	s_mov_b32 s12, exec_lo
	v_cmpx_gt_i64_e64 s[8:9], v[0:1]
	s_cbranch_execz .LBB128_110
; %bb.109:                              ;   in Loop: Header=BB128_85 Depth=1
	s_clause 0x2
	buffer_load_dword v0, off, s[36:39], 0 offset:116
	buffer_load_dword v1, off, s[36:39], 0 offset:120
	;; [unrolled: 1-line block ×3, first 2 shown]
	s_waitcnt vmcnt(2)
	v_add_co_u32 v0, vcc_lo, v0, v97
	s_waitcnt vmcnt(1)
	v_add_co_ci_u32_e64 v1, null, v1, v98, vcc_lo
	s_waitcnt vmcnt(0)
	v_add_co_u32 v99, vcc_lo, v21, v97
	buffer_load_dword v21, off, s[36:39], 0 offset:128 ; 4-byte Folded Reload
	s_waitcnt vmcnt(0)
	v_add_co_ci_u32_e64 v100, null, v21, v98, vcc_lo
	global_load_dwordx2 v[21:22], v[0:1], off
	global_load_dwordx2 v[121:122], v[99:100], off
.LBB128_110:                            ;   in Loop: Header=BB128_85 Depth=1
	s_or_b32 exec_lo, exec_lo, s12
	v_add_co_u32 v0, vcc_lo, 0xffffff0b, v109
	v_add_co_ci_u32_e64 v1, null, -1, v110, vcc_lo
	s_mov_b32 s12, exec_lo
	v_cmpx_gt_i64_e64 s[8:9], v[0:1]
	s_cbranch_execz .LBB128_112
; %bb.111:                              ;   in Loop: Header=BB128_85 Depth=1
	s_clause 0x2
	buffer_load_dword v0, off, s[36:39], 0 offset:100
	buffer_load_dword v1, off, s[36:39], 0 offset:104
	;; [unrolled: 1-line block ×3, first 2 shown]
	s_waitcnt vmcnt(2)
	v_add_co_u32 v0, vcc_lo, v0, v97
	s_waitcnt vmcnt(1)
	v_add_co_ci_u32_e64 v1, null, v1, v98, vcc_lo
	s_waitcnt vmcnt(0)
	v_add_co_u32 v99, vcc_lo, v23, v97
	buffer_load_dword v23, off, s[36:39], 0 offset:112 ; 4-byte Folded Reload
	s_waitcnt vmcnt(0)
	v_add_co_ci_u32_e64 v100, null, v23, v98, vcc_lo
	global_load_dwordx2 v[23:24], v[0:1], off
	global_load_dwordx2 v[119:120], v[99:100], off
.LBB128_112:                            ;   in Loop: Header=BB128_85 Depth=1
	s_or_b32 exec_lo, exec_lo, s12
	v_add_co_u32 v0, vcc_lo, 0xffffff0c, v109
	v_mov_b32_e32 v123, 0
	v_mov_b32_e32 v125, 0
	v_add_co_ci_u32_e64 v1, null, -1, v110, vcc_lo
	v_mov_b32_e32 v124, 0
	v_mov_b32_e32 v126, 0
	s_mov_b32 s12, exec_lo
	v_cmpx_gt_i64_e64 s[8:9], v[0:1]
	s_cbranch_execz .LBB128_114
; %bb.113:                              ;   in Loop: Header=BB128_85 Depth=1
	s_clause 0x2
	buffer_load_dword v0, off, s[36:39], 0 offset:84
	buffer_load_dword v1, off, s[36:39], 0 offset:88
	;; [unrolled: 1-line block ×3, first 2 shown]
	s_waitcnt vmcnt(2)
	v_add_co_u32 v0, vcc_lo, v0, v97
	s_waitcnt vmcnt(1)
	v_add_co_ci_u32_e64 v1, null, v1, v98, vcc_lo
	s_waitcnt vmcnt(0)
	v_add_co_u32 v99, vcc_lo, v25, v97
	buffer_load_dword v25, off, s[36:39], 0 offset:96 ; 4-byte Folded Reload
	s_waitcnt vmcnt(0)
	v_add_co_ci_u32_e64 v100, null, v25, v98, vcc_lo
	global_load_dwordx2 v[25:26], v[0:1], off
	global_load_dwordx2 v[125:126], v[99:100], off
.LBB128_114:                            ;   in Loop: Header=BB128_85 Depth=1
	s_or_b32 exec_lo, exec_lo, s12
	v_add_co_u32 v0, vcc_lo, 0xffffff0d, v109
	v_add_co_ci_u32_e64 v1, null, -1, v110, vcc_lo
	s_mov_b32 s12, exec_lo
	v_cmpx_gt_i64_e64 s[8:9], v[0:1]
	s_cbranch_execz .LBB128_116
; %bb.115:                              ;   in Loop: Header=BB128_85 Depth=1
	s_clause 0x2
	buffer_load_dword v0, off, s[36:39], 0 offset:68
	buffer_load_dword v1, off, s[36:39], 0 offset:72
	;; [unrolled: 1-line block ×3, first 2 shown]
	s_waitcnt vmcnt(2)
	v_add_co_u32 v0, vcc_lo, v0, v97
	s_waitcnt vmcnt(1)
	v_add_co_ci_u32_e64 v1, null, v1, v98, vcc_lo
	s_waitcnt vmcnt(0)
	v_add_co_u32 v99, vcc_lo, v27, v97
	buffer_load_dword v27, off, s[36:39], 0 offset:80 ; 4-byte Folded Reload
	s_waitcnt vmcnt(0)
	v_add_co_ci_u32_e64 v100, null, v27, v98, vcc_lo
	global_load_dwordx2 v[27:28], v[0:1], off
	global_load_dwordx2 v[123:124], v[99:100], off
.LBB128_116:                            ;   in Loop: Header=BB128_85 Depth=1
	s_or_b32 exec_lo, exec_lo, s12
	v_add_co_u32 v0, vcc_lo, 0xffffff0e, v109
	v_add_co_ci_u32_e64 v1, null, -1, v110, vcc_lo
	v_mov_b32_e32 v99, 0
	v_mov_b32_e32 v100, 0
	v_cmp_gt_i64_e32 vcc_lo, s[8:9], v[0:1]
	v_mov_b32_e32 v0, 0
	v_mov_b32_e32 v1, 0
	s_and_saveexec_b32 s12, vcc_lo
	s_cbranch_execz .LBB128_118
; %bb.117:                              ;   in Loop: Header=BB128_85 Depth=1
	s_clause 0x2
	buffer_load_dword v0, off, s[36:39], 0 offset:52
	buffer_load_dword v1, off, s[36:39], 0 offset:56
	;; [unrolled: 1-line block ×3, first 2 shown]
	s_waitcnt vmcnt(2)
	v_add_co_u32 v0, vcc_lo, v0, v97
	s_waitcnt vmcnt(1)
	v_add_co_ci_u32_e64 v1, null, v1, v98, vcc_lo
	s_waitcnt vmcnt(0)
	v_add_co_u32 v101, vcc_lo, v29, v97
	buffer_load_dword v29, off, s[36:39], 0 offset:64 ; 4-byte Folded Reload
	s_waitcnt vmcnt(0)
	v_add_co_ci_u32_e64 v102, null, v29, v98, vcc_lo
	global_load_dwordx2 v[29:30], v[0:1], off
	global_load_dwordx2 v[0:1], v[101:102], off
.LBB128_118:                            ;   in Loop: Header=BB128_85 Depth=1
	s_or_b32 exec_lo, exec_lo, s12
	v_add_co_u32 v101, vcc_lo, 0xffffff0f, v109
	v_add_co_ci_u32_e64 v102, null, -1, v110, vcc_lo
	s_mov_b32 s12, exec_lo
	v_cmpx_gt_i64_e64 s[8:9], v[101:102]
	s_cbranch_execz .LBB128_120
; %bb.119:                              ;   in Loop: Header=BB128_85 Depth=1
	s_clause 0x3
	buffer_load_dword v31, off, s[36:39], 0 offset:24
	buffer_load_dword v32, off, s[36:39], 0 offset:32
	;; [unrolled: 1-line block ×4, first 2 shown]
	s_waitcnt vmcnt(3)
	v_add_co_u32 v31, vcc_lo, v31, v97
	s_waitcnt vmcnt(2)
	v_add_co_ci_u32_e64 v32, null, v32, v98, vcc_lo
	s_waitcnt vmcnt(1)
	v_add_co_u32 v99, vcc_lo, v99, v97
	s_waitcnt vmcnt(0)
	v_add_co_ci_u32_e64 v100, null, v100, v98, vcc_lo
	global_load_dwordx2 v[31:32], v[31:32], off
	global_load_dwordx2 v[99:100], v[99:100], off
.LBB128_120:                            ;   in Loop: Header=BB128_85 Depth=1
	s_or_b32 exec_lo, exec_lo, s12
	v_add_co_u32 v101, vcc_lo, 0xffffff10, v109
	v_add_co_ci_u32_e64 v102, null, -1, v110, vcc_lo
	v_cmp_gt_i64_e32 vcc_lo, s[8:9], v[101:102]
	v_mov_b32_e32 v101, 0
	v_mov_b32_e32 v102, 0
	s_and_saveexec_b32 s12, vcc_lo
	s_cbranch_execz .LBB128_122
; %bb.121:                              ;   in Loop: Header=BB128_85 Depth=1
	s_clause 0x3
	buffer_load_dword v33, off, s[36:39], 0
	buffer_load_dword v34, off, s[36:39], 0 offset:4
	buffer_load_dword v101, off, s[36:39], 0 offset:8
	;; [unrolled: 1-line block ×3, first 2 shown]
	s_waitcnt vmcnt(3)
	v_add_co_u32 v33, vcc_lo, v33, v97
	s_waitcnt vmcnt(2)
	v_add_co_ci_u32_e64 v34, null, v34, v98, vcc_lo
	s_waitcnt vmcnt(1)
	v_add_co_u32 v101, vcc_lo, v101, v97
	s_waitcnt vmcnt(0)
	v_add_co_ci_u32_e64 v102, null, v102, v98, vcc_lo
	global_load_dwordx2 v[33:34], v[33:34], off
	global_load_dwordx2 v[101:102], v[101:102], off
.LBB128_122:                            ;   in Loop: Header=BB128_85 Depth=1
	s_or_b32 exec_lo, exec_lo, s12
	s_clause 0x1
	buffer_load_dword v111, off, s[36:39], 0 offset:244
	buffer_load_dword v112, off, s[36:39], 0 offset:248
	s_waitcnt vmcnt(2)
	v_mul_f64 v[0:1], v[0:1], v[29:30]
	v_mul_f64 v[29:30], v[99:100], v[31:32]
	;; [unrolled: 1-line block ×3, first 2 shown]
	ds_bpermute_b32 v33, v2, v95
	ds_bpermute_b32 v34, v2, v96
	v_mul_f64 v[7:8], v[117:118], v[7:8]
	v_mul_f64 v[21:22], v[121:122], v[21:22]
	;; [unrolled: 1-line block ×5, first 2 shown]
	s_mov_b32 s12, 0
	s_waitcnt vmcnt(0)
	v_mul_f64 v[3:4], v[111:112], v[3:4]
	s_clause 0x1
	buffer_load_dword v111, off, s[36:39], 0 offset:252
	buffer_load_dword v112, off, s[36:39], 0 offset:256
	s_waitcnt vmcnt(0)
	v_mul_f64 v[5:6], v[111:112], v[5:6]
	s_clause 0x1
	buffer_load_dword v111, off, s[36:39], 0 offset:268
	buffer_load_dword v112, off, s[36:39], 0 offset:272
	;; [unrolled: 5-line block ×7, first 2 shown]
	buffer_load_dword v99, off, s[36:39], 0 offset:236
	buffer_load_dword v100, off, s[36:39], 0 offset:240
	s_waitcnt vmcnt(2)
	v_mul_f64 v[19:20], v[111:112], v[19:20]
	s_waitcnt vmcnt(0) lgkmcnt(0)
	v_fma_f64 v[3:4], v[3:4], v[33:34], v[99:100]
	ds_bpermute_b32 v33, v2, v95 offset:4
	ds_bpermute_b32 v34, v2, v96 offset:4
	s_waitcnt lgkmcnt(0)
	v_fma_f64 v[3:4], v[5:6], v[33:34], v[3:4]
	ds_bpermute_b32 v5, v2, v95 offset:8
	ds_bpermute_b32 v6, v2, v96 offset:8
	s_waitcnt lgkmcnt(0)
	;; [unrolled: 4-line block ×15, first 2 shown]
	v_fma_f64 v[95:96], v[31:32], v[3:4], v[0:1]
.LBB128_123:                            ;   in Loop: Header=BB128_85 Depth=1
	s_and_b32 vcc_lo, exec_lo, s12
	s_cbranch_vccz .LBB128_129
; %bb.124:                              ;   in Loop: Header=BB128_85 Depth=1
	s_load_dword s12, s[0:1], 0x0
	s_waitcnt lgkmcnt(0)
	s_cmp_lt_u32 s6, s12
	s_cselect_b32 s12, 12, 18
	s_add_u32 s12, s0, s12
	s_addc_u32 s13, s1, 0
	global_load_ushort v0, v2, s[12:13]
	s_clause 0x1
	buffer_load_dword v1, off, s[36:39], 0 offset:232
	buffer_load_dword v3, off, s[36:39], 0 offset:12
	s_mov_b32 s12, exec_lo
	s_waitcnt vmcnt(0)
	v_mad_u32_u24 v0, v3, v0, v1
	v_mov_b32_e32 v3, 0
	v_mov_b32_e32 v4, 0
	v_and_b32_e32 v0, 31, v0
	v_cmpx_gt_u32_e32 16, v0
	s_cbranch_execz .LBB128_128
; %bb.125:                              ;   in Loop: Header=BB128_85 Depth=1
	v_add_co_u32 v0, vcc_lo, v109, v0
	v_add_co_ci_u32_e64 v1, null, 0, v110, vcc_lo
	v_mov_b32_e32 v3, 0
	v_add_co_u32 v0, vcc_lo, 0xffffff01, v0
	v_add_co_ci_u32_e64 v1, null, -1, v1, vcc_lo
	v_mov_b32_e32 v4, 0
	s_mov_b32 s13, exec_lo
	v_cmpx_gt_i64_e64 s[8:9], v[0:1]
	s_cbranch_execz .LBB128_127
; %bb.126:                              ;   in Loop: Header=BB128_85 Depth=1
	v_lshlrev_b64 v[0:1], 3, v[0:1]
	v_add_co_u32 v0, vcc_lo, s2, v0
	v_add_co_ci_u32_e64 v1, null, s3, v1, vcc_lo
	global_load_dwordx2 v[3:4], v[0:1], off
.LBB128_127:                            ;   in Loop: Header=BB128_85 Depth=1
	s_or_b32 exec_lo, exec_lo, s13
.LBB128_128:                            ;   in Loop: Header=BB128_85 Depth=1
	s_or_b32 exec_lo, exec_lo, s12
	v_add_co_u32 v0, vcc_lo, v127, v97
	v_add_co_ci_u32_e64 v1, null, v103, v98, vcc_lo
	v_add_co_u32 v5, vcc_lo, v104, v97
	v_add_co_ci_u32_e64 v6, null, v105, v98, vcc_lo
	global_load_dwordx2 v[0:1], v[0:1], off
	global_load_dwordx2 v[5:6], v[5:6], off
	s_clause 0x1
	buffer_load_dword v7, off, s[36:39], 0 offset:236
	buffer_load_dword v8, off, s[36:39], 0 offset:240
	s_waitcnt vmcnt(2)
	v_mul_f64 v[0:1], v[0:1], v[5:6]
	ds_bpermute_b32 v5, v2, v3
	ds_bpermute_b32 v6, v2, v4
	s_waitcnt vmcnt(0) lgkmcnt(0)
	v_fma_f64 v[0:1], v[0:1], v[5:6], v[7:8]
	v_add_co_u32 v5, vcc_lo, v35, v97
	v_add_co_ci_u32_e64 v6, null, v36, v98, vcc_lo
	v_add_co_u32 v7, vcc_lo, v53, v97
	v_add_co_ci_u32_e64 v8, null, v54, v98, vcc_lo
	global_load_dwordx2 v[5:6], v[5:6], off
	global_load_dwordx2 v[7:8], v[7:8], off
	s_waitcnt vmcnt(0)
	v_mul_f64 v[5:6], v[5:6], v[7:8]
	ds_bpermute_b32 v7, v2, v3 offset:4
	ds_bpermute_b32 v8, v2, v4 offset:4
	s_waitcnt lgkmcnt(0)
	v_fma_f64 v[0:1], v[5:6], v[7:8], v[0:1]
	v_add_co_u32 v5, vcc_lo, v37, v97
	v_add_co_ci_u32_e64 v6, null, v38, v98, vcc_lo
	v_add_co_u32 v7, vcc_lo, v57, v97
	v_add_co_ci_u32_e64 v8, null, v58, v98, vcc_lo
	global_load_dwordx2 v[5:6], v[5:6], off
	global_load_dwordx2 v[7:8], v[7:8], off
	s_waitcnt vmcnt(0)
	v_mul_f64 v[5:6], v[5:6], v[7:8]
	ds_bpermute_b32 v7, v2, v3 offset:8
	ds_bpermute_b32 v8, v2, v4 offset:8
	s_waitcnt lgkmcnt(0)
	;; [unrolled: 12-line block ×13, first 2 shown]
	v_fma_f64 v[0:1], v[5:6], v[7:8], v[0:1]
	v_add_co_u32 v5, vcc_lo, v87, v97
	v_add_co_ci_u32_e64 v6, null, v88, v98, vcc_lo
	v_add_co_u32 v7, vcc_lo, v89, v97
	v_add_co_ci_u32_e64 v8, null, v90, v98, vcc_lo
	global_load_dwordx2 v[5:6], v[5:6], off
	global_load_dwordx2 v[7:8], v[7:8], off
	s_waitcnt vmcnt(0)
	v_mul_f64 v[5:6], v[5:6], v[7:8]
	ds_bpermute_b32 v7, v2, v3 offset:56
	ds_bpermute_b32 v8, v2, v4 offset:56
	;; [unrolled: 1-line block ×4, first 2 shown]
	s_waitcnt lgkmcnt(2)
	v_fma_f64 v[0:1], v[5:6], v[7:8], v[0:1]
	v_add_co_u32 v5, vcc_lo, v91, v97
	v_add_co_ci_u32_e64 v6, null, v92, v98, vcc_lo
	v_add_co_u32 v7, vcc_lo, v93, v97
	v_add_co_ci_u32_e64 v8, null, v94, v98, vcc_lo
	global_load_dwordx2 v[5:6], v[5:6], off
	global_load_dwordx2 v[7:8], v[7:8], off
	s_waitcnt vmcnt(0)
	v_mul_f64 v[5:6], v[5:6], v[7:8]
	s_waitcnt lgkmcnt(0)
	v_fma_f64 v[95:96], v[5:6], v[3:4], v[0:1]
.LBB128_129:                            ;   in Loop: Header=BB128_85 Depth=1
	buffer_load_dword v0, off, s[36:39], 0  ; 4-byte Folded Reload
	v_add_co_u32 v127, vcc_lo, v127, s18
	v_add_co_ci_u32_e64 v103, null, s19, v103, vcc_lo
	v_add_co_u32 v104, vcc_lo, v104, s18
	v_add_co_ci_u32_e64 v105, null, s19, v105, vcc_lo
	;; [unrolled: 2-line block ×32, first 2 shown]
	s_add_u32 s16, s16, s7
	s_addc_u32 s17, s17, 0
	s_add_u32 s20, s20, s7
	v_cmp_ge_i64_e64 s12, s[16:17], s[8:9]
	s_addc_u32 s21, s21, 0
	s_waitcnt vmcnt(0)
	v_add_co_u32 v0, vcc_lo, v0, s18
	buffer_store_dword v0, off, s[36:39], 0 ; 4-byte Folded Spill
	buffer_load_dword v0, off, s[36:39], 0 offset:4 ; 4-byte Folded Reload
	s_waitcnt vmcnt(0)
	v_add_co_ci_u32_e64 v0, null, s19, v0, vcc_lo
	buffer_store_dword v0, off, s[36:39], 0 offset:4 ; 4-byte Folded Spill
	buffer_load_dword v0, off, s[36:39], 0 offset:8 ; 4-byte Folded Reload
	s_waitcnt vmcnt(0)
	v_add_co_u32 v0, vcc_lo, v0, s18
	buffer_store_dword v0, off, s[36:39], 0 offset:8 ; 4-byte Folded Spill
	buffer_load_dword v0, off, s[36:39], 0 offset:16 ; 4-byte Folded Reload
	s_waitcnt vmcnt(0)
	v_add_co_ci_u32_e64 v0, null, s19, v0, vcc_lo
	buffer_store_dword v0, off, s[36:39], 0 offset:16 ; 4-byte Folded Spill
	buffer_load_dword v0, off, s[36:39], 0 offset:24 ; 4-byte Folded Reload
	s_waitcnt vmcnt(0)
	v_add_co_u32 v0, vcc_lo, v0, s18
	buffer_store_dword v0, off, s[36:39], 0 offset:24 ; 4-byte Folded Spill
	;; [unrolled: 8-line block ×25, first 2 shown]
	buffer_load_dword v0, off, s[36:39], 0 offset:224 ; 4-byte Folded Reload
	s_waitcnt vmcnt(0)
	v_add_co_ci_u32_e64 v0, null, s19, v0, vcc_lo
	buffer_store_dword v0, off, s[36:39], 0 offset:224 ; 4-byte Folded Spill
	buffer_load_dword v0, off, s[36:39], 0 offset:228 ; 4-byte Folded Reload
	s_waitcnt vmcnt(0)
	v_add_co_u32 v0, vcc_lo, v0, s18
	v_add_co_ci_u32_e64 v113, null, s19, v113, vcc_lo
	v_add_co_u32 v114, vcc_lo, v114, s18
	v_add_co_ci_u32_e64 v115, null, s19, v115, vcc_lo
	v_add_co_u32 v116, vcc_lo, v116, s18
	v_add_co_ci_u32_e64 v106, null, s19, v106, vcc_lo
	v_add_co_u32 v107, vcc_lo, v107, s18
	v_add_co_ci_u32_e64 v108, null, s19, v108, vcc_lo
	s_and_b32 vcc_lo, exec_lo, s12
	buffer_store_dword v0, off, s[36:39], 0 offset:228 ; 4-byte Folded Spill
	s_cbranch_vccnz .LBB128_131
; %bb.130:                              ;   in Loop: Header=BB128_85 Depth=1
	buffer_store_dword v95, off, s[36:39], 0 offset:236 ; 4-byte Folded Spill
	buffer_store_dword v96, off, s[36:39], 0 offset:240 ; 4-byte Folded Spill
	s_branch .LBB128_85
.LBB128_131:
	buffer_load_dword v97, off, s[36:39], 0 offset:232 ; 4-byte Folded Reload
.LBB128_132:
	buffer_load_dword v3, off, s[36:39], 0 offset:12 ; 4-byte Folded Reload
	v_mov_b32_e32 v0, 0
	s_mov_b32 s0, exec_lo
	s_waitcnt vmcnt(0)
	v_mad_u32_u24 v1, 0x41, v3, v97
	v_lshl_add_u32 v2, v1, 3, 0
	v_sub_nc_u32_e32 v5, v1, v3
	v_mov_b32_e32 v1, v0
	ds_write_b64 v2, v[95:96]
	ds_write_b64 v2, v[0:1] offset:8320
	s_waitcnt lgkmcnt(0)
	s_waitcnt_vscnt null, 0x0
	s_barrier
	buffer_gl0_inv
	v_cmpx_gt_u32_e32 0x800, v5
	s_cbranch_execz .LBB128_142
; %bb.133:
	s_load_dwordx2 s[2:3], s[4:5], 0x30
	v_and_b32_e32 v0, 31, v97
	v_lshrrev_b32_e32 v4, 5, v5
	v_cmp_gt_u32_e32 vcc_lo, 16, v0
	v_mul_u32_u24_e32 v6, 0x41, v0
                                        ; implicit-def: $vgpr0_vgpr1
	s_and_saveexec_b32 s0, vcc_lo
	s_cbranch_execz .LBB128_135
; %bb.134:
	v_lshlrev_b32_e32 v0, 3, v4
	v_lshlrev_b32_e32 v1, 3, v6
	v_add3_u32 v0, 0, v0, v1
	ds_read_b64 v[0:1], v0
.LBB128_135:
	s_or_b32 exec_lo, exec_lo, s0
	v_mbcnt_lo_u32_b32 v10, -1, 0
	s_mov_b32 s7, 0
	s_lshl_b64 s[4:5], s[6:7], 6
	s_waitcnt lgkmcnt(0)
	s_cmp_eq_u64 s[2:3], 0
	v_xor_b32_e32 v2, 8, v10
	s_cselect_b32 s6, -1, 0
	v_cmp_gt_i32_e64 s0, 32, v2
	v_cndmask_b32_e64 v2, v10, v2, s0
	v_lshlrev_b32_e32 v7, 2, v2
	ds_bpermute_b32 v2, v7, v0
	ds_bpermute_b32 v3, v7, v1
	s_waitcnt lgkmcnt(0)
	v_add_f64 v[0:1], v[0:1], v[2:3]
	v_xor_b32_e32 v2, 4, v10
	v_cmp_gt_i32_e64 s0, 32, v2
	v_cndmask_b32_e64 v2, v10, v2, s0
	v_lshlrev_b32_e32 v8, 2, v2
	ds_bpermute_b32 v2, v8, v0
	ds_bpermute_b32 v3, v8, v1
	s_waitcnt lgkmcnt(0)
	v_add_f64 v[0:1], v[0:1], v[2:3]
	v_xor_b32_e32 v2, 2, v10
	;; [unrolled: 8-line block ×3, first 2 shown]
	v_cmp_gt_i32_e64 s0, 32, v2
	v_cndmask_b32_e64 v2, v10, v2, s0
	v_cmp_ne_u32_e64 s0, 0, v97
	v_lshlrev_b32_e32 v10, 2, v2
	ds_bpermute_b32 v2, v10, v0
	ds_bpermute_b32 v3, v10, v1
	s_waitcnt lgkmcnt(0)
	v_add_f64 v[0:1], v[0:1], v[2:3]
	v_or_b32_e32 v2, s4, v4
	v_mov_b32_e32 v3, s5
	v_cmp_le_i64_e64 s1, s[10:11], v[2:3]
	s_or_b32 s1, s0, s1
	s_nor_b32 s1, s6, s1
	s_and_saveexec_b32 s7, s1
	s_cbranch_execz .LBB128_137
; %bb.136:
	v_lshlrev_b64 v[2:3], 3, v[2:3]
	v_add_co_u32 v2, s1, s2, v2
	v_add_co_ci_u32_e64 v3, null, s3, v3, s1
	global_store_dwordx2 v[2:3], v[0:1], off
.LBB128_137:
	s_or_b32 exec_lo, exec_lo, s7
	v_cmp_gt_u32_e64 s1, 0x400, v5
	s_and_b32 exec_lo, exec_lo, s1
	s_cbranch_execz .LBB128_142
; %bb.138:
	s_and_saveexec_b32 s1, vcc_lo
	s_cbranch_execz .LBB128_140
; %bb.139:
	v_lshlrev_b32_e32 v0, 3, v4
	v_lshlrev_b32_e32 v1, 3, v6
	v_add3_u32 v0, 0, v0, v1
	ds_read_b64 v[0:1], v0 offset:256
.LBB128_140:
	s_or_b32 exec_lo, exec_lo, s1
	s_waitcnt lgkmcnt(0)
	ds_bpermute_b32 v2, v7, v0
	ds_bpermute_b32 v3, v7, v1
	v_add_nc_u32_e32 v5, 32, v4
	v_mov_b32_e32 v6, s5
	v_or_b32_e32 v5, s4, v5
	v_cmp_le_i64_e32 vcc_lo, s[10:11], v[5:6]
	s_or_b32 s0, s0, vcc_lo
	s_nor_b32 s0, s6, s0
	s_waitcnt lgkmcnt(0)
	v_add_f64 v[0:1], v[0:1], v[2:3]
	ds_bpermute_b32 v2, v8, v0
	ds_bpermute_b32 v3, v8, v1
	s_waitcnt lgkmcnt(0)
	v_add_f64 v[0:1], v[0:1], v[2:3]
	ds_bpermute_b32 v2, v9, v0
	ds_bpermute_b32 v3, v9, v1
	;; [unrolled: 4-line block ×3, first 2 shown]
	s_and_saveexec_b32 s1, s0
	s_xor_b32 s1, exec_lo, s1
	s_cbranch_execz .LBB128_142
; %bb.141:
	s_waitcnt lgkmcnt(0)
	v_add_f64 v[0:1], v[0:1], v[2:3]
	v_add_co_u32 v2, s0, s4, v4
	v_add_co_ci_u32_e64 v3, null, s5, 0, s0
	v_lshlrev_b64 v[2:3], 3, v[2:3]
	v_add_co_u32 v2, vcc_lo, s2, v2
	v_add_co_ci_u32_e64 v3, null, s3, v3, vcc_lo
	global_store_dwordx2 v[2:3], v[0:1], off offset:256
.LBB128_142:
	s_endpgm
	.section	.rodata,"a",@progbits
	.p2align	6, 0x0
	.amdhsa_kernel _ZN2at6native12_GLOBAL__N_135GammaBetaBackwardCUDAKernelTemplateIddLj64ELj16ELj256ELb0ELb0ELb1EEEvllPKT_S5_PKT0_S8_PS3_S9_
		.amdhsa_group_segment_fixed_size 0
		.amdhsa_private_segment_fixed_size 316
		.amdhsa_kernarg_size 320
		.amdhsa_user_sgpr_count 6
		.amdhsa_user_sgpr_private_segment_buffer 1
		.amdhsa_user_sgpr_dispatch_ptr 0
		.amdhsa_user_sgpr_queue_ptr 0
		.amdhsa_user_sgpr_kernarg_segment_ptr 1
		.amdhsa_user_sgpr_dispatch_id 0
		.amdhsa_user_sgpr_flat_scratch_init 0
		.amdhsa_user_sgpr_private_segment_size 0
		.amdhsa_wavefront_size32 1
		.amdhsa_uses_dynamic_stack 0
		.amdhsa_system_sgpr_private_segment_wavefront_offset 1
		.amdhsa_system_sgpr_workgroup_id_x 1
		.amdhsa_system_sgpr_workgroup_id_y 1
		.amdhsa_system_sgpr_workgroup_id_z 0
		.amdhsa_system_sgpr_workgroup_info 0
		.amdhsa_system_vgpr_workitem_id 1
		.amdhsa_next_free_vgpr 128
		.amdhsa_next_free_sgpr 40
		.amdhsa_reserve_vcc 1
		.amdhsa_reserve_flat_scratch 0
		.amdhsa_float_round_mode_32 0
		.amdhsa_float_round_mode_16_64 0
		.amdhsa_float_denorm_mode_32 3
		.amdhsa_float_denorm_mode_16_64 3
		.amdhsa_dx10_clamp 1
		.amdhsa_ieee_mode 1
		.amdhsa_fp16_overflow 0
		.amdhsa_workgroup_processor_mode 1
		.amdhsa_memory_ordered 1
		.amdhsa_forward_progress 1
		.amdhsa_shared_vgpr_count 0
		.amdhsa_exception_fp_ieee_invalid_op 0
		.amdhsa_exception_fp_denorm_src 0
		.amdhsa_exception_fp_ieee_div_zero 0
		.amdhsa_exception_fp_ieee_overflow 0
		.amdhsa_exception_fp_ieee_underflow 0
		.amdhsa_exception_fp_ieee_inexact 0
		.amdhsa_exception_int_div_zero 0
	.end_amdhsa_kernel
	.section	.text._ZN2at6native12_GLOBAL__N_135GammaBetaBackwardCUDAKernelTemplateIddLj64ELj16ELj256ELb0ELb0ELb1EEEvllPKT_S5_PKT0_S8_PS3_S9_,"axG",@progbits,_ZN2at6native12_GLOBAL__N_135GammaBetaBackwardCUDAKernelTemplateIddLj64ELj16ELj256ELb0ELb0ELb1EEEvllPKT_S5_PKT0_S8_PS3_S9_,comdat
.Lfunc_end128:
	.size	_ZN2at6native12_GLOBAL__N_135GammaBetaBackwardCUDAKernelTemplateIddLj64ELj16ELj256ELb0ELb0ELb1EEEvllPKT_S5_PKT0_S8_PS3_S9_, .Lfunc_end128-_ZN2at6native12_GLOBAL__N_135GammaBetaBackwardCUDAKernelTemplateIddLj64ELj16ELj256ELb0ELb0ELb1EEEvllPKT_S5_PKT0_S8_PS3_S9_
                                        ; -- End function
	.set _ZN2at6native12_GLOBAL__N_135GammaBetaBackwardCUDAKernelTemplateIddLj64ELj16ELj256ELb0ELb0ELb1EEEvllPKT_S5_PKT0_S8_PS3_S9_.num_vgpr, 128
	.set _ZN2at6native12_GLOBAL__N_135GammaBetaBackwardCUDAKernelTemplateIddLj64ELj16ELj256ELb0ELb0ELb1EEEvllPKT_S5_PKT0_S8_PS3_S9_.num_agpr, 0
	.set _ZN2at6native12_GLOBAL__N_135GammaBetaBackwardCUDAKernelTemplateIddLj64ELj16ELj256ELb0ELb0ELb1EEEvllPKT_S5_PKT0_S8_PS3_S9_.numbered_sgpr, 40
	.set _ZN2at6native12_GLOBAL__N_135GammaBetaBackwardCUDAKernelTemplateIddLj64ELj16ELj256ELb0ELb0ELb1EEEvllPKT_S5_PKT0_S8_PS3_S9_.num_named_barrier, 0
	.set _ZN2at6native12_GLOBAL__N_135GammaBetaBackwardCUDAKernelTemplateIddLj64ELj16ELj256ELb0ELb0ELb1EEEvllPKT_S5_PKT0_S8_PS3_S9_.private_seg_size, 316
	.set _ZN2at6native12_GLOBAL__N_135GammaBetaBackwardCUDAKernelTemplateIddLj64ELj16ELj256ELb0ELb0ELb1EEEvllPKT_S5_PKT0_S8_PS3_S9_.uses_vcc, 1
	.set _ZN2at6native12_GLOBAL__N_135GammaBetaBackwardCUDAKernelTemplateIddLj64ELj16ELj256ELb0ELb0ELb1EEEvllPKT_S5_PKT0_S8_PS3_S9_.uses_flat_scratch, 0
	.set _ZN2at6native12_GLOBAL__N_135GammaBetaBackwardCUDAKernelTemplateIddLj64ELj16ELj256ELb0ELb0ELb1EEEvllPKT_S5_PKT0_S8_PS3_S9_.has_dyn_sized_stack, 0
	.set _ZN2at6native12_GLOBAL__N_135GammaBetaBackwardCUDAKernelTemplateIddLj64ELj16ELj256ELb0ELb0ELb1EEEvllPKT_S5_PKT0_S8_PS3_S9_.has_recursion, 0
	.set _ZN2at6native12_GLOBAL__N_135GammaBetaBackwardCUDAKernelTemplateIddLj64ELj16ELj256ELb0ELb0ELb1EEEvllPKT_S5_PKT0_S8_PS3_S9_.has_indirect_call, 0
	.section	.AMDGPU.csdata,"",@progbits
; Kernel info:
; codeLenInByte = 19032
; TotalNumSgprs: 42
; NumVgprs: 128
; ScratchSize: 316
; MemoryBound: 0
; FloatMode: 240
; IeeeMode: 1
; LDSByteSize: 0 bytes/workgroup (compile time only)
; SGPRBlocks: 0
; VGPRBlocks: 15
; NumSGPRsForWavesPerEU: 42
; NumVGPRsForWavesPerEU: 128
; Occupancy: 8
; WaveLimiterHint : 0
; COMPUTE_PGM_RSRC2:SCRATCH_EN: 1
; COMPUTE_PGM_RSRC2:USER_SGPR: 6
; COMPUTE_PGM_RSRC2:TRAP_HANDLER: 0
; COMPUTE_PGM_RSRC2:TGID_X_EN: 1
; COMPUTE_PGM_RSRC2:TGID_Y_EN: 1
; COMPUTE_PGM_RSRC2:TGID_Z_EN: 0
; COMPUTE_PGM_RSRC2:TIDIG_COMP_CNT: 1
	.section	.text._ZN2at6native12_GLOBAL__N_135GammaBetaBackwardCUDAKernelTemplateIddLj32ELj1ELj32ELb1ELb1ELb1EEEvllPKT_S5_PKT0_S8_PS3_S9_,"axG",@progbits,_ZN2at6native12_GLOBAL__N_135GammaBetaBackwardCUDAKernelTemplateIddLj32ELj1ELj32ELb1ELb1ELb1EEEvllPKT_S5_PKT0_S8_PS3_S9_,comdat
	.globl	_ZN2at6native12_GLOBAL__N_135GammaBetaBackwardCUDAKernelTemplateIddLj32ELj1ELj32ELb1ELb1ELb1EEEvllPKT_S5_PKT0_S8_PS3_S9_ ; -- Begin function _ZN2at6native12_GLOBAL__N_135GammaBetaBackwardCUDAKernelTemplateIddLj32ELj1ELj32ELb1ELb1ELb1EEEvllPKT_S5_PKT0_S8_PS3_S9_
	.p2align	8
	.type	_ZN2at6native12_GLOBAL__N_135GammaBetaBackwardCUDAKernelTemplateIddLj32ELj1ELj32ELb1ELb1ELb1EEEvllPKT_S5_PKT0_S8_PS3_S9_,@function
_ZN2at6native12_GLOBAL__N_135GammaBetaBackwardCUDAKernelTemplateIddLj32ELj1ELj32ELb1ELb1ELb1EEEvllPKT_S5_PKT0_S8_PS3_S9_: ; @_ZN2at6native12_GLOBAL__N_135GammaBetaBackwardCUDAKernelTemplateIddLj32ELj1ELj32ELb1ELb1ELb1EEEvllPKT_S5_PKT0_S8_PS3_S9_
; %bb.0:
	s_clause 0x1
	s_load_dwordx4 s[0:3], s[4:5], 0x0
	s_load_dwordx2 s[12:13], s[4:5], 0x30
	s_lshl_b32 s14, s7, 5
	s_mov_b32 s15, 0
	v_mov_b32_e32 v10, 0
	v_mov_b32_e32 v11, 0
	s_waitcnt lgkmcnt(0)
	v_cmp_le_i64_e64 s8, s[0:1], s[14:15]
	s_and_b32 vcc_lo, exec_lo, s8
	s_cbranch_vccnz .LBB129_5
; %bb.1:
	s_clause 0x3
	s_load_dword s16, s[4:5], 0x4c
	s_load_dword s17, s[4:5], 0x44
	s_load_dwordx4 s[8:11], s[4:5], 0x10
	s_load_dwordx2 s[18:19], s[4:5], 0x28
	v_lshlrev_b32_e32 v4, 5, v1
	v_mov_b32_e32 v3, 0
	v_lshl_or_b32 v2, s6, 5, v0
	v_mov_b32_e32 v12, 4
	v_mov_b32_e32 v13, 8
	;; [unrolled: 1-line block ×13, first 2 shown]
	s_waitcnt lgkmcnt(0)
	s_and_b32 s16, s16, 0xffff
	v_mov_b32_e32 v25, 56
	v_mad_u32_u24 v5, v1, s16, v0
	v_add_co_u32 v9, s16, v4, s14
	v_add_co_ci_u32_e64 v10, null, 0, 0, s16
	v_and_b32_e32 v8, 31, v5
	v_mul_lo_u32 v6, s3, v9
	v_mad_u64_u32 v[4:5], null, s2, v9, 0
	v_mul_lo_u32 v7, s2, v10
	s_lshl_b32 s16, s17, 5
	v_mov_b32_e32 v26, 60
	s_mul_i32 s20, s3, s16
	s_mul_hi_u32 s21, s2, s16
	v_mov_b32_e32 v27, 64
	v_mov_b32_e32 v28, 0x44
	;; [unrolled: 1-line block ×3, first 2 shown]
	v_add3_u32 v5, v5, v7, v6
	v_mov_b32_e32 v30, 0x4c
	v_mov_b32_e32 v31, 0x50
	;; [unrolled: 1-line block ×4, first 2 shown]
	v_lshlrev_b64 v[6:7], 3, v[4:5]
	v_add_co_u32 v4, vcc_lo, v9, v8
	v_add_co_ci_u32_e64 v5, null, 0, v10, vcc_lo
	v_lshlrev_b64 v[8:9], 3, v[2:3]
	v_mov_b32_e32 v10, 0
	v_mov_b32_e32 v34, 0x5c
	v_lshlrev_b64 v[44:45], 3, v[4:5]
	v_mov_b32_e32 v35, 0x60
	v_mov_b32_e32 v36, 0x64
	v_add_co_u32 v2, vcc_lo, v6, v8
	v_add_co_ci_u32_e64 v43, null, v7, v9, vcc_lo
	v_add_co_u32 v6, vcc_lo, s18, v44
	v_mov_b32_e32 v37, 0x68
	v_mov_b32_e32 v38, 0x6c
	;; [unrolled: 1-line block ×7, first 2 shown]
	v_add_co_ci_u32_e64 v7, null, s19, v45, vcc_lo
	s_mov_b32 s17, s15
	s_add_i32 s21, s21, s20
	s_mul_i32 s20, s2, s16
	s_lshl_b64 s[22:23], s[2:3], 3
	s_lshl_b64 s[18:19], s[20:21], 3
	;; [unrolled: 1-line block ×3, first 2 shown]
	s_branch .LBB129_3
.LBB129_2:                              ;   in Loop: Header=BB129_3 Depth=1
	s_or_b32 exec_lo, exec_lo, s17
	v_add_co_u32 v44, vcc_lo, s8, v2
	v_add_co_ci_u32_e64 v45, null, s9, v43, vcc_lo
	v_add_co_u32 v46, vcc_lo, s10, v2
	v_add_co_ci_u32_e64 v47, null, s11, v43, vcc_lo
	global_load_dwordx2 v[48:49], v[44:45], off
	global_load_dwordx2 v[50:51], v[46:47], off
	v_add_co_u32 v44, vcc_lo, v44, s22
	v_add_co_ci_u32_e64 v45, null, s23, v45, vcc_lo
	v_add_co_u32 v46, vcc_lo, v46, s22
	v_add_co_ci_u32_e64 v47, null, s23, v47, vcc_lo
	global_load_dwordx2 v[52:53], v[44:45], off
	global_load_dwordx2 v[54:55], v[46:47], off
	v_add_co_u32 v44, vcc_lo, v44, s22
	v_add_co_ci_u32_e64 v45, null, s23, v45, vcc_lo
	v_add_co_u32 v46, vcc_lo, v46, s22
	v_add_co_ci_u32_e64 v47, null, s23, v47, vcc_lo
	global_load_dwordx2 v[56:57], v[44:45], off
	v_add_co_u32 v44, vcc_lo, v44, s22
	v_add_co_ci_u32_e64 v45, null, s23, v45, vcc_lo
	v_add_co_u32 v58, vcc_lo, v46, s22
	v_add_co_ci_u32_e64 v59, null, s23, v47, vcc_lo
	global_load_dwordx2 v[46:47], v[46:47], off
	s_add_u32 s14, s14, s16
	s_addc_u32 s15, s15, 0
	v_cmp_lt_i64_e64 s17, s[14:15], s[0:1]
	s_waitcnt vmcnt(4)
	v_mul_f64 v[48:49], v[48:49], v[50:51]
	ds_bpermute_b32 v50, v3, v8
	ds_bpermute_b32 v51, v3, v9
	s_waitcnt vmcnt(2)
	v_mul_f64 v[52:53], v[52:53], v[54:55]
	ds_bpermute_b32 v54, v12, v8
	ds_bpermute_b32 v55, v12, v9
	s_waitcnt lgkmcnt(2)
	v_fma_f64 v[10:11], v[48:49], v[50:51], v[10:11]
	global_load_dwordx2 v[48:49], v[44:45], off
	global_load_dwordx2 v[50:51], v[58:59], off
	v_add_co_u32 v44, vcc_lo, v44, s22
	v_add_co_ci_u32_e64 v45, null, s23, v45, vcc_lo
	s_waitcnt lgkmcnt(0)
	v_fma_f64 v[10:11], v[52:53], v[54:55], v[10:11]
	v_add_co_u32 v52, vcc_lo, v58, s22
	v_add_co_ci_u32_e64 v53, null, s23, v59, vcc_lo
	global_load_dwordx2 v[54:55], v[44:45], off
	v_add_co_u32 v44, vcc_lo, v44, s22
	v_add_co_ci_u32_e64 v45, null, s23, v45, vcc_lo
	v_add_co_u32 v58, vcc_lo, v52, s22
	v_add_co_ci_u32_e64 v59, null, s23, v53, vcc_lo
	global_load_dwordx2 v[52:53], v[52:53], off
	s_waitcnt vmcnt(4)
	v_mul_f64 v[46:47], v[56:57], v[46:47]
	ds_bpermute_b32 v56, v13, v8
	ds_bpermute_b32 v57, v13, v9
	s_waitcnt lgkmcnt(0)
	v_fma_f64 v[10:11], v[46:47], v[56:57], v[10:11]
	global_load_dwordx2 v[46:47], v[44:45], off
	v_add_co_u32 v44, vcc_lo, v44, s22
	v_add_co_ci_u32_e64 v45, null, s23, v45, vcc_lo
	v_add_co_u32 v56, vcc_lo, v58, s22
	v_add_co_ci_u32_e64 v57, null, s23, v59, vcc_lo
	global_load_dwordx2 v[58:59], v[58:59], off
	s_waitcnt vmcnt(4)
	v_mul_f64 v[48:49], v[48:49], v[50:51]
	ds_bpermute_b32 v50, v14, v8
	ds_bpermute_b32 v51, v14, v9
	s_waitcnt lgkmcnt(0)
	v_fma_f64 v[10:11], v[48:49], v[50:51], v[10:11]
	global_load_dwordx2 v[48:49], v[44:45], off
	global_load_dwordx2 v[50:51], v[56:57], off
	v_add_co_u32 v44, vcc_lo, v44, s22
	v_add_co_ci_u32_e64 v45, null, s23, v45, vcc_lo
	s_waitcnt vmcnt(4)
	v_mul_f64 v[52:53], v[54:55], v[52:53]
	ds_bpermute_b32 v54, v15, v8
	ds_bpermute_b32 v55, v15, v9
	s_waitcnt lgkmcnt(0)
	v_fma_f64 v[10:11], v[52:53], v[54:55], v[10:11]
	v_add_co_u32 v52, vcc_lo, v56, s22
	v_add_co_ci_u32_e64 v53, null, s23, v57, vcc_lo
	global_load_dwordx2 v[54:55], v[44:45], off
	v_add_co_u32 v44, vcc_lo, v44, s22
	v_add_co_ci_u32_e64 v45, null, s23, v45, vcc_lo
	v_add_co_u32 v56, vcc_lo, v52, s22
	v_add_co_ci_u32_e64 v57, null, s23, v53, vcc_lo
	global_load_dwordx2 v[52:53], v[52:53], off
	s_waitcnt vmcnt(4)
	v_mul_f64 v[46:47], v[46:47], v[58:59]
	ds_bpermute_b32 v58, v16, v8
	ds_bpermute_b32 v59, v16, v9
	s_waitcnt lgkmcnt(0)
	v_fma_f64 v[10:11], v[46:47], v[58:59], v[10:11]
	global_load_dwordx2 v[46:47], v[44:45], off
	v_add_co_u32 v44, vcc_lo, v44, s22
	v_add_co_ci_u32_e64 v45, null, s23, v45, vcc_lo
	v_add_co_u32 v58, vcc_lo, v56, s22
	v_add_co_ci_u32_e64 v59, null, s23, v57, vcc_lo
	global_load_dwordx2 v[56:57], v[56:57], off
	s_waitcnt vmcnt(4)
	v_mul_f64 v[48:49], v[48:49], v[50:51]
	ds_bpermute_b32 v50, v17, v8
	ds_bpermute_b32 v51, v17, v9
	s_waitcnt lgkmcnt(0)
	v_fma_f64 v[10:11], v[48:49], v[50:51], v[10:11]
	global_load_dwordx2 v[48:49], v[44:45], off
	global_load_dwordx2 v[50:51], v[58:59], off
	v_add_co_u32 v44, vcc_lo, v44, s22
	v_add_co_ci_u32_e64 v45, null, s23, v45, vcc_lo
	s_waitcnt vmcnt(4)
	v_mul_f64 v[52:53], v[54:55], v[52:53]
	ds_bpermute_b32 v54, v18, v8
	ds_bpermute_b32 v55, v18, v9
	;; [unrolled: 36-line block ×5, first 2 shown]
	s_waitcnt lgkmcnt(0)
	v_fma_f64 v[10:11], v[52:53], v[54:55], v[10:11]
	v_add_co_u32 v52, vcc_lo, v56, s22
	v_add_co_ci_u32_e64 v53, null, s23, v57, vcc_lo
	global_load_dwordx2 v[54:55], v[44:45], off
	v_add_co_u32 v44, vcc_lo, v44, s22
	v_add_co_ci_u32_e64 v45, null, s23, v45, vcc_lo
	v_add_co_u32 v56, vcc_lo, v52, s22
	s_waitcnt vmcnt(3)
	v_mul_f64 v[46:47], v[46:47], v[58:59]
	v_add_co_ci_u32_e64 v57, null, s23, v53, vcc_lo
	global_load_dwordx2 v[52:53], v[52:53], off
	ds_bpermute_b32 v58, v28, v8
	ds_bpermute_b32 v59, v28, v9
	s_waitcnt lgkmcnt(0)
	v_fma_f64 v[10:11], v[46:47], v[58:59], v[10:11]
	global_load_dwordx2 v[46:47], v[44:45], off
	v_add_co_u32 v44, vcc_lo, v44, s22
	v_add_co_ci_u32_e64 v45, null, s23, v45, vcc_lo
	v_add_co_u32 v58, vcc_lo, v56, s22
	v_add_co_ci_u32_e64 v59, null, s23, v57, vcc_lo
	global_load_dwordx2 v[56:57], v[56:57], off
	s_waitcnt vmcnt(4)
	v_mul_f64 v[48:49], v[48:49], v[50:51]
	ds_bpermute_b32 v50, v29, v8
	ds_bpermute_b32 v51, v29, v9
	s_waitcnt lgkmcnt(0)
	v_fma_f64 v[10:11], v[48:49], v[50:51], v[10:11]
	global_load_dwordx2 v[48:49], v[44:45], off
	global_load_dwordx2 v[50:51], v[58:59], off
	v_add_co_u32 v44, vcc_lo, v44, s22
	v_add_co_ci_u32_e64 v45, null, s23, v45, vcc_lo
	s_waitcnt vmcnt(4)
	v_mul_f64 v[52:53], v[54:55], v[52:53]
	ds_bpermute_b32 v54, v30, v8
	ds_bpermute_b32 v55, v30, v9
	s_waitcnt lgkmcnt(0)
	v_fma_f64 v[10:11], v[52:53], v[54:55], v[10:11]
	v_add_co_u32 v52, vcc_lo, v58, s22
	v_add_co_ci_u32_e64 v53, null, s23, v59, vcc_lo
	global_load_dwordx2 v[54:55], v[44:45], off
	v_add_co_u32 v44, vcc_lo, v44, s22
	v_add_co_ci_u32_e64 v45, null, s23, v45, vcc_lo
	s_waitcnt vmcnt(3)
	v_mul_f64 v[46:47], v[46:47], v[56:57]
	ds_bpermute_b32 v56, v31, v8
	ds_bpermute_b32 v57, v31, v9
	v_add_co_u32 v58, vcc_lo, v52, s22
	v_add_co_ci_u32_e64 v59, null, s23, v53, vcc_lo
	global_load_dwordx2 v[52:53], v[52:53], off
	s_waitcnt lgkmcnt(0)
	v_fma_f64 v[10:11], v[46:47], v[56:57], v[10:11]
	global_load_dwordx2 v[46:47], v[44:45], off
	v_add_co_u32 v44, vcc_lo, v44, s22
	v_add_co_ci_u32_e64 v45, null, s23, v45, vcc_lo
	v_add_co_u32 v56, vcc_lo, v58, s22
	v_add_co_ci_u32_e64 v57, null, s23, v59, vcc_lo
	global_load_dwordx2 v[58:59], v[58:59], off
	s_waitcnt vmcnt(4)
	v_mul_f64 v[48:49], v[48:49], v[50:51]
	ds_bpermute_b32 v50, v32, v8
	ds_bpermute_b32 v51, v32, v9
	s_waitcnt lgkmcnt(0)
	v_fma_f64 v[10:11], v[48:49], v[50:51], v[10:11]
	global_load_dwordx2 v[48:49], v[44:45], off
	global_load_dwordx2 v[50:51], v[56:57], off
	v_add_co_u32 v44, vcc_lo, v44, s22
	v_add_co_ci_u32_e64 v45, null, s23, v45, vcc_lo
	s_waitcnt vmcnt(4)
	v_mul_f64 v[52:53], v[54:55], v[52:53]
	ds_bpermute_b32 v54, v33, v8
	ds_bpermute_b32 v55, v33, v9
	s_waitcnt lgkmcnt(0)
	v_fma_f64 v[10:11], v[52:53], v[54:55], v[10:11]
	ds_bpermute_b32 v52, v34, v8
	ds_bpermute_b32 v53, v34, v9
	s_waitcnt vmcnt(2)
	v_mul_f64 v[46:47], v[46:47], v[58:59]
	v_add_co_u32 v54, vcc_lo, v56, s22
	v_add_co_ci_u32_e64 v55, null, s23, v57, vcc_lo
	global_load_dwordx2 v[58:59], v[44:45], off
	v_add_co_u32 v44, vcc_lo, v44, s22
	v_add_co_ci_u32_e64 v45, null, s23, v45, vcc_lo
	ds_bpermute_b32 v56, v35, v8
	ds_bpermute_b32 v57, v35, v9
	s_waitcnt lgkmcnt(2)
	v_fma_f64 v[10:11], v[46:47], v[52:53], v[10:11]
	global_load_dwordx2 v[46:47], v[54:55], off
	v_add_co_u32 v52, vcc_lo, v54, s22
	v_add_co_ci_u32_e64 v53, null, s23, v55, vcc_lo
	v_add_co_u32 v54, vcc_lo, v44, s22
	v_add_co_ci_u32_e64 v55, null, s23, v45, vcc_lo
	global_load_dwordx2 v[44:45], v[44:45], off
	s_waitcnt vmcnt(3)
	v_mul_f64 v[48:49], v[48:49], v[50:51]
	v_add_co_u32 v50, vcc_lo, v52, s22
	v_add_co_ci_u32_e64 v51, null, s23, v53, vcc_lo
	global_load_dwordx2 v[52:53], v[52:53], off
	s_waitcnt lgkmcnt(0)
	v_fma_f64 v[10:11], v[48:49], v[56:57], v[10:11]
	global_load_dwordx2 v[48:49], v[54:55], off
	global_load_dwordx2 v[56:57], v[50:51], off
	v_add_co_u32 v54, vcc_lo, v54, s22
	v_add_co_ci_u32_e64 v55, null, s23, v55, vcc_lo
	s_waitcnt vmcnt(4)
	v_mul_f64 v[46:47], v[58:59], v[46:47]
	ds_bpermute_b32 v58, v36, v8
	ds_bpermute_b32 v59, v36, v9
	s_waitcnt lgkmcnt(0)
	v_fma_f64 v[10:11], v[46:47], v[58:59], v[10:11]
	v_add_co_u32 v46, vcc_lo, v50, s22
	v_add_co_ci_u32_e64 v47, null, s23, v51, vcc_lo
	global_load_dwordx2 v[50:51], v[54:55], off
	v_add_co_u32 v54, vcc_lo, v54, s22
	v_add_co_ci_u32_e64 v55, null, s23, v55, vcc_lo
	v_add_co_u32 v58, vcc_lo, v46, s22
	v_add_co_ci_u32_e64 v59, null, s23, v47, vcc_lo
	global_load_dwordx2 v[46:47], v[46:47], off
	s_waitcnt vmcnt(4)
	v_mul_f64 v[44:45], v[44:45], v[52:53]
	ds_bpermute_b32 v52, v37, v8
	ds_bpermute_b32 v53, v37, v9
	s_waitcnt vmcnt(2)
	v_mul_f64 v[48:49], v[48:49], v[56:57]
	ds_bpermute_b32 v56, v38, v8
	ds_bpermute_b32 v57, v38, v9
	s_waitcnt lgkmcnt(2)
	v_fma_f64 v[10:11], v[44:45], v[52:53], v[10:11]
	v_add_co_u32 v52, vcc_lo, v54, s22
	global_load_dwordx2 v[44:45], v[54:55], off
	v_add_co_ci_u32_e64 v53, null, s23, v55, vcc_lo
	v_add_co_u32 v54, vcc_lo, v58, s22
	v_add_co_ci_u32_e64 v55, null, s23, v59, vcc_lo
	global_load_dwordx2 v[58:59], v[58:59], off
	s_waitcnt lgkmcnt(0)
	v_fma_f64 v[10:11], v[48:49], v[56:57], v[10:11]
	global_load_dwordx2 v[48:49], v[52:53], off
	v_add_co_u32 v52, vcc_lo, v52, s22
	v_add_co_ci_u32_e64 v53, null, s23, v53, vcc_lo
	v_add_co_u32 v56, vcc_lo, v54, s22
	v_add_co_ci_u32_e64 v57, null, s23, v55, vcc_lo
	global_load_dwordx2 v[54:55], v[54:55], off
	global_load_dwordx2 v[52:53], v[52:53], off
	;; [unrolled: 1-line block ×3, first 2 shown]
	v_add_co_u32 v2, vcc_lo, v2, s18
	v_add_co_ci_u32_e64 v43, null, s19, v43, vcc_lo
	v_add_co_u32 v6, vcc_lo, v6, s20
	v_add_co_ci_u32_e64 v7, null, s21, v7, vcc_lo
	;; [unrolled: 2-line block ×3, first 2 shown]
	s_and_b32 vcc_lo, exec_lo, s17
	s_waitcnt vmcnt(6)
	v_mul_f64 v[46:47], v[50:51], v[46:47]
	ds_bpermute_b32 v50, v39, v8
	ds_bpermute_b32 v51, v39, v9
	s_waitcnt lgkmcnt(0)
	v_fma_f64 v[10:11], v[46:47], v[50:51], v[10:11]
	ds_bpermute_b32 v46, v40, v8
	ds_bpermute_b32 v47, v40, v9
	s_waitcnt vmcnt(4)
	v_mul_f64 v[44:45], v[44:45], v[58:59]
	s_waitcnt vmcnt(2)
	v_mul_f64 v[48:49], v[48:49], v[54:55]
	s_waitcnt lgkmcnt(0)
	v_fma_f64 v[10:11], v[44:45], v[46:47], v[10:11]
	ds_bpermute_b32 v44, v41, v8
	ds_bpermute_b32 v45, v41, v9
	;; [unrolled: 1-line block ×4, first 2 shown]
	s_waitcnt lgkmcnt(2)
	v_fma_f64 v[10:11], v[48:49], v[44:45], v[10:11]
	s_waitcnt vmcnt(0)
	v_mul_f64 v[44:45], v[52:53], v[56:57]
	s_waitcnt lgkmcnt(0)
	v_fma_f64 v[10:11], v[44:45], v[8:9], v[10:11]
	s_cbranch_vccz .LBB129_5
.LBB129_3:                              ; =>This Inner Loop Header: Depth=1
	v_mov_b32_e32 v8, 0
	v_mov_b32_e32 v9, 0
	s_mov_b32 s17, exec_lo
	v_cmpx_gt_i64_e64 s[0:1], v[4:5]
	s_cbranch_execz .LBB129_2
; %bb.4:                                ;   in Loop: Header=BB129_3 Depth=1
	global_load_dwordx2 v[8:9], v[6:7], off
	s_branch .LBB129_2
.LBB129_5:
	s_cmp_eq_u64 s[12:13], 0
	s_cbranch_scc1 .LBB129_7
; %bb.6:
	s_load_dword s0, s[4:5], 0x4c
	v_mov_b32_e32 v2, 0
	v_lshlrev_b32_e32 v0, 3, v0
	s_waitcnt lgkmcnt(0)
	s_lshr_b32 s0, s0, 16
	v_mad_u64_u32 v[1:2], null, s0, s7, v[1:2]
	s_mov_b32 s7, 0
	s_lshl_b64 s[0:1], s[6:7], 8
	v_mul_lo_u32 v3, v2, s2
	v_mul_lo_u32 v4, v1, s3
	v_mad_u64_u32 v[1:2], null, v1, s2, 0
	v_add3_u32 v2, v2, v4, v3
	v_lshlrev_b64 v[1:2], 3, v[1:2]
	v_add_co_u32 v1, vcc_lo, s12, v1
	v_add_co_ci_u32_e64 v2, null, s13, v2, vcc_lo
	v_add_co_u32 v1, vcc_lo, v1, s0
	v_add_co_ci_u32_e64 v2, null, s1, v2, vcc_lo
	;; [unrolled: 2-line block ×3, first 2 shown]
	global_store_dwordx2 v[0:1], v[10:11], off
.LBB129_7:
	s_endpgm
	.section	.rodata,"a",@progbits
	.p2align	6, 0x0
	.amdhsa_kernel _ZN2at6native12_GLOBAL__N_135GammaBetaBackwardCUDAKernelTemplateIddLj32ELj1ELj32ELb1ELb1ELb1EEEvllPKT_S5_PKT0_S8_PS3_S9_
		.amdhsa_group_segment_fixed_size 0
		.amdhsa_private_segment_fixed_size 0
		.amdhsa_kernarg_size 320
		.amdhsa_user_sgpr_count 6
		.amdhsa_user_sgpr_private_segment_buffer 1
		.amdhsa_user_sgpr_dispatch_ptr 0
		.amdhsa_user_sgpr_queue_ptr 0
		.amdhsa_user_sgpr_kernarg_segment_ptr 1
		.amdhsa_user_sgpr_dispatch_id 0
		.amdhsa_user_sgpr_flat_scratch_init 0
		.amdhsa_user_sgpr_private_segment_size 0
		.amdhsa_wavefront_size32 1
		.amdhsa_uses_dynamic_stack 0
		.amdhsa_system_sgpr_private_segment_wavefront_offset 0
		.amdhsa_system_sgpr_workgroup_id_x 1
		.amdhsa_system_sgpr_workgroup_id_y 1
		.amdhsa_system_sgpr_workgroup_id_z 0
		.amdhsa_system_sgpr_workgroup_info 0
		.amdhsa_system_vgpr_workitem_id 1
		.amdhsa_next_free_vgpr 60
		.amdhsa_next_free_sgpr 24
		.amdhsa_reserve_vcc 1
		.amdhsa_reserve_flat_scratch 0
		.amdhsa_float_round_mode_32 0
		.amdhsa_float_round_mode_16_64 0
		.amdhsa_float_denorm_mode_32 3
		.amdhsa_float_denorm_mode_16_64 3
		.amdhsa_dx10_clamp 1
		.amdhsa_ieee_mode 1
		.amdhsa_fp16_overflow 0
		.amdhsa_workgroup_processor_mode 1
		.amdhsa_memory_ordered 1
		.amdhsa_forward_progress 1
		.amdhsa_shared_vgpr_count 0
		.amdhsa_exception_fp_ieee_invalid_op 0
		.amdhsa_exception_fp_denorm_src 0
		.amdhsa_exception_fp_ieee_div_zero 0
		.amdhsa_exception_fp_ieee_overflow 0
		.amdhsa_exception_fp_ieee_underflow 0
		.amdhsa_exception_fp_ieee_inexact 0
		.amdhsa_exception_int_div_zero 0
	.end_amdhsa_kernel
	.section	.text._ZN2at6native12_GLOBAL__N_135GammaBetaBackwardCUDAKernelTemplateIddLj32ELj1ELj32ELb1ELb1ELb1EEEvllPKT_S5_PKT0_S8_PS3_S9_,"axG",@progbits,_ZN2at6native12_GLOBAL__N_135GammaBetaBackwardCUDAKernelTemplateIddLj32ELj1ELj32ELb1ELb1ELb1EEEvllPKT_S5_PKT0_S8_PS3_S9_,comdat
.Lfunc_end129:
	.size	_ZN2at6native12_GLOBAL__N_135GammaBetaBackwardCUDAKernelTemplateIddLj32ELj1ELj32ELb1ELb1ELb1EEEvllPKT_S5_PKT0_S8_PS3_S9_, .Lfunc_end129-_ZN2at6native12_GLOBAL__N_135GammaBetaBackwardCUDAKernelTemplateIddLj32ELj1ELj32ELb1ELb1ELb1EEEvllPKT_S5_PKT0_S8_PS3_S9_
                                        ; -- End function
	.set _ZN2at6native12_GLOBAL__N_135GammaBetaBackwardCUDAKernelTemplateIddLj32ELj1ELj32ELb1ELb1ELb1EEEvllPKT_S5_PKT0_S8_PS3_S9_.num_vgpr, 60
	.set _ZN2at6native12_GLOBAL__N_135GammaBetaBackwardCUDAKernelTemplateIddLj32ELj1ELj32ELb1ELb1ELb1EEEvllPKT_S5_PKT0_S8_PS3_S9_.num_agpr, 0
	.set _ZN2at6native12_GLOBAL__N_135GammaBetaBackwardCUDAKernelTemplateIddLj32ELj1ELj32ELb1ELb1ELb1EEEvllPKT_S5_PKT0_S8_PS3_S9_.numbered_sgpr, 24
	.set _ZN2at6native12_GLOBAL__N_135GammaBetaBackwardCUDAKernelTemplateIddLj32ELj1ELj32ELb1ELb1ELb1EEEvllPKT_S5_PKT0_S8_PS3_S9_.num_named_barrier, 0
	.set _ZN2at6native12_GLOBAL__N_135GammaBetaBackwardCUDAKernelTemplateIddLj32ELj1ELj32ELb1ELb1ELb1EEEvllPKT_S5_PKT0_S8_PS3_S9_.private_seg_size, 0
	.set _ZN2at6native12_GLOBAL__N_135GammaBetaBackwardCUDAKernelTemplateIddLj32ELj1ELj32ELb1ELb1ELb1EEEvllPKT_S5_PKT0_S8_PS3_S9_.uses_vcc, 1
	.set _ZN2at6native12_GLOBAL__N_135GammaBetaBackwardCUDAKernelTemplateIddLj32ELj1ELj32ELb1ELb1ELb1EEEvllPKT_S5_PKT0_S8_PS3_S9_.uses_flat_scratch, 0
	.set _ZN2at6native12_GLOBAL__N_135GammaBetaBackwardCUDAKernelTemplateIddLj32ELj1ELj32ELb1ELb1ELb1EEEvllPKT_S5_PKT0_S8_PS3_S9_.has_dyn_sized_stack, 0
	.set _ZN2at6native12_GLOBAL__N_135GammaBetaBackwardCUDAKernelTemplateIddLj32ELj1ELj32ELb1ELb1ELb1EEEvllPKT_S5_PKT0_S8_PS3_S9_.has_recursion, 0
	.set _ZN2at6native12_GLOBAL__N_135GammaBetaBackwardCUDAKernelTemplateIddLj32ELj1ELj32ELb1ELb1ELb1EEEvllPKT_S5_PKT0_S8_PS3_S9_.has_indirect_call, 0
	.section	.AMDGPU.csdata,"",@progbits
; Kernel info:
; codeLenInByte = 3560
; TotalNumSgprs: 26
; NumVgprs: 60
; ScratchSize: 0
; MemoryBound: 0
; FloatMode: 240
; IeeeMode: 1
; LDSByteSize: 0 bytes/workgroup (compile time only)
; SGPRBlocks: 0
; VGPRBlocks: 7
; NumSGPRsForWavesPerEU: 26
; NumVGPRsForWavesPerEU: 60
; Occupancy: 16
; WaveLimiterHint : 0
; COMPUTE_PGM_RSRC2:SCRATCH_EN: 0
; COMPUTE_PGM_RSRC2:USER_SGPR: 6
; COMPUTE_PGM_RSRC2:TRAP_HANDLER: 0
; COMPUTE_PGM_RSRC2:TGID_X_EN: 1
; COMPUTE_PGM_RSRC2:TGID_Y_EN: 1
; COMPUTE_PGM_RSRC2:TGID_Z_EN: 0
; COMPUTE_PGM_RSRC2:TIDIG_COMP_CNT: 1
	.section	.text._ZN2at6native12_GLOBAL__N_135GammaBetaBackwardCUDAKernelTemplateIddLj32ELj1ELj32ELb1ELb0ELb1EEEvllPKT_S5_PKT0_S8_PS3_S9_,"axG",@progbits,_ZN2at6native12_GLOBAL__N_135GammaBetaBackwardCUDAKernelTemplateIddLj32ELj1ELj32ELb1ELb0ELb1EEEvllPKT_S5_PKT0_S8_PS3_S9_,comdat
	.globl	_ZN2at6native12_GLOBAL__N_135GammaBetaBackwardCUDAKernelTemplateIddLj32ELj1ELj32ELb1ELb0ELb1EEEvllPKT_S5_PKT0_S8_PS3_S9_ ; -- Begin function _ZN2at6native12_GLOBAL__N_135GammaBetaBackwardCUDAKernelTemplateIddLj32ELj1ELj32ELb1ELb0ELb1EEEvllPKT_S5_PKT0_S8_PS3_S9_
	.p2align	8
	.type	_ZN2at6native12_GLOBAL__N_135GammaBetaBackwardCUDAKernelTemplateIddLj32ELj1ELj32ELb1ELb0ELb1EEEvllPKT_S5_PKT0_S8_PS3_S9_,@function
_ZN2at6native12_GLOBAL__N_135GammaBetaBackwardCUDAKernelTemplateIddLj32ELj1ELj32ELb1ELb0ELb1EEEvllPKT_S5_PKT0_S8_PS3_S9_: ; @_ZN2at6native12_GLOBAL__N_135GammaBetaBackwardCUDAKernelTemplateIddLj32ELj1ELj32ELb1ELb0ELb1EEEvllPKT_S5_PKT0_S8_PS3_S9_
; %bb.0:
	s_mov_b64 s[38:39], s[2:3]
	s_mov_b64 s[36:37], s[0:1]
	s_mov_b32 s0, s7
	s_add_u32 s36, s36, s8
	s_addc_u32 s37, s37, 0
	s_lshl_b32 s7, s6, 5
	buffer_store_dword v1, off, s[36:39], 0 offset:348 ; 4-byte Folded Spill
	buffer_store_dword v2, off, s[36:39], 0 offset:352 ; 4-byte Folded Spill
	;; [unrolled: 1-line block ×3, first 2 shown]
	s_clause 0x1
	s_load_dwordx8 s[8:15], s[4:5], 0x0
	s_load_dwordx2 s[16:17], s[4:5], 0x28
	s_mov_b32 s19, 0
	s_or_b32 s18, s7, 31
	s_waitcnt lgkmcnt(0)
	v_cmp_le_i64_e64 s1, s[10:11], s[18:19]
	s_lshl_b32 s18, s0, 5
	v_cmp_gt_i64_e64 s26, s[8:9], s[18:19]
	s_and_b32 vcc_lo, exec_lo, s1
	v_cndmask_b32_e64 v0, 0, 1, s26
	v_cmp_ne_u32_e64 s1, 1, v0
	s_cbranch_vccz .LBB130_140
; %bb.1:
	v_mov_b32_e32 v126, 0
	v_mov_b32_e32 v127, 0
	s_and_b32 vcc_lo, exec_lo, s1
	s_cbranch_vccnz .LBB130_141
; %bb.2:
	s_clause 0x2
	buffer_load_dword v0, off, s[36:39], 0 offset:348
	buffer_load_dword v1, off, s[36:39], 0 offset:352
	;; [unrolled: 1-line block ×3, first 2 shown]
	v_mov_b32_e32 v3, 0
	s_load_dword s2, s[4:5], 0x44
	s_add_u32 s20, s4, 64
	s_addc_u32 s21, s5, 0
	v_mov_b32_e32 v126, 0
	v_mov_b32_e32 v137, v3
	;; [unrolled: 1-line block ×3, first 2 shown]
	s_mov_b64 s[24:25], s[18:19]
	s_waitcnt lgkmcnt(0)
	s_lshl_b32 s27, s2, 5
	s_mul_i32 s2, s11, s27
	s_mul_hi_u32 s3, s10, s27
	s_mul_i32 s22, s10, s27
	s_add_i32 s23, s3, s2
	s_waitcnt vmcnt(2)
	v_lshlrev_b32_e32 v136, 5, v0
	s_waitcnt vmcnt(0)
	v_add_nc_u32_e32 v2, s7, v2
	v_add_co_u32 v0, s1, v136, s18
	v_add_co_ci_u32_e64 v1, null, 0, 0, s1
	v_cmp_gt_i64_e64 s1, s[10:11], v[2:3]
	v_mul_lo_u32 v8, s11, v0
	v_mad_u64_u32 v[6:7], null, s10, v0, 0
	v_mul_lo_u32 v9, s10, v1
	v_lshlrev_b64 v[4:5], 3, v[2:3]
	v_add_co_u32 v2, vcc_lo, v0, 31
	v_add_co_ci_u32_e64 v10, null, 0, v1, vcc_lo
	v_add_co_u32 v12, vcc_lo, v0, 30
	v_add3_u32 v7, v7, v9, v8
	v_add_co_ci_u32_e64 v13, null, 0, v1, vcc_lo
	v_mul_lo_u32 v14, s11, v2
	v_mul_lo_u32 v15, s10, v10
	v_lshlrev_b64 v[8:9], 3, v[6:7]
	v_mad_u64_u32 v[10:11], null, s10, v2, 0
	v_mul_lo_u32 v16, s11, v12
	v_mul_lo_u32 v17, s10, v13
	v_mad_u64_u32 v[12:13], null, s10, v12, 0
	v_add_co_u32 v2, vcc_lo, s12, v8
	v_add_co_ci_u32_e64 v138, null, s13, v9, vcc_lo
	v_add_co_u32 v139, vcc_lo, s14, v8
	v_add3_u32 v11, v11, v15, v14
	v_add_co_ci_u32_e64 v140, null, s15, v9, vcc_lo
	v_add_co_u32 v14, vcc_lo, v0, 29
	v_add3_u32 v13, v13, v17, v16
	v_add_co_ci_u32_e64 v15, null, 0, v1, vcc_lo
	v_lshlrev_b64 v[8:9], 3, v[10:11]
	v_mul_lo_u32 v16, s11, v14
	v_lshlrev_b64 v[10:11], 3, v[12:13]
	v_mul_lo_u32 v15, s10, v15
	v_mad_u64_u32 v[12:13], null, s10, v14, 0
	v_add_co_u32 v141, vcc_lo, s12, v8
	v_add_co_ci_u32_e64 v142, null, s13, v9, vcc_lo
	v_add_co_u32 v143, vcc_lo, s14, v8
	v_add3_u32 v13, v13, v15, v16
	v_add_co_ci_u32_e64 v144, null, s15, v9, vcc_lo
	v_add_co_u32 v145, vcc_lo, s12, v10
	v_add_co_ci_u32_e64 v146, null, s13, v11, vcc_lo
	v_add_co_u32 v14, vcc_lo, v0, 28
	v_add_co_u32 v147, s2, s14, v10
	v_lshlrev_b64 v[8:9], 3, v[12:13]
	v_add_co_ci_u32_e64 v10, null, 0, v1, vcc_lo
	v_add_co_u32 v12, vcc_lo, v0, 27
	v_add_co_ci_u32_e64 v13, null, 0, v1, vcc_lo
	v_add_co_ci_u32_e64 v148, null, s15, v11, s2
	v_mul_lo_u32 v15, s11, v14
	v_mul_lo_u32 v16, s10, v10
	v_mad_u64_u32 v[10:11], null, s10, v14, 0
	v_mul_lo_u32 v14, s11, v12
	v_mul_lo_u32 v17, s10, v13
	v_mad_u64_u32 v[12:13], null, s10, v12, 0
	v_add_co_u32 v149, vcc_lo, s12, v8
	v_add_co_ci_u32_e64 v150, null, s13, v9, vcc_lo
	v_add_co_u32 v151, vcc_lo, s14, v8
	v_add_co_ci_u32_e64 v152, null, s15, v9, vcc_lo
	v_add3_u32 v13, v13, v17, v14
	v_add_co_u32 v14, vcc_lo, v0, 26
	v_add3_u32 v11, v11, v16, v15
	v_add_co_ci_u32_e64 v15, null, 0, v1, vcc_lo
	v_mul_lo_u32 v16, s11, v14
	v_lshlrev_b64 v[8:9], 3, v[10:11]
	v_lshlrev_b64 v[10:11], 3, v[12:13]
	v_mul_lo_u32 v15, s10, v15
	v_mad_u64_u32 v[12:13], null, s10, v14, 0
	v_add_co_u32 v153, vcc_lo, s12, v8
	v_add_co_ci_u32_e64 v154, null, s13, v9, vcc_lo
	v_add_co_u32 v155, vcc_lo, s14, v8
	v_add3_u32 v13, v13, v15, v16
	v_add_co_ci_u32_e64 v156, null, s15, v9, vcc_lo
	v_add_co_u32 v157, vcc_lo, s12, v10
	v_add_co_ci_u32_e64 v158, null, s13, v11, vcc_lo
	v_add_co_u32 v14, vcc_lo, v0, 25
	v_add_co_u32 v159, s2, s14, v10
	v_lshlrev_b64 v[8:9], 3, v[12:13]
	v_add_co_ci_u32_e64 v10, null, 0, v1, vcc_lo
	v_add_co_u32 v12, vcc_lo, v0, 24
	v_add_co_ci_u32_e64 v13, null, 0, v1, vcc_lo
	v_add_co_ci_u32_e64 v160, null, s15, v11, s2
	v_mul_lo_u32 v15, s11, v14
	v_mul_lo_u32 v16, s10, v10
	v_mad_u64_u32 v[10:11], null, s10, v14, 0
	v_mul_lo_u32 v14, s11, v12
	v_mul_lo_u32 v17, s10, v13
	v_mad_u64_u32 v[12:13], null, s10, v12, 0
	v_add_co_u32 v161, vcc_lo, s12, v8
	v_add_co_ci_u32_e64 v162, null, s13, v9, vcc_lo
	v_add_co_u32 v163, vcc_lo, s14, v8
	v_add_co_ci_u32_e64 v164, null, s15, v9, vcc_lo
	v_add3_u32 v13, v13, v17, v14
	v_add_co_u32 v14, vcc_lo, v0, 23
	v_add3_u32 v11, v11, v16, v15
	v_add_co_ci_u32_e64 v15, null, 0, v1, vcc_lo
	v_mul_lo_u32 v16, s11, v14
	v_lshlrev_b64 v[8:9], 3, v[10:11]
	;; [unrolled: 33-line block ×6, first 2 shown]
	v_lshlrev_b64 v[10:11], 3, v[12:13]
	v_mul_lo_u32 v15, s10, v15
	v_mad_u64_u32 v[12:13], null, s10, v14, 0
	v_add_co_u32 v213, vcc_lo, s12, v8
	v_add_co_ci_u32_e64 v214, null, s13, v9, vcc_lo
	v_add_co_u32 v215, vcc_lo, s14, v8
	v_add3_u32 v13, v13, v15, v16
	v_add_co_ci_u32_e64 v216, null, s15, v9, vcc_lo
	v_add_co_u32 v217, vcc_lo, s12, v10
	v_add_co_ci_u32_e64 v218, null, s13, v11, vcc_lo
	v_add_co_u32 v14, vcc_lo, v0, 10
	v_add_co_u32 v219, s2, s14, v10
	v_lshlrev_b64 v[8:9], 3, v[12:13]
	v_add_co_ci_u32_e64 v10, null, 0, v1, vcc_lo
	v_add_co_u32 v12, vcc_lo, v0, 9
	v_add_co_ci_u32_e64 v13, null, 0, v1, vcc_lo
	v_add_co_ci_u32_e64 v220, null, s15, v11, s2
	v_mul_lo_u32 v15, s11, v14
	v_mul_lo_u32 v16, s10, v10
	v_mad_u64_u32 v[10:11], null, s10, v14, 0
	v_mul_lo_u32 v14, s11, v12
	v_mul_lo_u32 v17, s10, v13
	v_mad_u64_u32 v[12:13], null, s10, v12, 0
	v_add_co_u32 v221, vcc_lo, s12, v8
	v_add_co_ci_u32_e64 v222, null, s13, v9, vcc_lo
	v_add_co_u32 v223, vcc_lo, s14, v8
	v_add3_u32 v11, v11, v16, v15
	v_add_co_ci_u32_e64 v224, null, s15, v9, vcc_lo
	v_add3_u32 v13, v13, v17, v14
	v_add_co_u32 v14, vcc_lo, v0, 8
	v_add_co_ci_u32_e64 v15, null, 0, v1, vcc_lo
	v_lshlrev_b64 v[8:9], 3, v[10:11]
	v_lshlrev_b64 v[10:11], 3, v[12:13]
	v_mul_lo_u32 v16, s11, v14
	v_mul_lo_u32 v15, s10, v15
	v_mad_u64_u32 v[12:13], null, s10, v14, 0
	v_add_co_u32 v225, vcc_lo, s12, v8
	v_add_co_ci_u32_e64 v226, null, s13, v9, vcc_lo
	v_add_co_u32 v227, vcc_lo, s14, v8
	v_add_co_ci_u32_e64 v228, null, s15, v9, vcc_lo
	v_add_co_u32 v229, vcc_lo, s12, v10
	v_add3_u32 v13, v13, v15, v16
	v_add_co_ci_u32_e64 v230, null, s13, v11, vcc_lo
	v_add_co_u32 v14, vcc_lo, v0, 7
	v_add_co_u32 v231, s2, s14, v10
	v_add_co_ci_u32_e64 v10, null, 0, v1, vcc_lo
	v_lshlrev_b64 v[8:9], 3, v[12:13]
	v_add_co_u32 v12, vcc_lo, v0, 6
	v_add_co_ci_u32_e64 v13, null, 0, v1, vcc_lo
	v_add_co_ci_u32_e64 v232, null, s15, v11, s2
	v_mul_lo_u32 v15, s11, v14
	v_mul_lo_u32 v16, s10, v10
	v_mad_u64_u32 v[10:11], null, s10, v14, 0
	v_mul_lo_u32 v14, s11, v12
	v_mul_lo_u32 v17, s10, v13
	v_mad_u64_u32 v[12:13], null, s10, v12, 0
	v_add_co_u32 v233, vcc_lo, s12, v8
	v_add3_u32 v11, v11, v16, v15
	v_add_co_ci_u32_e64 v234, null, s13, v9, vcc_lo
	v_add_co_u32 v235, vcc_lo, s14, v8
	v_add_co_ci_u32_e64 v236, null, s15, v9, vcc_lo
	v_add3_u32 v13, v13, v17, v14
	v_add_co_u32 v14, vcc_lo, v0, 5
	v_lshlrev_b64 v[8:9], 3, v[10:11]
	v_add_co_ci_u32_e64 v15, null, 0, v1, vcc_lo
	v_lshlrev_b64 v[10:11], 3, v[12:13]
	v_mul_lo_u32 v16, s11, v14
	v_mad_u64_u32 v[12:13], null, s10, v14, 0
	v_add_co_u32 v237, vcc_lo, s12, v8
	v_mul_lo_u32 v15, s10, v15
	v_add_co_ci_u32_e64 v238, null, s13, v9, vcc_lo
	v_add_co_u32 v239, vcc_lo, s14, v8
	v_add_co_ci_u32_e64 v240, null, s15, v9, vcc_lo
	v_add_co_u32 v241, vcc_lo, s12, v10
	;; [unrolled: 2-line block ×3, first 2 shown]
	v_add3_u32 v13, v13, v15, v16
	v_add_co_u32 v243, s2, s14, v10
	v_add_co_ci_u32_e64 v10, null, 0, v1, vcc_lo
	v_add_co_ci_u32_e64 v244, null, s15, v11, s2
	v_lshlrev_b64 v[8:9], 3, v[12:13]
	v_mul_lo_u32 v15, s11, v14
	v_add_co_u32 v12, vcc_lo, v0, 3
	v_mul_lo_u32 v16, s10, v10
	v_mad_u64_u32 v[10:11], null, s10, v14, 0
	v_add_co_ci_u32_e64 v13, null, 0, v1, vcc_lo
	v_mul_lo_u32 v14, s11, v12
	v_add_co_u32 v245, vcc_lo, s12, v8
	v_mul_lo_u32 v17, s10, v13
	v_mad_u64_u32 v[12:13], null, s10, v12, 0
	v_add3_u32 v11, v11, v16, v15
	v_add_co_ci_u32_e64 v246, null, s13, v9, vcc_lo
	v_add_co_u32 v247, vcc_lo, s14, v8
	v_add_co_ci_u32_e64 v248, null, s15, v9, vcc_lo
	v_lshlrev_b64 v[8:9], 3, v[10:11]
	v_add_co_u32 v10, vcc_lo, v0, 2
	v_add3_u32 v13, v13, v17, v14
	v_add_co_ci_u32_e64 v11, null, 0, v1, vcc_lo
	v_add_co_u32 v249, vcc_lo, s12, v8
	v_lshlrev_b64 v[0:1], 3, v[12:13]
	v_mul_lo_u32 v13, s11, v10
	v_mul_lo_u32 v14, s10, v11
	v_mad_u64_u32 v[11:12], null, s10, v10, 0
	v_add_co_ci_u32_e64 v250, null, s13, v9, vcc_lo
	v_add_co_u32 v251, vcc_lo, s14, v8
	v_add_co_ci_u32_e64 v252, null, s15, v9, vcc_lo
	v_add_co_u32 v253, vcc_lo, s12, v0
	v_add_co_ci_u32_e64 v254, null, s13, v1, vcc_lo
	v_add3_u32 v12, v12, v14, v13
	v_add_co_u32 v255, vcc_lo, s14, v0
	v_add_co_ci_u32_e64 v10, null, s15, v1, vcc_lo
	v_add_co_u32 v6, vcc_lo, v6, s10
	v_add_co_ci_u32_e64 v7, null, s11, v7, vcc_lo
	v_lshlrev_b64 v[0:1], 3, v[11:12]
	s_lshl_b64 s[2:3], s[22:23], 3
	s_mov_b64 s[22:23], 31
	v_lshlrev_b64 v[6:7], 3, v[6:7]
	v_add_co_u32 v11, vcc_lo, s12, v0
	v_add_co_ci_u32_e64 v12, null, s13, v1, vcc_lo
	v_add_co_u32 v13, vcc_lo, s14, v0
	v_add_co_ci_u32_e64 v14, null, s15, v1, vcc_lo
	v_add_co_u32 v15, vcc_lo, s12, v6
	v_add_co_ci_u32_e64 v16, null, s13, v7, vcc_lo
	v_add_co_u32 v17, vcc_lo, s14, v6
	v_add_co_ci_u32_e64 v18, null, s15, v7, vcc_lo
	s_branch .LBB130_5
.LBB130_3:                              ;   in Loop: Header=BB130_5 Depth=1
	s_or_b32 exec_lo, exec_lo, s28
	s_waitcnt vmcnt(0)
	v_mul_f64 v[8:9], v[134:135], v[8:9]
	ds_bpermute_b32 v134, v3, v6
	ds_bpermute_b32 v135, v3, v7
	v_mul_f64 v[23:24], v[23:24], v[26:27]
	v_mul_f64 v[0:1], v[0:1], v[130:131]
	s_waitcnt lgkmcnt(0)
	v_fma_f64 v[8:9], v[8:9], v[134:135], v[126:127]
	s_clause 0x3
	buffer_load_dword v19, off, s[36:39], 0 offset:12
	buffer_load_dword v20, off, s[36:39], 0 offset:16
	;; [unrolled: 1-line block ×4, first 2 shown]
	s_waitcnt vmcnt(0)
	v_mul_f64 v[126:127], v[19:20], v[126:127]
	s_clause 0x3
	buffer_load_dword v19, off, s[36:39], 0
	buffer_load_dword v20, off, s[36:39], 0 offset:4
	buffer_load_dword v134, off, s[36:39], 0 offset:28
	;; [unrolled: 1-line block ×3, first 2 shown]
	s_waitcnt vmcnt(0)
	v_mul_f64 v[19:20], v[19:20], v[134:135]
	ds_bpermute_b32 v134, v3, v6 offset:4
	ds_bpermute_b32 v135, v3, v7 offset:4
	s_waitcnt lgkmcnt(0)
	v_fma_f64 v[8:9], v[126:127], v[134:135], v[8:9]
	s_clause 0x1
	buffer_load_dword v134, off, s[36:39], 0 offset:36
	buffer_load_dword v135, off, s[36:39], 0 offset:40
	ds_bpermute_b32 v126, v3, v6 offset:8
	ds_bpermute_b32 v127, v3, v7 offset:8
	s_waitcnt lgkmcnt(0)
	v_fma_f64 v[8:9], v[19:20], v[126:127], v[8:9]
	ds_bpermute_b32 v19, v3, v6 offset:12
	ds_bpermute_b32 v20, v3, v7 offset:12
	s_waitcnt vmcnt(0)
	v_mul_f64 v[21:22], v[21:22], v[134:135]
	s_waitcnt lgkmcnt(0)
	v_fma_f64 v[8:9], v[21:22], v[19:20], v[8:9]
	ds_bpermute_b32 v19, v3, v6 offset:16
	ds_bpermute_b32 v20, v3, v7 offset:16
	v_mul_f64 v[21:22], v[30:31], v[32:33]
	s_waitcnt lgkmcnt(0)
	v_fma_f64 v[8:9], v[23:24], v[19:20], v[8:9]
	ds_bpermute_b32 v19, v3, v6 offset:20
	ds_bpermute_b32 v20, v3, v7 offset:20
	;; [unrolled: 5-line block ×25, first 2 shown]
	s_waitcnt lgkmcnt(0)
	v_fma_f64 v[8:9], v[23:24], v[19:20], v[8:9]
	ds_bpermute_b32 v19, v3, v6 offset:116
	ds_bpermute_b32 v20, v3, v7 offset:116
	s_waitcnt lgkmcnt(0)
	v_fma_f64 v[0:1], v[0:1], v[19:20], v[8:9]
	v_mul_f64 v[8:9], v[128:129], v[132:133]
	ds_bpermute_b32 v19, v3, v6 offset:120
	ds_bpermute_b32 v20, v3, v7 offset:120
	s_waitcnt lgkmcnt(0)
	v_fma_f64 v[0:1], v[8:9], v[19:20], v[0:1]
	ds_bpermute_b32 v8, v3, v6 offset:124
	ds_bpermute_b32 v9, v3, v7 offset:124
.LBB130_4:                              ;   in Loop: Header=BB130_5 Depth=1
	v_add_co_u32 v2, vcc_lo, v2, s2
	v_add_co_ci_u32_e64 v138, null, s3, v138, vcc_lo
	v_add_co_u32 v139, vcc_lo, v139, s2
	v_add_co_ci_u32_e64 v140, null, s3, v140, vcc_lo
	;; [unrolled: 2-line block ×56, first 2 shown]
	v_add_co_u32 v249, vcc_lo, v249, s2
	s_waitcnt lgkmcnt(0)
	v_fma_f64 v[126:127], v[80:81], v[8:9], v[0:1]
	v_add_co_ci_u32_e64 v250, null, s3, v250, vcc_lo
	v_add_co_u32 v251, vcc_lo, v251, s2
	v_add_co_ci_u32_e64 v252, null, s3, v252, vcc_lo
	v_add_co_u32 v253, vcc_lo, v253, s2
	;; [unrolled: 2-line block ×5, first 2 shown]
	s_add_u32 s24, s24, s27
	v_add_co_ci_u32_e64 v14, null, s3, v14, vcc_lo
	v_add_co_u32 v15, vcc_lo, v15, s2
	s_addc_u32 s25, s25, 0
	v_add_co_ci_u32_e64 v16, null, s3, v16, vcc_lo
	v_add_co_u32 v17, vcc_lo, v17, s2
	v_cmp_lt_i64_e64 s28, s[24:25], s[8:9]
	v_add_co_ci_u32_e64 v18, null, s3, v18, vcc_lo
	v_add_co_u32 v136, vcc_lo, v136, s27
	v_add_co_ci_u32_e64 v137, null, 0, v137, vcc_lo
	s_add_u32 s22, s22, s27
	s_addc_u32 s23, 0, s23
	s_and_b32 vcc_lo, exec_lo, s28
	s_cbranch_vccz .LBB130_141
.LBB130_5:                              ; =>This Inner Loop Header: Depth=1
	s_add_u32 s28, s18, s22
	s_addc_u32 s29, 0, s23
	v_add_co_u32 v6, vcc_lo, s18, v136
	v_cmp_ge_i64_e64 s28, s[28:29], s[8:9]
	v_add_co_ci_u32_e64 v7, null, 0, v137, vcc_lo
                                        ; implicit-def: $vgpr0_vgpr1
                                        ; implicit-def: $vgpr80_vgpr81
                                        ; implicit-def: $vgpr8
	s_and_b32 vcc_lo, exec_lo, s28
	s_mov_b32 s28, -1
	s_cbranch_vccz .LBB130_73
; %bb.6:                                ;   in Loop: Header=BB130_5 Depth=1
	s_load_dword s28, s[20:21], 0xc
	s_clause 0x2
	buffer_load_dword v0, off, s[36:39], 0 offset:348
	buffer_load_dword v1, off, s[36:39], 0 offset:352
	buffer_load_dword v1, off, s[36:39], 0 offset:8
	v_mov_b32_e32 v21, 0
	v_mov_b32_e32 v8, 0
	;; [unrolled: 1-line block ×4, first 2 shown]
	s_waitcnt lgkmcnt(0)
	s_and_b32 s28, s28, 0xffff
	s_waitcnt vmcnt(0)
	v_mad_u32_u24 v0, v0, s28, v1
	s_mov_b32 s28, exec_lo
	v_and_b32_e32 v0, 31, v0
	v_add_co_u32 v0, vcc_lo, v6, v0
	v_add_co_ci_u32_e64 v1, null, 0, v7, vcc_lo
	v_cmpx_gt_i64_e64 s[8:9], v[0:1]
	s_cbranch_execz .LBB130_8
; %bb.7:                                ;   in Loop: Header=BB130_5 Depth=1
	v_lshlrev_b64 v[0:1], 3, v[0:1]
	v_add_co_u32 v0, vcc_lo, s16, v0
	v_add_co_ci_u32_e64 v1, null, s17, v1, vcc_lo
	global_load_dwordx2 v[8:9], v[0:1], off
.LBB130_8:                              ;   in Loop: Header=BB130_5 Depth=1
	s_or_b32 exec_lo, exec_lo, s28
	v_cmp_gt_i64_e32 vcc_lo, s[8:9], v[6:7]
	v_mov_b32_e32 v23, 0
	v_mov_b32_e32 v24, 0
	s_and_b32 s29, s1, vcc_lo
	s_and_saveexec_b32 s28, s29
	s_cbranch_execz .LBB130_10
; %bb.9:                                ;   in Loop: Header=BB130_5 Depth=1
	v_add_co_u32 v0, vcc_lo, v2, v4
	v_add_co_ci_u32_e64 v1, null, v138, v5, vcc_lo
	v_add_co_u32 v19, vcc_lo, v139, v4
	v_add_co_ci_u32_e64 v20, null, v140, v5, vcc_lo
	global_load_dwordx2 v[21:22], v[0:1], off
	global_load_dwordx2 v[23:24], v[19:20], off
.LBB130_10:                             ;   in Loop: Header=BB130_5 Depth=1
	s_or_b32 exec_lo, exec_lo, s28
	v_add_co_u32 v0, vcc_lo, v6, 1
	v_add_co_ci_u32_e64 v1, null, 0, v7, vcc_lo
	v_cmp_gt_i64_e32 vcc_lo, s[8:9], v[0:1]
	v_mov_b32_e32 v0, 0
	v_mov_b32_e32 v1, 0
	buffer_store_dword v0, off, s[36:39], 0 ; 4-byte Folded Spill
	buffer_store_dword v1, off, s[36:39], 0 offset:4 ; 4-byte Folded Spill
	v_mov_b32_e32 v0, 0
	v_mov_b32_e32 v1, 0
	s_and_b32 s29, s1, vcc_lo
	buffer_store_dword v0, off, s[36:39], 0 offset:12 ; 4-byte Folded Spill
	buffer_store_dword v1, off, s[36:39], 0 offset:16 ; 4-byte Folded Spill
	v_mov_b32_e32 v0, 0
	v_mov_b32_e32 v1, 0
	buffer_store_dword v0, off, s[36:39], 0 offset:20 ; 4-byte Folded Spill
	buffer_store_dword v1, off, s[36:39], 0 offset:24 ; 4-byte Folded Spill
	s_and_saveexec_b32 s28, s29
	s_cbranch_execz .LBB130_12
; %bb.11:                               ;   in Loop: Header=BB130_5 Depth=1
	v_add_co_u32 v0, vcc_lo, v15, v4
	v_add_co_ci_u32_e64 v1, null, v16, v5, vcc_lo
	v_add_co_u32 v19, vcc_lo, v17, v4
	v_add_co_ci_u32_e64 v20, null, v18, v5, vcc_lo
	global_load_dwordx2 v[0:1], v[0:1], off
	s_waitcnt vmcnt(0)
	buffer_store_dword v0, off, s[36:39], 0 offset:12 ; 4-byte Folded Spill
	buffer_store_dword v1, off, s[36:39], 0 offset:16 ; 4-byte Folded Spill
	global_load_dwordx2 v[0:1], v[19:20], off
	s_waitcnt vmcnt(0)
	buffer_store_dword v0, off, s[36:39], 0 offset:20 ; 4-byte Folded Spill
	buffer_store_dword v1, off, s[36:39], 0 offset:24 ; 4-byte Folded Spill
.LBB130_12:                             ;   in Loop: Header=BB130_5 Depth=1
	s_or_b32 exec_lo, exec_lo, s28
	v_add_co_u32 v0, vcc_lo, v6, 2
	v_add_co_ci_u32_e64 v1, null, 0, v7, vcc_lo
	v_mov_b32_e32 v19, 0
	v_mov_b32_e32 v20, 0
	v_cmp_gt_i64_e32 vcc_lo, s[8:9], v[0:1]
	s_and_b32 s29, s1, vcc_lo
	s_and_saveexec_b32 s28, s29
	s_cbranch_execz .LBB130_14
; %bb.13:                               ;   in Loop: Header=BB130_5 Depth=1
	v_add_co_u32 v0, vcc_lo, v11, v4
	v_add_co_ci_u32_e64 v1, null, v12, v5, vcc_lo
	v_add_co_u32 v19, vcc_lo, v13, v4
	v_add_co_ci_u32_e64 v20, null, v14, v5, vcc_lo
	global_load_dwordx2 v[0:1], v[0:1], off
	s_waitcnt vmcnt(0)
	buffer_store_dword v0, off, s[36:39], 0 ; 4-byte Folded Spill
	buffer_store_dword v1, off, s[36:39], 0 offset:4 ; 4-byte Folded Spill
	global_load_dwordx2 v[19:20], v[19:20], off
.LBB130_14:                             ;   in Loop: Header=BB130_5 Depth=1
	s_or_b32 exec_lo, exec_lo, s28
	v_add_co_u32 v0, vcc_lo, v6, 3
	v_add_co_ci_u32_e64 v1, null, 0, v7, vcc_lo
	v_cmp_gt_i64_e32 vcc_lo, s[8:9], v[0:1]
	v_mov_b32_e32 v0, 0
	v_mov_b32_e32 v1, 0
	buffer_store_dword v0, off, s[36:39], 0 offset:28 ; 4-byte Folded Spill
	buffer_store_dword v1, off, s[36:39], 0 offset:32 ; 4-byte Folded Spill
	v_mov_b32_e32 v0, 0
	v_mov_b32_e32 v1, 0
	s_and_b32 s29, s1, vcc_lo
	buffer_store_dword v0, off, s[36:39], 0 offset:36 ; 4-byte Folded Spill
	buffer_store_dword v1, off, s[36:39], 0 offset:40 ; 4-byte Folded Spill
	v_mov_b32_e32 v0, 0
	v_mov_b32_e32 v1, 0
	buffer_store_dword v0, off, s[36:39], 0 offset:44 ; 4-byte Folded Spill
	buffer_store_dword v1, off, s[36:39], 0 offset:48 ; 4-byte Folded Spill
	s_and_saveexec_b32 s28, s29
	s_cbranch_execz .LBB130_16
; %bb.15:                               ;   in Loop: Header=BB130_5 Depth=1
	v_add_co_u32 v0, vcc_lo, v253, v4
	v_add_co_ci_u32_e64 v1, null, v254, v5, vcc_lo
	v_add_co_u32 v26, vcc_lo, v255, v4
	v_add_co_ci_u32_e64 v27, null, v10, v5, vcc_lo
	global_load_dwordx2 v[0:1], v[0:1], off
	s_waitcnt vmcnt(0)
	buffer_store_dword v0, off, s[36:39], 0 offset:36 ; 4-byte Folded Spill
	buffer_store_dword v1, off, s[36:39], 0 offset:40 ; 4-byte Folded Spill
	global_load_dwordx2 v[0:1], v[26:27], off
	s_waitcnt vmcnt(0)
	buffer_store_dword v0, off, s[36:39], 0 offset:44 ; 4-byte Folded Spill
	buffer_store_dword v1, off, s[36:39], 0 offset:48 ; 4-byte Folded Spill
.LBB130_16:                             ;   in Loop: Header=BB130_5 Depth=1
	s_or_b32 exec_lo, exec_lo, s28
	v_add_co_u32 v0, vcc_lo, v6, 4
	v_add_co_ci_u32_e64 v1, null, 0, v7, vcc_lo
	v_mov_b32_e32 v29, 0
	v_mov_b32_e32 v30, 0
	v_cmp_gt_i64_e32 vcc_lo, s[8:9], v[0:1]
	s_and_b32 s29, s1, vcc_lo
	s_and_saveexec_b32 s28, s29
	s_cbranch_execz .LBB130_18
; %bb.17:                               ;   in Loop: Header=BB130_5 Depth=1
	v_add_co_u32 v0, vcc_lo, v249, v4
	v_add_co_ci_u32_e64 v1, null, v250, v5, vcc_lo
	v_add_co_u32 v28, vcc_lo, v251, v4
	v_add_co_ci_u32_e64 v29, null, v252, v5, vcc_lo
	global_load_dwordx2 v[0:1], v[0:1], off
	s_waitcnt vmcnt(0)
	buffer_store_dword v0, off, s[36:39], 0 offset:28 ; 4-byte Folded Spill
	buffer_store_dword v1, off, s[36:39], 0 offset:32 ; 4-byte Folded Spill
	global_load_dwordx2 v[29:30], v[28:29], off
.LBB130_18:                             ;   in Loop: Header=BB130_5 Depth=1
	s_or_b32 exec_lo, exec_lo, s28
	v_add_co_u32 v0, vcc_lo, v6, 5
	v_add_co_ci_u32_e64 v1, null, 0, v7, vcc_lo
	v_mov_b32_e32 v31, 0
	v_mov_b32_e32 v34, 0
	;; [unrolled: 1-line block ×3, first 2 shown]
	v_cmp_gt_i64_e32 vcc_lo, s[8:9], v[0:1]
	v_mov_b32_e32 v0, 0
	v_mov_b32_e32 v1, 0
	;; [unrolled: 1-line block ×3, first 2 shown]
	buffer_store_dword v0, off, s[36:39], 0 offset:52 ; 4-byte Folded Spill
	buffer_store_dword v1, off, s[36:39], 0 offset:56 ; 4-byte Folded Spill
	s_and_b32 s29, s1, vcc_lo
	s_and_saveexec_b32 s28, s29
	s_cbranch_execz .LBB130_20
; %bb.19:                               ;   in Loop: Header=BB130_5 Depth=1
	v_add_co_u32 v0, vcc_lo, v245, v4
	v_add_co_ci_u32_e64 v1, null, v246, v5, vcc_lo
	v_add_co_u32 v34, vcc_lo, v247, v4
	v_add_co_ci_u32_e64 v35, null, v248, v5, vcc_lo
	global_load_dwordx2 v[0:1], v[0:1], off
	s_waitcnt vmcnt(0)
	buffer_store_dword v0, off, s[36:39], 0 offset:52 ; 4-byte Folded Spill
	buffer_store_dword v1, off, s[36:39], 0 offset:56 ; 4-byte Folded Spill
	global_load_dwordx2 v[34:35], v[34:35], off
.LBB130_20:                             ;   in Loop: Header=BB130_5 Depth=1
	s_or_b32 exec_lo, exec_lo, s28
	v_add_co_u32 v0, vcc_lo, v6, 6
	v_add_co_ci_u32_e64 v1, null, 0, v7, vcc_lo
	v_mov_b32_e32 v36, 0
	v_mov_b32_e32 v37, 0
	v_cmp_gt_i64_e32 vcc_lo, s[8:9], v[0:1]
	s_and_b32 s29, s1, vcc_lo
	s_and_saveexec_b32 s28, s29
	s_cbranch_execz .LBB130_22
; %bb.21:                               ;   in Loop: Header=BB130_5 Depth=1
	v_add_co_u32 v0, vcc_lo, v241, v4
	v_add_co_ci_u32_e64 v1, null, v242, v5, vcc_lo
	v_add_co_u32 v36, vcc_lo, v243, v4
	v_add_co_ci_u32_e64 v37, null, v244, v5, vcc_lo
	global_load_dwordx2 v[31:32], v[0:1], off
	global_load_dwordx2 v[36:37], v[36:37], off
.LBB130_22:                             ;   in Loop: Header=BB130_5 Depth=1
	s_or_b32 exec_lo, exec_lo, s28
	v_add_co_u32 v0, vcc_lo, v6, 7
	v_add_co_ci_u32_e64 v1, null, 0, v7, vcc_lo
	v_mov_b32_e32 v38, 0
	v_mov_b32_e32 v40, 0
	v_mov_b32_e32 v42, 0
	v_cmp_gt_i64_e32 vcc_lo, s[8:9], v[0:1]
	v_mov_b32_e32 v39, 0
	v_mov_b32_e32 v41, 0
	v_mov_b32_e32 v43, 0
	s_and_b32 s29, s1, vcc_lo
	s_and_saveexec_b32 s28, s29
	s_cbranch_execz .LBB130_24
; %bb.23:                               ;   in Loop: Header=BB130_5 Depth=1
	v_add_co_u32 v0, vcc_lo, v237, v4
	v_add_co_ci_u32_e64 v1, null, v238, v5, vcc_lo
	v_add_co_u32 v42, vcc_lo, v239, v4
	v_add_co_ci_u32_e64 v43, null, v240, v5, vcc_lo
	global_load_dwordx2 v[40:41], v[0:1], off
	global_load_dwordx2 v[42:43], v[42:43], off
.LBB130_24:                             ;   in Loop: Header=BB130_5 Depth=1
	s_or_b32 exec_lo, exec_lo, s28
	v_add_co_u32 v0, vcc_lo, v6, 8
	v_add_co_ci_u32_e64 v1, null, 0, v7, vcc_lo
	v_mov_b32_e32 v44, 0
	v_mov_b32_e32 v45, 0
	v_cmp_gt_i64_e32 vcc_lo, s[8:9], v[0:1]
	s_and_b32 s29, s1, vcc_lo
	s_and_saveexec_b32 s28, s29
	s_cbranch_execz .LBB130_26
; %bb.25:                               ;   in Loop: Header=BB130_5 Depth=1
	v_add_co_u32 v0, vcc_lo, v233, v4
	v_add_co_ci_u32_e64 v1, null, v234, v5, vcc_lo
	v_add_co_u32 v44, vcc_lo, v235, v4
	v_add_co_ci_u32_e64 v45, null, v236, v5, vcc_lo
	global_load_dwordx2 v[38:39], v[0:1], off
	global_load_dwordx2 v[44:45], v[44:45], off
.LBB130_26:                             ;   in Loop: Header=BB130_5 Depth=1
	s_or_b32 exec_lo, exec_lo, s28
	v_add_co_u32 v0, vcc_lo, v6, 9
	v_add_co_ci_u32_e64 v1, null, 0, v7, vcc_lo
	v_mov_b32_e32 v46, 0
	v_mov_b32_e32 v48, 0
	v_mov_b32_e32 v50, 0
	v_cmp_gt_i64_e32 vcc_lo, s[8:9], v[0:1]
	v_mov_b32_e32 v47, 0
	v_mov_b32_e32 v49, 0
	v_mov_b32_e32 v51, 0
	s_and_b32 s29, s1, vcc_lo
	s_and_saveexec_b32 s28, s29
	s_cbranch_execz .LBB130_28
; %bb.27:                               ;   in Loop: Header=BB130_5 Depth=1
	v_add_co_u32 v0, vcc_lo, v229, v4
	v_add_co_ci_u32_e64 v1, null, v230, v5, vcc_lo
	v_add_co_u32 v50, vcc_lo, v231, v4
	v_add_co_ci_u32_e64 v51, null, v232, v5, vcc_lo
	global_load_dwordx2 v[48:49], v[0:1], off
	global_load_dwordx2 v[50:51], v[50:51], off
.LBB130_28:                             ;   in Loop: Header=BB130_5 Depth=1
	;; [unrolled: 38-line block ×12, first 2 shown]
	s_or_b32 exec_lo, exec_lo, s28
	v_add_co_u32 v80, vcc_lo, v6, 30
	v_add_co_ci_u32_e64 v81, null, 0, v7, vcc_lo
	v_mov_b32_e32 v134, 0
	v_mov_b32_e32 v135, 0
	v_cmp_gt_i64_e32 vcc_lo, s[8:9], v[80:81]
	s_and_b32 s29, s1, vcc_lo
	s_and_saveexec_b32 s28, s29
	s_cbranch_execz .LBB130_70
; %bb.69:                               ;   in Loop: Header=BB130_5 Depth=1
	v_add_co_u32 v80, vcc_lo, v145, v4
	v_add_co_ci_u32_e64 v81, null, v146, v5, vcc_lo
	v_add_co_u32 v134, vcc_lo, v147, v4
	v_add_co_ci_u32_e64 v135, null, v148, v5, vcc_lo
	global_load_dwordx2 v[130:131], v[80:81], off
	global_load_dwordx2 v[134:135], v[134:135], off
.LBB130_70:                             ;   in Loop: Header=BB130_5 Depth=1
	s_or_b32 exec_lo, exec_lo, s28
	v_add_co_u32 v80, vcc_lo, v6, 31
	v_add_co_ci_u32_e64 v81, null, 0, v7, vcc_lo
	s_waitcnt vmcnt(0)
	v_mov_b32_e32 v26, v20
	v_mov_b32_e32 v25, v19
	v_cmp_gt_i64_e32 vcc_lo, s[8:9], v[80:81]
	v_mov_b32_e32 v80, 0
	v_mov_b32_e32 v81, 0
	s_and_b32 s29, s1, vcc_lo
	s_and_saveexec_b32 s28, s29
	s_cbranch_execz .LBB130_72
; %bb.71:                               ;   in Loop: Header=BB130_5 Depth=1
	v_add_co_u32 v80, vcc_lo, v141, v4
	v_add_co_ci_u32_e64 v81, null, v142, v5, vcc_lo
	v_add_co_u32 v19, vcc_lo, v143, v4
	v_add_co_ci_u32_e64 v20, null, v144, v5, vcc_lo
	global_load_dwordx2 v[80:81], v[80:81], off
	global_load_dwordx2 v[19:20], v[19:20], off
	s_waitcnt vmcnt(0)
	v_mul_f64 v[80:81], v[80:81], v[19:20]
.LBB130_72:                             ;   in Loop: Header=BB130_5 Depth=1
	s_or_b32 exec_lo, exec_lo, s28
	v_mul_f64 v[19:20], v[21:22], v[23:24]
	s_clause 0x3
	buffer_load_dword v21, off, s[36:39], 0 offset:12
	buffer_load_dword v22, off, s[36:39], 0 offset:16
	;; [unrolled: 1-line block ×4, first 2 shown]
	v_mul_f64 v[0:1], v[132:133], v[0:1]
	s_mov_b32 s28, 0
	s_waitcnt vmcnt(0)
	v_mul_f64 v[21:22], v[21:22], v[23:24]
	ds_bpermute_b32 v23, v3, v8
	ds_bpermute_b32 v24, v3, v9
	s_waitcnt lgkmcnt(0)
	v_fma_f64 v[19:20], v[19:20], v[23:24], v[126:127]
	ds_bpermute_b32 v23, v3, v8 offset:4
	ds_bpermute_b32 v24, v3, v9 offset:4
	s_waitcnt lgkmcnt(0)
	v_fma_f64 v[19:20], v[21:22], v[23:24], v[19:20]
	s_clause 0x1
	buffer_load_dword v21, off, s[36:39], 0
	buffer_load_dword v22, off, s[36:39], 0 offset:4
	ds_bpermute_b32 v23, v3, v8 offset:8
	ds_bpermute_b32 v24, v3, v9 offset:8
	s_waitcnt vmcnt(0)
	v_mul_f64 v[21:22], v[21:22], v[25:26]
	s_clause 0x3
	buffer_load_dword v25, off, s[36:39], 0 offset:36
	buffer_load_dword v26, off, s[36:39], 0 offset:40
	buffer_load_dword v27, off, s[36:39], 0 offset:44
	buffer_load_dword v28, off, s[36:39], 0 offset:48
	s_waitcnt lgkmcnt(0)
	v_fma_f64 v[19:20], v[21:22], v[23:24], v[19:20]
	s_clause 0x1
	buffer_load_dword v23, off, s[36:39], 0 offset:28
	buffer_load_dword v24, off, s[36:39], 0 offset:32
	ds_bpermute_b32 v21, v3, v8 offset:12
	ds_bpermute_b32 v22, v3, v9 offset:12
	s_waitcnt vmcnt(2)
	v_mul_f64 v[25:26], v[25:26], v[27:28]
	s_waitcnt lgkmcnt(0)
	v_fma_f64 v[19:20], v[25:26], v[21:22], v[19:20]
	s_clause 0x1
	buffer_load_dword v25, off, s[36:39], 0 offset:52
	buffer_load_dword v26, off, s[36:39], 0 offset:56
	s_waitcnt vmcnt(2)
	v_mul_f64 v[23:24], v[23:24], v[29:30]
	ds_bpermute_b32 v21, v3, v8 offset:16
	ds_bpermute_b32 v22, v3, v9 offset:16
	s_waitcnt lgkmcnt(0)
	v_fma_f64 v[19:20], v[23:24], v[21:22], v[19:20]
	ds_bpermute_b32 v21, v3, v8 offset:20
	ds_bpermute_b32 v22, v3, v9 offset:20
	v_mul_f64 v[23:24], v[31:32], v[36:37]
	s_waitcnt vmcnt(0)
	v_mul_f64 v[25:26], v[25:26], v[34:35]
	s_waitcnt lgkmcnt(0)
	v_fma_f64 v[19:20], v[25:26], v[21:22], v[19:20]
	ds_bpermute_b32 v21, v3, v8 offset:24
	ds_bpermute_b32 v22, v3, v9 offset:24
	v_mul_f64 v[25:26], v[40:41], v[42:43]
	s_waitcnt lgkmcnt(0)
	v_fma_f64 v[19:20], v[23:24], v[21:22], v[19:20]
	ds_bpermute_b32 v21, v3, v8 offset:28
	ds_bpermute_b32 v22, v3, v9 offset:28
	;; [unrolled: 5-line block ×23, first 2 shown]
	s_waitcnt lgkmcnt(0)
	v_fma_f64 v[19:20], v[23:24], v[21:22], v[19:20]
	ds_bpermute_b32 v21, v3, v8 offset:116
	ds_bpermute_b32 v22, v3, v9 offset:116
	s_waitcnt lgkmcnt(0)
	v_fma_f64 v[0:1], v[0:1], v[21:22], v[19:20]
	v_mul_f64 v[19:20], v[130:131], v[134:135]
	ds_bpermute_b32 v21, v3, v8 offset:120
	ds_bpermute_b32 v22, v3, v9 offset:120
	;; [unrolled: 1-line block ×4, first 2 shown]
	s_waitcnt lgkmcnt(2)
	v_fma_f64 v[0:1], v[19:20], v[21:22], v[0:1]
.LBB130_73:                             ;   in Loop: Header=BB130_5 Depth=1
	s_and_b32 vcc_lo, exec_lo, s28
	s_cbranch_vccz .LBB130_4
; %bb.74:                               ;   in Loop: Header=BB130_5 Depth=1
	s_load_dword s28, s[20:21], 0x0
	v_mov_b32_e32 v134, 0
	v_mov_b32_e32 v135, 0
	s_waitcnt lgkmcnt(0)
	s_cmp_lt_u32 s6, s28
	s_cselect_b32 s28, 12, 18
	s_add_u32 s28, s20, s28
	s_addc_u32 s29, s21, 0
	global_load_ushort v0, v3, s[28:29]
	s_clause 0x2
	buffer_load_dword v8, off, s[36:39], 0 offset:348
	buffer_load_dword v9, off, s[36:39], 0 offset:352
	;; [unrolled: 1-line block ×3, first 2 shown]
	s_mov_b32 s28, exec_lo
	s_waitcnt vmcnt(0)
	v_mad_u32_u24 v0, v8, v0, v1
	v_and_b32_e32 v0, 31, v0
	v_add_co_u32 v0, vcc_lo, v6, v0
	v_add_co_ci_u32_e64 v1, null, 0, v7, vcc_lo
	v_mov_b32_e32 v6, 0
	v_mov_b32_e32 v7, 0
	v_cmpx_gt_i64_e64 s[8:9], v[0:1]
	s_cbranch_execz .LBB130_76
; %bb.75:                               ;   in Loop: Header=BB130_5 Depth=1
	v_lshlrev_b64 v[0:1], 3, v[0:1]
	v_add_co_u32 v0, vcc_lo, s16, v0
	v_add_co_ci_u32_e64 v1, null, s17, v1, vcc_lo
	global_load_dwordx2 v[6:7], v[0:1], off
.LBB130_76:                             ;   in Loop: Header=BB130_5 Depth=1
	s_or_b32 exec_lo, exec_lo, s28
	v_mov_b32_e32 v8, 0
	v_mov_b32_e32 v9, 0
	s_and_saveexec_b32 s28, s1
	s_cbranch_execz .LBB130_78
; %bb.77:                               ;   in Loop: Header=BB130_5 Depth=1
	v_add_co_u32 v0, vcc_lo, v2, v4
	v_add_co_ci_u32_e64 v1, null, v138, v5, vcc_lo
	v_add_co_u32 v8, vcc_lo, v139, v4
	v_add_co_ci_u32_e64 v9, null, v140, v5, vcc_lo
	global_load_dwordx2 v[134:135], v[0:1], off
	global_load_dwordx2 v[8:9], v[8:9], off
.LBB130_78:                             ;   in Loop: Header=BB130_5 Depth=1
	s_or_b32 exec_lo, exec_lo, s28
	v_mov_b32_e32 v0, 0
	v_mov_b32_e32 v1, 0
	buffer_store_dword v0, off, s[36:39], 0 ; 4-byte Folded Spill
	buffer_store_dword v1, off, s[36:39], 0 offset:4 ; 4-byte Folded Spill
	v_mov_b32_e32 v0, 0
	v_mov_b32_e32 v1, 0
	buffer_store_dword v0, off, s[36:39], 0 offset:12 ; 4-byte Folded Spill
	buffer_store_dword v1, off, s[36:39], 0 offset:16 ; 4-byte Folded Spill
	v_mov_b32_e32 v0, 0
	v_mov_b32_e32 v1, 0
	buffer_store_dword v0, off, s[36:39], 0 offset:20 ; 4-byte Folded Spill
	buffer_store_dword v1, off, s[36:39], 0 offset:24 ; 4-byte Folded Spill
	s_and_saveexec_b32 s28, s1
	s_cbranch_execz .LBB130_80
; %bb.79:                               ;   in Loop: Header=BB130_5 Depth=1
	v_add_co_u32 v0, vcc_lo, v15, v4
	v_add_co_ci_u32_e64 v1, null, v16, v5, vcc_lo
	s_waitcnt vmcnt(0)
	v_mov_b32_e32 v20, v9
	v_mov_b32_e32 v19, v8
	v_add_co_u32 v8, vcc_lo, v17, v4
	global_load_dwordx2 v[0:1], v[0:1], off
	v_add_co_ci_u32_e64 v9, null, v18, v5, vcc_lo
	s_waitcnt vmcnt(0)
	buffer_store_dword v0, off, s[36:39], 0 offset:12 ; 4-byte Folded Spill
	buffer_store_dword v1, off, s[36:39], 0 offset:16 ; 4-byte Folded Spill
	global_load_dwordx2 v[0:1], v[8:9], off
	v_mov_b32_e32 v8, v19
	v_mov_b32_e32 v9, v20
	s_waitcnt vmcnt(0)
	buffer_store_dword v0, off, s[36:39], 0 offset:20 ; 4-byte Folded Spill
	buffer_store_dword v1, off, s[36:39], 0 offset:24 ; 4-byte Folded Spill
.LBB130_80:                             ;   in Loop: Header=BB130_5 Depth=1
	s_or_b32 exec_lo, exec_lo, s28
	v_mov_b32_e32 v0, 0
	v_mov_b32_e32 v1, 0
	buffer_store_dword v0, off, s[36:39], 0 offset:28 ; 4-byte Folded Spill
	buffer_store_dword v1, off, s[36:39], 0 offset:32 ; 4-byte Folded Spill
	s_and_saveexec_b32 s28, s1
	s_cbranch_execz .LBB130_82
; %bb.81:                               ;   in Loop: Header=BB130_5 Depth=1
	v_add_co_u32 v0, vcc_lo, v11, v4
	v_add_co_ci_u32_e64 v1, null, v12, v5, vcc_lo
	v_add_co_u32 v19, vcc_lo, v13, v4
	v_add_co_ci_u32_e64 v20, null, v14, v5, vcc_lo
	global_load_dwordx2 v[0:1], v[0:1], off
	s_waitcnt vmcnt(0)
	buffer_store_dword v0, off, s[36:39], 0 ; 4-byte Folded Spill
	buffer_store_dword v1, off, s[36:39], 0 offset:4 ; 4-byte Folded Spill
	global_load_dwordx2 v[0:1], v[19:20], off
	s_waitcnt vmcnt(0)
	buffer_store_dword v0, off, s[36:39], 0 offset:28 ; 4-byte Folded Spill
	buffer_store_dword v1, off, s[36:39], 0 offset:32 ; 4-byte Folded Spill
.LBB130_82:                             ;   in Loop: Header=BB130_5 Depth=1
	s_or_b32 exec_lo, exec_lo, s28
	v_mov_b32_e32 v19, 0
	v_mov_b32_e32 v21, 0
	;; [unrolled: 1-line block ×6, first 2 shown]
	buffer_store_dword v0, off, s[36:39], 0 offset:36 ; 4-byte Folded Spill
	buffer_store_dword v1, off, s[36:39], 0 offset:40 ; 4-byte Folded Spill
	s_and_saveexec_b32 s28, s1
	s_cbranch_execz .LBB130_84
; %bb.83:                               ;   in Loop: Header=BB130_5 Depth=1
	v_add_co_u32 v0, vcc_lo, v253, v4
	v_add_co_ci_u32_e64 v1, null, v254, v5, vcc_lo
	v_add_co_u32 v24, vcc_lo, v255, v4
	v_add_co_ci_u32_e64 v25, null, v10, v5, vcc_lo
	global_load_dwordx2 v[21:22], v[0:1], off
	global_load_dwordx2 v[0:1], v[24:25], off
	s_waitcnt vmcnt(0)
	buffer_store_dword v0, off, s[36:39], 0 offset:36 ; 4-byte Folded Spill
	buffer_store_dword v1, off, s[36:39], 0 offset:40 ; 4-byte Folded Spill
.LBB130_84:                             ;   in Loop: Header=BB130_5 Depth=1
	s_or_b32 exec_lo, exec_lo, s28
	v_mov_b32_e32 v26, 0
	v_mov_b32_e32 v27, 0
	s_and_saveexec_b32 s28, s1
	s_cbranch_execz .LBB130_86
; %bb.85:                               ;   in Loop: Header=BB130_5 Depth=1
	v_add_co_u32 v0, vcc_lo, v249, v4
	v_add_co_ci_u32_e64 v1, null, v250, v5, vcc_lo
	v_add_co_u32 v26, vcc_lo, v251, v4
	v_add_co_ci_u32_e64 v27, null, v252, v5, vcc_lo
	global_load_dwordx2 v[19:20], v[0:1], off
	global_load_dwordx2 v[26:27], v[26:27], off
.LBB130_86:                             ;   in Loop: Header=BB130_5 Depth=1
	s_or_b32 exec_lo, exec_lo, s28
	v_mov_b32_e32 v28, 0
	v_mov_b32_e32 v30, 0
	v_mov_b32_e32 v32, 0
	v_mov_b32_e32 v29, 0
	v_mov_b32_e32 v31, 0
	v_mov_b32_e32 v33, 0
	s_and_saveexec_b32 s28, s1
	s_cbranch_execz .LBB130_88
; %bb.87:                               ;   in Loop: Header=BB130_5 Depth=1
	v_add_co_u32 v0, vcc_lo, v245, v4
	v_add_co_ci_u32_e64 v1, null, v246, v5, vcc_lo
	v_add_co_u32 v32, vcc_lo, v247, v4
	v_add_co_ci_u32_e64 v33, null, v248, v5, vcc_lo
	global_load_dwordx2 v[30:31], v[0:1], off
	global_load_dwordx2 v[32:33], v[32:33], off
.LBB130_88:                             ;   in Loop: Header=BB130_5 Depth=1
	s_or_b32 exec_lo, exec_lo, s28
	v_mov_b32_e32 v34, 0
	v_mov_b32_e32 v35, 0
	s_and_saveexec_b32 s28, s1
	s_cbranch_execz .LBB130_90
; %bb.89:                               ;   in Loop: Header=BB130_5 Depth=1
	v_add_co_u32 v0, vcc_lo, v241, v4
	v_add_co_ci_u32_e64 v1, null, v242, v5, vcc_lo
	v_add_co_u32 v34, vcc_lo, v243, v4
	v_add_co_ci_u32_e64 v35, null, v244, v5, vcc_lo
	global_load_dwordx2 v[28:29], v[0:1], off
	global_load_dwordx2 v[34:35], v[34:35], off
.LBB130_90:                             ;   in Loop: Header=BB130_5 Depth=1
	s_or_b32 exec_lo, exec_lo, s28
	v_mov_b32_e32 v36, 0
	v_mov_b32_e32 v38, 0
	v_mov_b32_e32 v40, 0
	v_mov_b32_e32 v37, 0
	v_mov_b32_e32 v39, 0
	v_mov_b32_e32 v41, 0
	s_and_saveexec_b32 s28, s1
	s_cbranch_execz .LBB130_92
; %bb.91:                               ;   in Loop: Header=BB130_5 Depth=1
	v_add_co_u32 v0, vcc_lo, v237, v4
	v_add_co_ci_u32_e64 v1, null, v238, v5, vcc_lo
	v_add_co_u32 v40, vcc_lo, v239, v4
	v_add_co_ci_u32_e64 v41, null, v240, v5, vcc_lo
	global_load_dwordx2 v[38:39], v[0:1], off
	global_load_dwordx2 v[40:41], v[40:41], off
.LBB130_92:                             ;   in Loop: Header=BB130_5 Depth=1
	;; [unrolled: 30-line block ×3, first 2 shown]
	s_or_b32 exec_lo, exec_lo, s28
	v_mov_b32_e32 v50, 0
	v_mov_b32_e32 v51, 0
	s_and_saveexec_b32 s28, s1
	s_cbranch_execz .LBB130_98
; %bb.97:                               ;   in Loop: Header=BB130_5 Depth=1
	v_add_co_u32 v0, vcc_lo, v225, v4
	v_add_co_ci_u32_e64 v1, null, v226, v5, vcc_lo
	v_add_co_u32 v50, vcc_lo, v227, v4
	v_add_co_ci_u32_e64 v51, null, v228, v5, vcc_lo
	global_load_dwordx2 v[44:45], v[0:1], off
	global_load_dwordx2 v[50:51], v[50:51], off
.LBB130_98:                             ;   in Loop: Header=BB130_5 Depth=1
	s_or_b32 exec_lo, exec_lo, s28
	v_mov_b32_e32 v52, 0
	v_mov_b32_e32 v54, 0
	;; [unrolled: 1-line block ×6, first 2 shown]
	s_and_saveexec_b32 s28, s1
	s_cbranch_execz .LBB130_100
; %bb.99:                               ;   in Loop: Header=BB130_5 Depth=1
	v_add_co_u32 v0, vcc_lo, v221, v4
	v_add_co_ci_u32_e64 v1, null, v222, v5, vcc_lo
	v_add_co_u32 v56, vcc_lo, v223, v4
	v_add_co_ci_u32_e64 v57, null, v224, v5, vcc_lo
	global_load_dwordx2 v[54:55], v[0:1], off
	global_load_dwordx2 v[56:57], v[56:57], off
.LBB130_100:                            ;   in Loop: Header=BB130_5 Depth=1
	s_or_b32 exec_lo, exec_lo, s28
	v_mov_b32_e32 v58, 0
	v_mov_b32_e32 v59, 0
	s_and_saveexec_b32 s28, s1
	s_cbranch_execz .LBB130_102
; %bb.101:                              ;   in Loop: Header=BB130_5 Depth=1
	v_add_co_u32 v0, vcc_lo, v217, v4
	v_add_co_ci_u32_e64 v1, null, v218, v5, vcc_lo
	v_add_co_u32 v58, vcc_lo, v219, v4
	v_add_co_ci_u32_e64 v59, null, v220, v5, vcc_lo
	global_load_dwordx2 v[52:53], v[0:1], off
	global_load_dwordx2 v[58:59], v[58:59], off
.LBB130_102:                            ;   in Loop: Header=BB130_5 Depth=1
	s_or_b32 exec_lo, exec_lo, s28
	v_mov_b32_e32 v60, 0
	v_mov_b32_e32 v62, 0
	v_mov_b32_e32 v64, 0
	v_mov_b32_e32 v61, 0
	v_mov_b32_e32 v63, 0
	v_mov_b32_e32 v65, 0
	s_and_saveexec_b32 s28, s1
	s_cbranch_execz .LBB130_104
; %bb.103:                              ;   in Loop: Header=BB130_5 Depth=1
	v_add_co_u32 v0, vcc_lo, v213, v4
	v_add_co_ci_u32_e64 v1, null, v214, v5, vcc_lo
	v_add_co_u32 v64, vcc_lo, v215, v4
	v_add_co_ci_u32_e64 v65, null, v216, v5, vcc_lo
	global_load_dwordx2 v[62:63], v[0:1], off
	global_load_dwordx2 v[64:65], v[64:65], off
.LBB130_104:                            ;   in Loop: Header=BB130_5 Depth=1
	s_or_b32 exec_lo, exec_lo, s28
	v_mov_b32_e32 v66, 0
	v_mov_b32_e32 v67, 0
	s_and_saveexec_b32 s28, s1
	s_cbranch_execz .LBB130_106
; %bb.105:                              ;   in Loop: Header=BB130_5 Depth=1
	v_add_co_u32 v0, vcc_lo, v209, v4
	v_add_co_ci_u32_e64 v1, null, v210, v5, vcc_lo
	v_add_co_u32 v66, vcc_lo, v211, v4
	v_add_co_ci_u32_e64 v67, null, v212, v5, vcc_lo
	global_load_dwordx2 v[60:61], v[0:1], off
	global_load_dwordx2 v[66:67], v[66:67], off
.LBB130_106:                            ;   in Loop: Header=BB130_5 Depth=1
	s_or_b32 exec_lo, exec_lo, s28
	v_mov_b32_e32 v68, 0
	v_mov_b32_e32 v70, 0
	v_mov_b32_e32 v72, 0
	v_mov_b32_e32 v69, 0
	v_mov_b32_e32 v71, 0
	v_mov_b32_e32 v73, 0
	s_and_saveexec_b32 s28, s1
	s_cbranch_execz .LBB130_108
; %bb.107:                              ;   in Loop: Header=BB130_5 Depth=1
	v_add_co_u32 v0, vcc_lo, v205, v4
	v_add_co_ci_u32_e64 v1, null, v206, v5, vcc_lo
	v_add_co_u32 v72, vcc_lo, v207, v4
	v_add_co_ci_u32_e64 v73, null, v208, v5, vcc_lo
	global_load_dwordx2 v[70:71], v[0:1], off
	global_load_dwordx2 v[72:73], v[72:73], off
.LBB130_108:                            ;   in Loop: Header=BB130_5 Depth=1
	;; [unrolled: 30-line block ×9, first 2 shown]
	s_or_b32 exec_lo, exec_lo, s28
	v_mov_b32_e32 v132, 0
	v_mov_b32_e32 v133, 0
	s_and_saveexec_b32 s28, s1
	s_cbranch_execz .LBB130_138
; %bb.137:                              ;   in Loop: Header=BB130_5 Depth=1
	v_add_co_u32 v80, vcc_lo, v145, v4
	v_add_co_ci_u32_e64 v81, null, v146, v5, vcc_lo
	v_add_co_u32 v132, vcc_lo, v147, v4
	v_add_co_ci_u32_e64 v133, null, v148, v5, vcc_lo
	global_load_dwordx2 v[128:129], v[80:81], off
	global_load_dwordx2 v[132:133], v[132:133], off
.LBB130_138:                            ;   in Loop: Header=BB130_5 Depth=1
	s_or_b32 exec_lo, exec_lo, s28
	s_waitcnt vmcnt(1)
	v_mov_b32_e32 v24, v20
	v_mov_b32_e32 v80, 0
	;; [unrolled: 1-line block ×4, first 2 shown]
	s_and_saveexec_b32 s28, s1
	s_cbranch_execz .LBB130_3
; %bb.139:                              ;   in Loop: Header=BB130_5 Depth=1
	v_add_co_u32 v80, vcc_lo, v141, v4
	v_mov_b32_e32 v19, v134
	v_mov_b32_e32 v20, v135
	s_waitcnt vmcnt(0)
	v_mov_b32_e32 v135, v9
	v_add_co_ci_u32_e64 v81, null, v142, v5, vcc_lo
	v_mov_b32_e32 v134, v8
	v_add_co_u32 v8, vcc_lo, v143, v4
	v_add_co_ci_u32_e64 v9, null, v144, v5, vcc_lo
	global_load_dwordx2 v[80:81], v[80:81], off
	global_load_dwordx2 v[8:9], v[8:9], off
	s_waitcnt vmcnt(0)
	v_mul_f64 v[80:81], v[80:81], v[8:9]
	v_mov_b32_e32 v8, v134
	v_mov_b32_e32 v9, v135
	v_mov_b32_e32 v135, v20
	v_mov_b32_e32 v134, v19
	s_branch .LBB130_3
.LBB130_140:
                                        ; implicit-def: $vgpr126_vgpr127
	s_load_dwordx2 s[2:3], s[4:5], 0x30
	s_branch .LBB130_142
.LBB130_141:
	s_load_dwordx2 s[2:3], s[4:5], 0x30
	s_cbranch_execnz .LBB130_218
.LBB130_142:
	v_mov_b32_e32 v126, 0
	v_mov_b32_e32 v127, 0
	s_andn2_b32 vcc_lo, exec_lo, s26
	s_cbranch_vccnz .LBB130_218
; %bb.143:
	s_clause 0x1
	buffer_load_dword v0, off, s[36:39], 0 offset:348
	buffer_load_dword v1, off, s[36:39], 0 offset:352
	s_add_u32 s20, s4, 64
	s_addc_u32 s21, s5, 0
	s_lshl_b64 s[22:23], s[18:19], 3
	s_waitcnt vmcnt(0)
	v_lshlrev_b32_e32 v1, 5, v0
	v_lshlrev_b32_e32 v2, 8, v0
	v_add_co_u32 v0, s1, v1, s18
	buffer_store_dword v1, off, s[36:39], 0 ; 4-byte Folded Spill
	v_add_co_ci_u32_e64 v1, null, 0, 0, s1
	v_add_co_u32 v122, s1, v2, s22
	v_add_co_ci_u32_e64 v123, null, 0, s23, s1
	v_mul_lo_u32 v12, s11, v0
	v_add_co_u32 v20, vcc_lo, v122, 8
	v_add_co_ci_u32_e64 v4, null, 0, v123, vcc_lo
	v_add_co_u32 v22, vcc_lo, v122, 16
	v_add_co_ci_u32_e64 v6, null, 0, v123, vcc_lo
	v_add_co_u32 v26, vcc_lo, v122, 24
	v_add_co_ci_u32_e64 v8, null, 0, v123, vcc_lo
	v_add_co_u32 v29, vcc_lo, v122, 32
	v_add_co_ci_u32_e64 v10, null, 0, v123, vcc_lo
	v_add_co_u32 v30, vcc_lo, v122, 40
	v_add_co_ci_u32_e64 v14, null, 0, v123, vcc_lo
	v_add_co_u32 v38, vcc_lo, v122, 48
	v_mad_u64_u32 v[2:3], null, s10, v20, s[12:13]
	v_mul_lo_u32 v36, s10, v14
	v_add_co_ci_u32_e64 v14, null, 0, v123, vcc_lo
	v_add_co_u32 v39, vcc_lo, v122, 56
	v_add_co_ci_u32_e64 v16, null, 0, v123, vcc_lo
	v_add_co_u32 v43, vcc_lo, v122, 64
	;; [unrolled: 2-line block ×3, first 2 shown]
	v_add_co_ci_u32_e64 v21, null, 0, v123, vcc_lo
	v_mul_lo_u32 v24, s10, v4
	v_mul_lo_u32 v25, s11, v20
	v_mad_u64_u32 v[4:5], null, s10, v22, s[12:13]
	v_mul_lo_u32 v27, s10, v6
	v_mul_lo_u32 v28, s11, v22
	;; [unrolled: 1-line block ×3, first 2 shown]
	v_mad_u64_u32 v[20:21], null, s10, v20, s[14:15]
	v_mad_u64_u32 v[22:23], null, s10, v22, s[14:15]
	;; [unrolled: 1-line block ×3, first 2 shown]
	v_mul_lo_u32 v32, s10, v8
	v_mul_lo_u32 v33, s11, v26
	v_mad_u64_u32 v[8:9], null, s10, v29, s[12:13]
	v_mul_lo_u32 v34, s10, v10
	v_mul_lo_u32 v35, s11, v29
	v_add3_u32 v3, v25, v3, v24
	v_add3_u32 v5, v28, v5, v27
	;; [unrolled: 1-line block ×4, first 2 shown]
	v_mad_u64_u32 v[24:25], null, s10, v26, s[14:15]
	v_mad_u64_u32 v[26:27], null, s10, v29, s[14:15]
	v_mul_lo_u32 v13, s10, v1
	v_mad_u64_u32 v[126:127], null, s10, v0, 0
	v_mad_u64_u32 v[10:11], null, s10, v30, s[12:13]
	v_mul_lo_u32 v37, s11, v30
	v_add3_u32 v9, v35, v9, v34
	v_mul_lo_u32 v40, s10, v14
	v_mad_u64_u32 v[14:15], null, s10, v39, s[12:13]
	v_mul_lo_u32 v42, s10, v16
	v_mul_lo_u32 v44, s11, v39
	v_mad_u64_u32 v[28:29], null, s10, v30, s[14:15]
	v_add3_u32 v27, v35, v27, v34
	v_mad_u64_u32 v[34:35], null, s10, v39, s[14:15]
	v_add_co_u32 v50, vcc_lo, 0x50, v122
	v_add_co_ci_u32_e64 v51, null, 0, v123, vcc_lo
	v_add3_u32 v127, v127, v13, v12
	v_add3_u32 v7, v33, v7, v32
	v_mad_u64_u32 v[12:13], null, s10, v38, s[12:13]
	v_mul_lo_u32 v41, s11, v38
	v_mul_lo_u32 v46, s10, v18
	v_mad_u64_u32 v[18:19], null, s10, v45, s[12:13]
	v_mul_lo_u32 v49, s11, v45
	v_add3_u32 v25, v33, v25, v32
	v_mad_u64_u32 v[32:33], null, s10, v38, s[14:15]
	v_mad_u64_u32 v[38:39], null, s10, v45, s[14:15]
	v_add3_u32 v11, v37, v11, v36
	v_mad_u64_u32 v[16:17], null, s10, v43, s[12:13]
	v_mul_lo_u32 v47, s11, v43
	v_add3_u32 v15, v44, v15, v42
	v_mad_u64_u32 v[30:31], null, s10, v50, s[12:13]
	v_mul_lo_u32 v51, s10, v51
	v_mul_lo_u32 v52, s11, v50
	v_add3_u32 v29, v37, v29, v36
	v_add_co_u32 v53, vcc_lo, 0x58, v122
	v_mad_u64_u32 v[36:37], null, s10, v43, s[14:15]
	v_add3_u32 v35, v44, v35, v42
	v_mad_u64_u32 v[42:43], null, s10, v50, s[14:15]
	v_add_co_ci_u32_e64 v54, null, 0, v123, vcc_lo
	v_add3_u32 v19, v49, v19, v48
	v_add3_u32 v39, v49, v39, v48
	v_add_co_u32 v48, vcc_lo, 0x60, v122
	v_add3_u32 v13, v41, v13, v40
	v_add3_u32 v33, v41, v33, v40
	v_mad_u64_u32 v[40:41], null, s10, v53, s[12:13]
	v_mul_lo_u32 v54, s10, v54
	v_mul_lo_u32 v55, s11, v53
	v_mad_u64_u32 v[44:45], null, s10, v53, s[14:15]
	v_add3_u32 v31, v52, v31, v51
	v_add_co_ci_u32_e64 v49, null, 0, v123, vcc_lo
	v_add3_u32 v43, v52, v43, v51
	v_add_co_u32 v52, vcc_lo, 0x68, v122
	v_add_co_ci_u32_e64 v50, null, 0, v123, vcc_lo
	v_add_co_u32 v58, vcc_lo, 0x70, v122
	v_add_co_ci_u32_e64 v59, null, 0, v123, vcc_lo
	v_add3_u32 v17, v47, v17, v46
	v_add3_u32 v37, v47, v37, v46
	;; [unrolled: 1-line block ×3, first 2 shown]
	v_mad_u64_u32 v[46:47], null, s10, v48, s[12:13]
	v_mul_lo_u32 v56, s10, v49
	v_add3_u32 v45, v55, v45, v54
	v_mul_lo_u32 v54, s11, v48
	v_mad_u64_u32 v[48:49], null, s10, v48, s[14:15]
	v_mul_lo_u32 v55, s10, v50
	v_mul_lo_u32 v57, s11, v52
	v_mad_u64_u32 v[50:51], null, s10, v52, s[12:13]
	v_mad_u64_u32 v[52:53], null, s10, v52, s[14:15]
	v_add_co_u32 v60, vcc_lo, 0x78, v122
	v_mul_lo_u32 v62, s10, v59
	v_add_co_ci_u32_e64 v59, null, 0, v123, vcc_lo
	v_add_co_u32 v66, vcc_lo, 0x80, v122
	v_add_co_ci_u32_e64 v67, null, 0, v123, vcc_lo
	v_add3_u32 v47, v54, v47, v56
	v_add3_u32 v49, v54, v49, v56
	v_add3_u32 v51, v57, v51, v55
	v_add3_u32 v53, v57, v53, v55
	v_mul_lo_u32 v63, s11, v58
	v_mad_u64_u32 v[54:55], null, s10, v58, s[12:13]
	v_mad_u64_u32 v[56:57], null, s10, v58, s[14:15]
	v_mul_lo_u32 v64, s10, v59
	v_mul_lo_u32 v65, s11, v60
	v_mad_u64_u32 v[58:59], null, s10, v60, s[12:13]
	v_mad_u64_u32 v[60:61], null, s10, v60, s[14:15]
	v_add_co_u32 v68, vcc_lo, 0x88, v122
	v_mul_lo_u32 v70, s10, v67
	v_add_co_ci_u32_e64 v67, null, 0, v123, vcc_lo
	v_add_co_u32 v74, vcc_lo, 0x90, v122
	v_add_co_ci_u32_e64 v75, null, 0, v123, vcc_lo
	v_add3_u32 v55, v63, v55, v62
	v_add3_u32 v57, v63, v57, v62
	v_add3_u32 v59, v65, v59, v64
	v_add3_u32 v61, v65, v61, v64
	v_mul_lo_u32 v71, s11, v66
	v_mad_u64_u32 v[62:63], null, s10, v66, s[12:13]
	;; [unrolled: 16-line block ×6, first 2 shown]
	v_mad_u64_u32 v[96:97], null, s10, v98, s[14:15]
	v_mul_lo_u32 v104, s10, v99
	v_mul_lo_u32 v105, s11, v100
	v_mad_u64_u32 v[98:99], null, s10, v100, s[12:13]
	v_mad_u64_u32 v[100:101], null, s10, v100, s[14:15]
	v_add_co_u32 v108, vcc_lo, 0xd8, v122
	v_mul_lo_u32 v110, s10, v107
	v_add_co_ci_u32_e64 v107, null, 0, v123, vcc_lo
	v_add3_u32 v95, v103, v95, v102
	v_add3_u32 v97, v103, v97, v102
	;; [unrolled: 1-line block ×4, first 2 shown]
	v_mul_lo_u32 v111, s11, v106
	v_mad_u64_u32 v[102:103], null, s10, v106, s[12:13]
	v_mad_u64_u32 v[104:105], null, s10, v106, s[14:15]
	v_mul_lo_u32 v112, s10, v107
	v_mul_lo_u32 v113, s11, v108
	v_mad_u64_u32 v[106:107], null, s10, v108, s[12:13]
	v_mad_u64_u32 v[108:109], null, s10, v108, s[14:15]
	v_add_co_u32 v114, vcc_lo, 0xe0, v122
	v_add_co_ci_u32_e64 v115, null, 0, v123, vcc_lo
	v_add3_u32 v103, v111, v103, v110
	v_add3_u32 v105, v111, v105, v110
	;; [unrolled: 1-line block ×4, first 2 shown]
	v_mul_lo_u32 v115, s10, v115
	v_mul_lo_u32 v116, s11, v114
	v_mad_u64_u32 v[110:111], null, s10, v114, s[12:13]
	v_mad_u64_u32 v[112:113], null, s10, v114, s[14:15]
	s_load_dword s1, s[4:5], 0x44
	s_mov_b64 s[22:23], s[18:19]
	v_add3_u32 v111, v116, v111, v115
	v_add3_u32 v113, v116, v113, v115
	v_add_co_u32 v116, vcc_lo, 0xe8, v122
	v_add_co_ci_u32_e64 v114, null, 0, v123, vcc_lo
	v_add_co_u32 v120, vcc_lo, 0xf0, v122
	v_mul_lo_u32 v119, s11, v116
	v_mul_lo_u32 v118, s10, v114
	v_mad_u64_u32 v[114:115], null, s10, v116, s[12:13]
	v_mad_u64_u32 v[116:117], null, s10, v116, s[14:15]
	v_mul_lo_u32 v125, s11, v120
	s_waitcnt lgkmcnt(0)
	s_lshl_b32 s1, s1, 5
	v_add3_u32 v115, v119, v115, v118
	v_add3_u32 v117, v119, v117, v118
	v_add_co_ci_u32_e64 v118, null, 0, v123, vcc_lo
	v_mul_lo_u32 v124, s10, v118
	v_mad_u64_u32 v[118:119], null, s10, v120, s[12:13]
	v_mad_u64_u32 v[120:121], null, s10, v120, s[14:15]
	v_add3_u32 v119, v125, v119, v124
	v_add3_u32 v121, v125, v121, v124
	v_add_co_u32 v124, vcc_lo, 0xf8, v122
	v_add_co_ci_u32_e64 v122, null, 0, v123, vcc_lo
	v_mul_lo_u32 v129, s11, v124
	v_mul_lo_u32 v128, s10, v122
	v_mad_u64_u32 v[122:123], null, s10, v124, s[12:13]
	v_mad_u64_u32 v[124:125], null, s10, v124, s[14:15]
	v_add3_u32 v123, v129, v123, v128
	v_add3_u32 v125, v129, v125, v128
	v_add_co_u32 v128, vcc_lo, v0, 31
	v_add_co_ci_u32_e64 v129, null, 0, v1, vcc_lo
	v_mul_lo_u32 v131, s11, v128
	v_mul_lo_u32 v130, s10, v129
	v_mad_u64_u32 v[128:129], null, s10, v128, 0
	v_add3_u32 v129, v129, v130, v131
	v_add_co_u32 v130, vcc_lo, v0, 30
	v_add_co_ci_u32_e64 v131, null, 0, v1, vcc_lo
	v_mul_lo_u32 v133, s11, v130
	v_mul_lo_u32 v132, s10, v131
	v_mad_u64_u32 v[130:131], null, s10, v130, 0
	;; [unrolled: 6-line block ×4, first 2 shown]
	v_add3_u32 v135, v135, v136, v137
	v_add_co_u32 v136, vcc_lo, v0, 27
	v_add_co_ci_u32_e64 v137, null, 0, v1, vcc_lo
	v_mul_lo_u32 v138, s11, v136
	v_mad_u64_u32 v[141:142], null, s10, v136, 0
	v_mul_lo_u32 v137, s10, v137
	v_add_co_u32 v136, vcc_lo, v0, 26
	v_mad_u64_u32 v[143:144], null, s10, v136, 0
	v_add3_u32 v142, v142, v137, v138
	v_add_co_ci_u32_e64 v137, null, 0, v1, vcc_lo
	v_mul_lo_u32 v138, s11, v136
	v_add_co_u32 v136, vcc_lo, v0, 25
	v_mul_lo_u32 v137, s10, v137
	v_mad_u64_u32 v[145:146], null, s10, v136, 0
	v_add3_u32 v144, v144, v137, v138
	v_add_co_ci_u32_e64 v137, null, 0, v1, vcc_lo
	v_mul_lo_u32 v138, s11, v136
	v_add_co_u32 v136, vcc_lo, v0, 24
	v_mul_lo_u32 v137, s10, v137
	v_mad_u64_u32 v[147:148], null, s10, v136, 0
	v_add3_u32 v146, v146, v137, v138
	v_add_co_ci_u32_e64 v137, null, 0, v1, vcc_lo
	v_mul_lo_u32 v138, s11, v136
	v_add_co_u32 v136, vcc_lo, v0, 23
	v_mul_lo_u32 v137, s10, v137
	v_mad_u64_u32 v[149:150], null, s10, v136, 0
	v_add3_u32 v148, v148, v137, v138
	v_add_co_ci_u32_e64 v137, null, 0, v1, vcc_lo
	v_mul_lo_u32 v138, s11, v136
	v_add_co_u32 v136, vcc_lo, v0, 22
	v_mul_lo_u32 v137, s10, v137
	v_mad_u64_u32 v[151:152], null, s10, v136, 0
	v_add3_u32 v150, v150, v137, v138
	v_add_co_ci_u32_e64 v137, null, 0, v1, vcc_lo
	v_mul_lo_u32 v138, s11, v136
	v_add_co_u32 v136, vcc_lo, v0, 21
	v_mul_lo_u32 v137, s10, v137
	v_mad_u64_u32 v[153:154], null, s10, v136, 0
	v_add3_u32 v152, v152, v137, v138
	v_add_co_ci_u32_e64 v137, null, 0, v1, vcc_lo
	v_mul_lo_u32 v138, s11, v136
	v_add_co_u32 v136, vcc_lo, v0, 20
	v_mul_lo_u32 v137, s10, v137
	v_mad_u64_u32 v[155:156], null, s10, v136, 0
	v_add3_u32 v154, v154, v137, v138
	v_add_co_ci_u32_e64 v137, null, 0, v1, vcc_lo
	v_mul_lo_u32 v138, s11, v136
	v_add_co_u32 v136, vcc_lo, v0, 19
	v_mul_lo_u32 v137, s10, v137
	v_mad_u64_u32 v[157:158], null, s10, v136, 0
	v_add3_u32 v156, v156, v137, v138
	v_add_co_ci_u32_e64 v137, null, 0, v1, vcc_lo
	v_mul_lo_u32 v138, s11, v136
	v_add_co_u32 v136, vcc_lo, v0, 18
	v_mul_lo_u32 v137, s10, v137
	v_mad_u64_u32 v[159:160], null, s10, v136, 0
	v_add3_u32 v158, v158, v137, v138
	v_add_co_ci_u32_e64 v137, null, 0, v1, vcc_lo
	v_mul_lo_u32 v138, s11, v136
	v_add_co_u32 v136, vcc_lo, v0, 17
	v_mul_lo_u32 v137, s10, v137
	v_mad_u64_u32 v[161:162], null, s10, v136, 0
	v_add3_u32 v160, v160, v137, v138
	v_add_co_ci_u32_e64 v137, null, 0, v1, vcc_lo
	v_mul_lo_u32 v138, s11, v136
	v_add_co_u32 v136, vcc_lo, v0, 16
	v_mul_lo_u32 v137, s10, v137
	v_mad_u64_u32 v[163:164], null, s10, v136, 0
	v_add3_u32 v162, v162, v137, v138
	v_add_co_ci_u32_e64 v137, null, 0, v1, vcc_lo
	v_mul_lo_u32 v138, s11, v136
	v_add_co_u32 v136, vcc_lo, v0, 15
	v_mul_lo_u32 v137, s10, v137
	v_mad_u64_u32 v[165:166], null, s10, v136, 0
	v_add3_u32 v164, v164, v137, v138
	v_add_co_ci_u32_e64 v137, null, 0, v1, vcc_lo
	v_mul_lo_u32 v138, s11, v136
	v_add_co_u32 v136, vcc_lo, v0, 14
	v_mul_lo_u32 v137, s10, v137
	v_mad_u64_u32 v[167:168], null, s10, v136, 0
	v_add3_u32 v166, v166, v137, v138
	v_add_co_ci_u32_e64 v137, null, 0, v1, vcc_lo
	v_mul_lo_u32 v138, s11, v136
	v_add_co_u32 v136, vcc_lo, v0, 13
	v_mul_lo_u32 v137, s10, v137
	v_mad_u64_u32 v[169:170], null, s10, v136, 0
	v_add3_u32 v168, v168, v137, v138
	v_add_co_ci_u32_e64 v137, null, 0, v1, vcc_lo
	v_mul_lo_u32 v138, s11, v136
	v_add_co_u32 v136, vcc_lo, v0, 12
	v_mul_lo_u32 v137, s10, v137
	v_mad_u64_u32 v[171:172], null, s10, v136, 0
	v_add3_u32 v170, v170, v137, v138
	v_add_co_ci_u32_e64 v137, null, 0, v1, vcc_lo
	v_mul_lo_u32 v138, s11, v136
	v_add_co_u32 v136, vcc_lo, v0, 11
	v_mul_lo_u32 v137, s10, v137
	v_mad_u64_u32 v[173:174], null, s10, v136, 0
	v_add3_u32 v172, v172, v137, v138
	v_add_co_ci_u32_e64 v137, null, 0, v1, vcc_lo
	v_mul_lo_u32 v138, s11, v136
	v_add_co_u32 v136, vcc_lo, v0, 10
	v_mul_lo_u32 v137, s10, v137
	v_mad_u64_u32 v[175:176], null, s10, v136, 0
	v_add3_u32 v174, v174, v137, v138
	v_add_co_ci_u32_e64 v137, null, 0, v1, vcc_lo
	v_mul_lo_u32 v138, s11, v136
	v_add_co_u32 v136, vcc_lo, v0, 9
	v_mul_lo_u32 v137, s10, v137
	v_mad_u64_u32 v[177:178], null, s10, v136, 0
	v_add3_u32 v176, v176, v137, v138
	v_add_co_ci_u32_e64 v137, null, 0, v1, vcc_lo
	v_mul_lo_u32 v138, s11, v136
	v_add_co_u32 v136, vcc_lo, v0, 8
	v_mul_lo_u32 v137, s10, v137
	v_mad_u64_u32 v[179:180], null, s10, v136, 0
	v_add3_u32 v178, v178, v137, v138
	v_add_co_ci_u32_e64 v137, null, 0, v1, vcc_lo
	v_mul_lo_u32 v138, s11, v136
	v_add_co_u32 v136, vcc_lo, v0, 7
	v_mul_lo_u32 v137, s10, v137
	v_mad_u64_u32 v[181:182], null, s10, v136, 0
	v_add3_u32 v180, v180, v137, v138
	v_add_co_ci_u32_e64 v137, null, 0, v1, vcc_lo
	v_mul_lo_u32 v138, s11, v136
	v_add_co_u32 v136, vcc_lo, v0, 6
	v_mul_lo_u32 v137, s10, v137
	v_mad_u64_u32 v[183:184], null, s10, v136, 0
	v_add3_u32 v182, v182, v137, v138
	v_add_co_ci_u32_e64 v137, null, 0, v1, vcc_lo
	v_mul_lo_u32 v138, s11, v136
	v_add_co_u32 v136, vcc_lo, v0, 5
	v_mul_lo_u32 v137, s10, v137
	v_mad_u64_u32 v[185:186], null, s10, v136, 0
	v_add3_u32 v184, v184, v137, v138
	v_add_co_ci_u32_e64 v137, null, 0, v1, vcc_lo
	v_mul_lo_u32 v138, s11, v136
	v_add_co_u32 v136, vcc_lo, v0, 4
	v_mul_lo_u32 v137, s10, v137
	v_mad_u64_u32 v[187:188], null, s10, v136, 0
	v_add3_u32 v186, v186, v137, v138
	v_add_co_ci_u32_e64 v137, null, 0, v1, vcc_lo
	v_mul_lo_u32 v138, s11, v136
	v_add_co_u32 v136, vcc_lo, v0, 3
	v_mul_lo_u32 v137, s10, v137
	v_mad_u64_u32 v[191:192], null, s10, v136, 0
	v_add3_u32 v188, v188, v137, v138
	v_add_co_ci_u32_e64 v137, null, 0, v1, vcc_lo
	v_mul_lo_u32 v138, s11, v136
	v_add_co_u32 v0, vcc_lo, v0, 2
	v_mul_lo_u32 v137, s10, v137
	v_add_co_ci_u32_e64 v1, null, 0, v1, vcc_lo
	v_add_co_u32 v199, vcc_lo, v126, s10
	v_add_co_ci_u32_e64 v200, null, s11, v127, vcc_lo
	v_mul_lo_u32 v136, s10, v1
	v_add3_u32 v192, v192, v137, v138
	v_mul_lo_u32 v137, s11, v0
	v_mad_u64_u32 v[0:1], null, s10, v0, 0
	v_lshlrev_b64 v[126:127], 3, v[126:127]
	v_add3_u32 v1, v1, v136, v137
	v_add_co_u32 v137, vcc_lo, s12, v126
	v_add_co_ci_u32_e64 v138, null, s13, v127, vcc_lo
	v_add_co_u32 v139, vcc_lo, s14, v126
	v_add_co_ci_u32_e64 v140, null, s15, v127, vcc_lo
	v_lshlrev_b64 v[126:127], 3, v[128:129]
	v_lshlrev_b64 v[0:1], 3, v[0:1]
	v_add_co_u32 v128, vcc_lo, s12, v126
	buffer_store_dword v128, off, s[36:39], 0 offset:12 ; 4-byte Folded Spill
	v_add_co_ci_u32_e64 v128, null, s13, v127, vcc_lo
	v_add_co_u32 v126, vcc_lo, s14, v126
	buffer_store_dword v128, off, s[36:39], 0 offset:20 ; 4-byte Folded Spill
	buffer_store_dword v126, off, s[36:39], 0 offset:28 ; 4-byte Folded Spill
	v_add_co_ci_u32_e64 v126, null, s15, v127, vcc_lo
	buffer_store_dword v126, off, s[36:39], 0 offset:36 ; 4-byte Folded Spill
	v_lshlrev_b64 v[126:127], 3, v[130:131]
	v_add_co_u32 v128, vcc_lo, s12, v126
	buffer_store_dword v128, off, s[36:39], 0 offset:44 ; 4-byte Folded Spill
	v_add_co_ci_u32_e64 v128, null, s13, v127, vcc_lo
	v_add_co_u32 v126, vcc_lo, s14, v126
	buffer_store_dword v128, off, s[36:39], 0 offset:52 ; 4-byte Folded Spill
	buffer_store_dword v126, off, s[36:39], 0 offset:60 ; 4-byte Folded Spill
	v_add_co_ci_u32_e64 v126, null, s15, v127, vcc_lo
	buffer_store_dword v126, off, s[36:39], 0 offset:64 ; 4-byte Folded Spill
	;; [unrolled: 9-line block ×9, first 2 shown]
	v_lshlrev_b64 v[126:127], 3, v[151:152]
	v_mov_b32_e32 v150, 0
	v_mov_b32_e32 v151, 0
	v_add_co_u32 v128, vcc_lo, s12, v126
	buffer_store_dword v128, off, s[36:39], 0 offset:180 ; 4-byte Folded Spill
	v_add_co_ci_u32_e64 v128, null, s13, v127, vcc_lo
	v_add_co_u32 v126, vcc_lo, s14, v126
	buffer_store_dword v128, off, s[36:39], 0 offset:184 ; 4-byte Folded Spill
	buffer_store_dword v126, off, s[36:39], 0 offset:188 ; 4-byte Folded Spill
	v_add_co_ci_u32_e64 v126, null, s15, v127, vcc_lo
	buffer_store_dword v126, off, s[36:39], 0 offset:192 ; 4-byte Folded Spill
	v_lshlrev_b64 v[126:127], 3, v[153:154]
	v_add_co_u32 v128, vcc_lo, s12, v126
	buffer_store_dword v128, off, s[36:39], 0 offset:196 ; 4-byte Folded Spill
	v_add_co_ci_u32_e64 v128, null, s13, v127, vcc_lo
	v_add_co_u32 v126, vcc_lo, s14, v126
	buffer_store_dword v128, off, s[36:39], 0 offset:200 ; 4-byte Folded Spill
	buffer_store_dword v126, off, s[36:39], 0 offset:204 ; 4-byte Folded Spill
	v_add_co_ci_u32_e64 v126, null, s15, v127, vcc_lo
	buffer_store_dword v126, off, s[36:39], 0 offset:208 ; 4-byte Folded Spill
	v_lshlrev_b64 v[126:127], 3, v[155:156]
	;; [unrolled: 9-line block ×10, first 2 shown]
	v_add_co_u32 v128, vcc_lo, s12, v126
	buffer_store_dword v128, off, s[36:39], 0 offset:340 ; 4-byte Folded Spill
	v_add_co_ci_u32_e64 v128, null, s13, v127, vcc_lo
	v_add_co_u32 v158, vcc_lo, s14, v126
	v_add_co_ci_u32_e64 v159, null, s15, v127, vcc_lo
	v_lshlrev_b64 v[126:127], 3, v[173:174]
	buffer_store_dword v128, off, s[36:39], 0 offset:344 ; 4-byte Folded Spill
	v_mov_b32_e32 v128, 0
	v_add_co_u32 v160, vcc_lo, s12, v126
	v_add_co_ci_u32_e64 v161, null, s13, v127, vcc_lo
	v_add_co_u32 v162, vcc_lo, s14, v126
	v_add_co_ci_u32_e64 v163, null, s15, v127, vcc_lo
	v_lshlrev_b64 v[126:127], 3, v[175:176]
	v_mov_b32_e32 v143, v128
	v_add_co_u32 v164, vcc_lo, s12, v126
	v_add_co_ci_u32_e64 v165, null, s13, v127, vcc_lo
	v_add_co_u32 v166, vcc_lo, s14, v126
	v_add_co_ci_u32_e64 v167, null, s15, v127, vcc_lo
	v_lshlrev_b64 v[126:127], 3, v[177:178]
	v_add_co_u32 v168, vcc_lo, s12, v126
	v_add_co_ci_u32_e64 v169, null, s13, v127, vcc_lo
	v_add_co_u32 v170, vcc_lo, s14, v126
	v_add_co_ci_u32_e64 v171, null, s15, v127, vcc_lo
	v_lshlrev_b64 v[126:127], 3, v[179:180]
	;; [unrolled: 5-line block ×7, first 2 shown]
	v_add_co_u32 v191, vcc_lo, s12, v126
	v_add_co_ci_u32_e64 v192, null, s13, v127, vcc_lo
	v_add_co_u32 v193, vcc_lo, s14, v126
	v_add_co_ci_u32_e64 v194, null, s15, v127, vcc_lo
	v_add_co_u32 v195, vcc_lo, s12, v0
	v_add_co_ci_u32_e64 v196, null, s13, v1, vcc_lo
	v_add_co_u32 v197, vcc_lo, s14, v0
	v_add_co_ci_u32_e64 v198, null, s15, v1, vcc_lo
	v_lshlrev_b64 v[0:1], 3, v[199:200]
	v_add_co_u32 v199, vcc_lo, s12, v0
	v_add_co_ci_u32_e64 v200, null, s13, v1, vcc_lo
	v_add_co_u32 v141, vcc_lo, s14, v0
	buffer_load_dword v0, off, s[36:39], 0 offset:8 ; 4-byte Folded Reload
	s_mul_i32 s12, s11, s1
	s_mul_hi_u32 s13, s10, s1
	v_add_co_ci_u32_e64 v142, null, s15, v1, vcc_lo
	s_add_i32 s13, s13, s12
	s_mul_i32 s12, s10, s1
	s_mov_b64 s[14:15], 31
	s_lshl_b64 s[12:13], s[12:13], 3
	s_waitcnt vmcnt(0)
	v_add_nc_u32_e32 v127, s7, v0
	v_lshlrev_b64 v[129:130], 3, v[127:128]
.LBB130_144:                            ; =>This Inner Loop Header: Depth=1
	buffer_load_dword v0, off, s[36:39], 0  ; 4-byte Folded Reload
	s_add_u32 s24, s18, s14
	s_addc_u32 s25, 0, s15
                                        ; implicit-def: $vgpr126_vgpr127
	v_cmp_ge_i64_e64 s7, s[24:25], s[8:9]
	s_waitcnt vmcnt(0)
	v_add_co_u32 v133, vcc_lo, s18, v0
	v_add_co_ci_u32_e64 v134, null, 0, v143, vcc_lo
	s_and_b32 vcc_lo, exec_lo, s7
	s_mov_b32 s7, -1
	s_cbranch_vccz .LBB130_212
; %bb.145:                              ;   in Loop: Header=BB130_144 Depth=1
	s_load_dword s7, s[20:21], 0xc
	s_clause 0x2
	buffer_load_dword v0, off, s[36:39], 0 offset:348
	buffer_load_dword v1, off, s[36:39], 0 offset:352
	;; [unrolled: 1-line block ×3, first 2 shown]
	v_mov_b32_e32 v126, 0
	v_mov_b32_e32 v127, 0
	buffer_store_dword v126, off, s[36:39], 0 offset:356 ; 4-byte Folded Spill
	buffer_store_dword v127, off, s[36:39], 0 offset:360 ; 4-byte Folded Spill
	v_mov_b32_e32 v126, 0
	v_mov_b32_e32 v127, 0
	s_waitcnt lgkmcnt(0)
	s_and_b32 s7, s7, 0xffff
	s_waitcnt vmcnt(0)
	v_mad_u32_u24 v0, v0, s7, v1
	s_mov_b32 s7, exec_lo
	v_and_b32_e32 v0, 31, v0
	v_add_co_u32 v0, vcc_lo, v133, v0
	v_add_co_ci_u32_e64 v1, null, 0, v134, vcc_lo
	v_cmpx_gt_i64_e64 s[8:9], v[0:1]
	s_cbranch_execz .LBB130_147
; %bb.146:                              ;   in Loop: Header=BB130_144 Depth=1
	v_lshlrev_b64 v[0:1], 3, v[0:1]
	v_add_co_u32 v0, vcc_lo, s16, v0
	v_add_co_ci_u32_e64 v1, null, s17, v1, vcc_lo
	global_load_dwordx2 v[126:127], v[0:1], off
.LBB130_147:                            ;   in Loop: Header=BB130_144 Depth=1
	s_or_b32 exec_lo, exec_lo, s7
	v_mov_b32_e32 v148, 0
	v_mov_b32_e32 v149, 0
	s_mov_b32 s7, exec_lo
	v_cmpx_gt_i64_e64 s[8:9], v[133:134]
	s_cbranch_execz .LBB130_149
; %bb.148:                              ;   in Loop: Header=BB130_144 Depth=1
	v_add_co_u32 v0, vcc_lo, v137, v129
	v_add_co_ci_u32_e64 v1, null, v138, v130, vcc_lo
	v_add_co_u32 v131, vcc_lo, v139, v129
	v_add_co_ci_u32_e64 v132, null, v140, v130, vcc_lo
	global_load_dwordx2 v[0:1], v[0:1], off
	s_waitcnt vmcnt(0)
	buffer_store_dword v0, off, s[36:39], 0 offset:356 ; 4-byte Folded Spill
	buffer_store_dword v1, off, s[36:39], 0 offset:360 ; 4-byte Folded Spill
	global_load_dwordx2 v[148:149], v[131:132], off
.LBB130_149:                            ;   in Loop: Header=BB130_144 Depth=1
	s_or_b32 exec_lo, exec_lo, s7
	v_add_co_u32 v0, vcc_lo, v133, 1
	v_add_co_ci_u32_e64 v1, null, 0, v134, vcc_lo
	v_mov_b32_e32 v152, 0
	v_mov_b32_e32 v144, 0
	;; [unrolled: 1-line block ×3, first 2 shown]
	v_cmp_gt_i64_e32 vcc_lo, s[8:9], v[0:1]
	v_mov_b32_e32 v0, 0
	v_mov_b32_e32 v145, 0
	;; [unrolled: 1-line block ×3, first 2 shown]
	buffer_store_dword v0, off, s[36:39], 0 offset:364 ; 4-byte Folded Spill
	buffer_store_dword v1, off, s[36:39], 0 offset:368 ; 4-byte Folded Spill
	s_and_saveexec_b32 s7, vcc_lo
	s_cbranch_execz .LBB130_151
; %bb.150:                              ;   in Loop: Header=BB130_144 Depth=1
	v_add_co_u32 v0, vcc_lo, v199, v129
	v_add_co_ci_u32_e64 v1, null, v200, v130, vcc_lo
	v_add_co_u32 v131, vcc_lo, v141, v129
	v_add_co_ci_u32_e64 v132, null, v142, v130, vcc_lo
	global_load_dwordx2 v[144:145], v[0:1], off
	global_load_dwordx2 v[0:1], v[131:132], off
	s_waitcnt vmcnt(0)
	buffer_store_dword v0, off, s[36:39], 0 offset:364 ; 4-byte Folded Spill
	buffer_store_dword v1, off, s[36:39], 0 offset:368 ; 4-byte Folded Spill
.LBB130_151:                            ;   in Loop: Header=BB130_144 Depth=1
	s_or_b32 exec_lo, exec_lo, s7
	v_add_co_u32 v0, vcc_lo, v133, 2
	v_add_co_ci_u32_e64 v1, null, 0, v134, vcc_lo
	v_cmp_gt_i64_e32 vcc_lo, s[8:9], v[0:1]
	v_mov_b32_e32 v0, 0
	v_mov_b32_e32 v1, 0
	buffer_store_dword v0, off, s[36:39], 0 offset:372 ; 4-byte Folded Spill
	buffer_store_dword v1, off, s[36:39], 0 offset:376 ; 4-byte Folded Spill
	s_and_saveexec_b32 s7, vcc_lo
	s_cbranch_execz .LBB130_153
; %bb.152:                              ;   in Loop: Header=BB130_144 Depth=1
	v_add_co_u32 v0, vcc_lo, v195, v129
	v_add_co_ci_u32_e64 v1, null, v196, v130, vcc_lo
	v_add_co_u32 v131, vcc_lo, v197, v129
	v_add_co_ci_u32_e64 v132, null, v198, v130, vcc_lo
	global_load_dwordx2 v[152:153], v[0:1], off
	global_load_dwordx2 v[0:1], v[131:132], off
	s_waitcnt vmcnt(0)
	buffer_store_dword v0, off, s[36:39], 0 offset:372 ; 4-byte Folded Spill
	buffer_store_dword v1, off, s[36:39], 0 offset:376 ; 4-byte Folded Spill
.LBB130_153:                            ;   in Loop: Header=BB130_144 Depth=1
	s_or_b32 exec_lo, exec_lo, s7
	v_add_co_u32 v0, vcc_lo, v133, 3
	v_mov_b32_e32 v131, 0
	v_mov_b32_e32 v132, 0
	v_add_co_ci_u32_e64 v1, null, 0, v134, vcc_lo
	buffer_store_dword v131, off, s[36:39], 0 offset:380 ; 4-byte Folded Spill
	buffer_store_dword v132, off, s[36:39], 0 offset:384 ; 4-byte Folded Spill
	v_mov_b32_e32 v131, 0
	v_cmp_gt_i64_e32 vcc_lo, s[8:9], v[0:1]
	v_mov_b32_e32 v0, 0
	v_mov_b32_e32 v132, 0
	;; [unrolled: 1-line block ×3, first 2 shown]
	buffer_store_dword v131, off, s[36:39], 0 offset:388 ; 4-byte Folded Spill
	buffer_store_dword v132, off, s[36:39], 0 offset:392 ; 4-byte Folded Spill
	;; [unrolled: 1-line block ×4, first 2 shown]
	s_and_saveexec_b32 s7, vcc_lo
	s_cbranch_execz .LBB130_155
; %bb.154:                              ;   in Loop: Header=BB130_144 Depth=1
	v_add_co_u32 v0, vcc_lo, v191, v129
	v_add_co_ci_u32_e64 v1, null, v192, v130, vcc_lo
	v_add_co_u32 v131, vcc_lo, v193, v129
	v_add_co_ci_u32_e64 v132, null, v194, v130, vcc_lo
	global_load_dwordx2 v[0:1], v[0:1], off
	s_waitcnt vmcnt(0)
	buffer_store_dword v0, off, s[36:39], 0 offset:388 ; 4-byte Folded Spill
	buffer_store_dword v1, off, s[36:39], 0 offset:392 ; 4-byte Folded Spill
	global_load_dwordx2 v[0:1], v[131:132], off
	s_waitcnt vmcnt(0)
	buffer_store_dword v0, off, s[36:39], 0 offset:396 ; 4-byte Folded Spill
	buffer_store_dword v1, off, s[36:39], 0 offset:400 ; 4-byte Folded Spill
.LBB130_155:                            ;   in Loop: Header=BB130_144 Depth=1
	s_or_b32 exec_lo, exec_lo, s7
	v_add_co_u32 v0, vcc_lo, v133, 4
	v_add_co_ci_u32_e64 v1, null, 0, v134, vcc_lo
	v_cmp_gt_i64_e32 vcc_lo, s[8:9], v[0:1]
	v_mov_b32_e32 v0, 0
	v_mov_b32_e32 v1, 0
	buffer_store_dword v0, off, s[36:39], 0 offset:404 ; 4-byte Folded Spill
	buffer_store_dword v1, off, s[36:39], 0 offset:408 ; 4-byte Folded Spill
	s_and_saveexec_b32 s7, vcc_lo
	s_cbranch_execz .LBB130_157
; %bb.156:                              ;   in Loop: Header=BB130_144 Depth=1
	v_add_co_u32 v0, vcc_lo, v187, v129
	v_add_co_ci_u32_e64 v1, null, v188, v130, vcc_lo
	v_add_co_u32 v131, vcc_lo, v189, v129
	v_add_co_ci_u32_e64 v132, null, v190, v130, vcc_lo
	global_load_dwordx2 v[0:1], v[0:1], off
	s_waitcnt vmcnt(0)
	buffer_store_dword v0, off, s[36:39], 0 offset:380 ; 4-byte Folded Spill
	buffer_store_dword v1, off, s[36:39], 0 offset:384 ; 4-byte Folded Spill
	global_load_dwordx2 v[0:1], v[131:132], off
	s_waitcnt vmcnt(0)
	buffer_store_dword v0, off, s[36:39], 0 offset:404 ; 4-byte Folded Spill
	buffer_store_dword v1, off, s[36:39], 0 offset:408 ; 4-byte Folded Spill
.LBB130_157:                            ;   in Loop: Header=BB130_144 Depth=1
	s_or_b32 exec_lo, exec_lo, s7
	v_add_co_u32 v0, vcc_lo, v133, 5
	v_add_co_ci_u32_e64 v1, null, 0, v134, vcc_lo
	v_mov_b32_e32 v156, 0
	v_mov_b32_e32 v201, 0
	;; [unrolled: 1-line block ×3, first 2 shown]
	v_cmp_gt_i64_e32 vcc_lo, s[8:9], v[0:1]
	v_mov_b32_e32 v0, 0
	v_mov_b32_e32 v202, 0
	;; [unrolled: 1-line block ×3, first 2 shown]
	buffer_store_dword v0, off, s[36:39], 0 offset:412 ; 4-byte Folded Spill
	buffer_store_dword v1, off, s[36:39], 0 offset:416 ; 4-byte Folded Spill
	s_and_saveexec_b32 s7, vcc_lo
	s_cbranch_execz .LBB130_159
; %bb.158:                              ;   in Loop: Header=BB130_144 Depth=1
	v_add_co_u32 v0, vcc_lo, v183, v129
	v_add_co_ci_u32_e64 v1, null, v184, v130, vcc_lo
	v_add_co_u32 v131, vcc_lo, v185, v129
	v_add_co_ci_u32_e64 v132, null, v186, v130, vcc_lo
	global_load_dwordx2 v[201:202], v[0:1], off
	global_load_dwordx2 v[0:1], v[131:132], off
	s_waitcnt vmcnt(0)
	buffer_store_dword v0, off, s[36:39], 0 offset:412 ; 4-byte Folded Spill
	buffer_store_dword v1, off, s[36:39], 0 offset:416 ; 4-byte Folded Spill
.LBB130_159:                            ;   in Loop: Header=BB130_144 Depth=1
	s_or_b32 exec_lo, exec_lo, s7
	v_add_co_u32 v0, vcc_lo, v133, 6
	v_add_co_ci_u32_e64 v1, null, 0, v134, vcc_lo
	v_cmp_gt_i64_e32 vcc_lo, s[8:9], v[0:1]
	v_mov_b32_e32 v0, 0
	v_mov_b32_e32 v1, 0
	buffer_store_dword v0, off, s[36:39], 0 offset:420 ; 4-byte Folded Spill
	buffer_store_dword v1, off, s[36:39], 0 offset:424 ; 4-byte Folded Spill
	s_and_saveexec_b32 s7, vcc_lo
	s_cbranch_execz .LBB130_161
; %bb.160:                              ;   in Loop: Header=BB130_144 Depth=1
	v_add_co_u32 v0, vcc_lo, v179, v129
	v_add_co_ci_u32_e64 v1, null, v180, v130, vcc_lo
	v_add_co_u32 v131, vcc_lo, v181, v129
	v_add_co_ci_u32_e64 v132, null, v182, v130, vcc_lo
	global_load_dwordx2 v[156:157], v[0:1], off
	global_load_dwordx2 v[0:1], v[131:132], off
	s_waitcnt vmcnt(0)
	buffer_store_dword v0, off, s[36:39], 0 offset:420 ; 4-byte Folded Spill
	buffer_store_dword v1, off, s[36:39], 0 offset:424 ; 4-byte Folded Spill
.LBB130_161:                            ;   in Loop: Header=BB130_144 Depth=1
	s_or_b32 exec_lo, exec_lo, s7
	v_add_co_u32 v0, vcc_lo, v133, 7
	v_mov_b32_e32 v131, 0
	v_mov_b32_e32 v132, 0
	v_add_co_ci_u32_e64 v1, null, 0, v134, vcc_lo
	buffer_store_dword v131, off, s[36:39], 0 offset:428 ; 4-byte Folded Spill
	buffer_store_dword v132, off, s[36:39], 0 offset:432 ; 4-byte Folded Spill
	v_mov_b32_e32 v131, 0
	v_cmp_gt_i64_e32 vcc_lo, s[8:9], v[0:1]
	v_mov_b32_e32 v0, 0
	v_mov_b32_e32 v132, 0
	;; [unrolled: 1-line block ×3, first 2 shown]
	buffer_store_dword v131, off, s[36:39], 0 offset:436 ; 4-byte Folded Spill
	buffer_store_dword v132, off, s[36:39], 0 offset:440 ; 4-byte Folded Spill
	;; [unrolled: 1-line block ×4, first 2 shown]
	s_and_saveexec_b32 s7, vcc_lo
	s_cbranch_execz .LBB130_163
; %bb.162:                              ;   in Loop: Header=BB130_144 Depth=1
	v_add_co_u32 v0, vcc_lo, v175, v129
	v_add_co_ci_u32_e64 v1, null, v176, v130, vcc_lo
	v_add_co_u32 v131, vcc_lo, v177, v129
	v_add_co_ci_u32_e64 v132, null, v178, v130, vcc_lo
	global_load_dwordx2 v[0:1], v[0:1], off
	s_waitcnt vmcnt(0)
	buffer_store_dword v0, off, s[36:39], 0 offset:436 ; 4-byte Folded Spill
	buffer_store_dword v1, off, s[36:39], 0 offset:440 ; 4-byte Folded Spill
	global_load_dwordx2 v[0:1], v[131:132], off
	s_waitcnt vmcnt(0)
	buffer_store_dword v0, off, s[36:39], 0 offset:444 ; 4-byte Folded Spill
	buffer_store_dword v1, off, s[36:39], 0 offset:448 ; 4-byte Folded Spill
.LBB130_163:                            ;   in Loop: Header=BB130_144 Depth=1
	s_or_b32 exec_lo, exec_lo, s7
	v_add_co_u32 v0, vcc_lo, v133, 8
	v_add_co_ci_u32_e64 v1, null, 0, v134, vcc_lo
	v_cmp_gt_i64_e32 vcc_lo, s[8:9], v[0:1]
	v_mov_b32_e32 v0, 0
	v_mov_b32_e32 v1, 0
	buffer_store_dword v0, off, s[36:39], 0 offset:452 ; 4-byte Folded Spill
	buffer_store_dword v1, off, s[36:39], 0 offset:456 ; 4-byte Folded Spill
	s_and_saveexec_b32 s7, vcc_lo
	s_cbranch_execz .LBB130_165
; %bb.164:                              ;   in Loop: Header=BB130_144 Depth=1
	v_add_co_u32 v0, vcc_lo, v172, v129
	v_add_co_ci_u32_e64 v1, null, v255, v130, vcc_lo
	v_add_co_u32 v131, vcc_lo, v173, v129
	v_add_co_ci_u32_e64 v132, null, v174, v130, vcc_lo
	global_load_dwordx2 v[0:1], v[0:1], off
	s_waitcnt vmcnt(0)
	buffer_store_dword v0, off, s[36:39], 0 offset:428 ; 4-byte Folded Spill
	buffer_store_dword v1, off, s[36:39], 0 offset:432 ; 4-byte Folded Spill
	global_load_dwordx2 v[0:1], v[131:132], off
	s_waitcnt vmcnt(0)
	buffer_store_dword v0, off, s[36:39], 0 offset:452 ; 4-byte Folded Spill
	buffer_store_dword v1, off, s[36:39], 0 offset:456 ; 4-byte Folded Spill
.LBB130_165:                            ;   in Loop: Header=BB130_144 Depth=1
	s_or_b32 exec_lo, exec_lo, s7
	v_add_co_u32 v0, vcc_lo, v133, 9
	v_mov_b32_e32 v131, 0
	v_mov_b32_e32 v132, 0
	v_add_co_ci_u32_e64 v1, null, 0, v134, vcc_lo
	buffer_store_dword v131, off, s[36:39], 0 offset:460 ; 4-byte Folded Spill
	buffer_store_dword v132, off, s[36:39], 0 offset:464 ; 4-byte Folded Spill
	v_mov_b32_e32 v131, 0
	v_cmp_gt_i64_e32 vcc_lo, s[8:9], v[0:1]
	v_mov_b32_e32 v0, 0
	v_mov_b32_e32 v132, 0
	;; [unrolled: 1-line block ×3, first 2 shown]
	buffer_store_dword v131, off, s[36:39], 0 offset:468 ; 4-byte Folded Spill
	buffer_store_dword v132, off, s[36:39], 0 offset:472 ; 4-byte Folded Spill
	;; [unrolled: 1-line block ×4, first 2 shown]
	s_and_saveexec_b32 s7, vcc_lo
	s_cbranch_execz .LBB130_167
; %bb.166:                              ;   in Loop: Header=BB130_144 Depth=1
	v_add_co_u32 v0, vcc_lo, v168, v129
	v_add_co_ci_u32_e64 v1, null, v169, v130, vcc_lo
	v_add_co_u32 v131, vcc_lo, v170, v129
	v_add_co_ci_u32_e64 v132, null, v171, v130, vcc_lo
	global_load_dwordx2 v[0:1], v[0:1], off
	s_waitcnt vmcnt(0)
	buffer_store_dword v0, off, s[36:39], 0 offset:468 ; 4-byte Folded Spill
	buffer_store_dword v1, off, s[36:39], 0 offset:472 ; 4-byte Folded Spill
	global_load_dwordx2 v[0:1], v[131:132], off
	s_waitcnt vmcnt(0)
	buffer_store_dword v0, off, s[36:39], 0 offset:476 ; 4-byte Folded Spill
	buffer_store_dword v1, off, s[36:39], 0 offset:480 ; 4-byte Folded Spill
.LBB130_167:                            ;   in Loop: Header=BB130_144 Depth=1
	s_or_b32 exec_lo, exec_lo, s7
	v_add_co_u32 v0, vcc_lo, v133, 10
	v_add_co_ci_u32_e64 v1, null, 0, v134, vcc_lo
	v_cmp_gt_i64_e32 vcc_lo, s[8:9], v[0:1]
	v_mov_b32_e32 v0, 0
	v_mov_b32_e32 v1, 0
	buffer_store_dword v0, off, s[36:39], 0 offset:484 ; 4-byte Folded Spill
	buffer_store_dword v1, off, s[36:39], 0 offset:488 ; 4-byte Folded Spill
	s_and_saveexec_b32 s7, vcc_lo
	s_cbranch_execz .LBB130_169
; %bb.168:                              ;   in Loop: Header=BB130_144 Depth=1
	v_add_co_u32 v0, vcc_lo, v164, v129
	v_add_co_ci_u32_e64 v1, null, v165, v130, vcc_lo
	v_add_co_u32 v131, vcc_lo, v166, v129
	v_add_co_ci_u32_e64 v132, null, v167, v130, vcc_lo
	global_load_dwordx2 v[0:1], v[0:1], off
	s_waitcnt vmcnt(0)
	buffer_store_dword v0, off, s[36:39], 0 offset:460 ; 4-byte Folded Spill
	buffer_store_dword v1, off, s[36:39], 0 offset:464 ; 4-byte Folded Spill
	global_load_dwordx2 v[0:1], v[131:132], off
	s_waitcnt vmcnt(0)
	buffer_store_dword v0, off, s[36:39], 0 offset:484 ; 4-byte Folded Spill
	buffer_store_dword v1, off, s[36:39], 0 offset:488 ; 4-byte Folded Spill
.LBB130_169:                            ;   in Loop: Header=BB130_144 Depth=1
	s_or_b32 exec_lo, exec_lo, s7
	v_add_co_u32 v0, vcc_lo, v133, 11
	v_mov_b32_e32 v131, 0
	v_mov_b32_e32 v132, 0
	v_add_co_ci_u32_e64 v1, null, 0, v134, vcc_lo
	buffer_store_dword v131, off, s[36:39], 0 offset:492 ; 4-byte Folded Spill
	buffer_store_dword v132, off, s[36:39], 0 offset:496 ; 4-byte Folded Spill
	v_mov_b32_e32 v131, 0
	v_cmp_gt_i64_e32 vcc_lo, s[8:9], v[0:1]
	v_mov_b32_e32 v0, 0
	v_mov_b32_e32 v132, 0
	;; [unrolled: 1-line block ×3, first 2 shown]
	buffer_store_dword v131, off, s[36:39], 0 offset:500 ; 4-byte Folded Spill
	buffer_store_dword v132, off, s[36:39], 0 offset:504 ; 4-byte Folded Spill
	;; [unrolled: 1-line block ×4, first 2 shown]
	s_and_saveexec_b32 s7, vcc_lo
	s_cbranch_execz .LBB130_171
; %bb.170:                              ;   in Loop: Header=BB130_144 Depth=1
	v_add_co_u32 v0, vcc_lo, v160, v129
	v_add_co_ci_u32_e64 v1, null, v161, v130, vcc_lo
	v_add_co_u32 v131, vcc_lo, v162, v129
	v_add_co_ci_u32_e64 v132, null, v163, v130, vcc_lo
	global_load_dwordx2 v[0:1], v[0:1], off
	s_waitcnt vmcnt(0)
	buffer_store_dword v0, off, s[36:39], 0 offset:500 ; 4-byte Folded Spill
	buffer_store_dword v1, off, s[36:39], 0 offset:504 ; 4-byte Folded Spill
	global_load_dwordx2 v[0:1], v[131:132], off
	s_waitcnt vmcnt(0)
	buffer_store_dword v0, off, s[36:39], 0 offset:508 ; 4-byte Folded Spill
	buffer_store_dword v1, off, s[36:39], 0 offset:512 ; 4-byte Folded Spill
.LBB130_171:                            ;   in Loop: Header=BB130_144 Depth=1
	s_or_b32 exec_lo, exec_lo, s7
	v_add_co_u32 v0, vcc_lo, v133, 12
	v_add_co_ci_u32_e64 v1, null, 0, v134, vcc_lo
	v_cmp_gt_i64_e32 vcc_lo, s[8:9], v[0:1]
	v_mov_b32_e32 v0, 0
	v_mov_b32_e32 v1, 0
	buffer_store_dword v0, off, s[36:39], 0 offset:516 ; 4-byte Folded Spill
	buffer_store_dword v1, off, s[36:39], 0 offset:520 ; 4-byte Folded Spill
	s_and_saveexec_b32 s7, vcc_lo
	s_cbranch_execz .LBB130_173
; %bb.172:                              ;   in Loop: Header=BB130_144 Depth=1
	s_clause 0x1
	buffer_load_dword v0, off, s[36:39], 0 offset:340
	buffer_load_dword v1, off, s[36:39], 0 offset:344
	s_waitcnt vmcnt(1)
	v_add_co_u32 v0, vcc_lo, v0, v129
	s_waitcnt vmcnt(0)
	v_add_co_ci_u32_e64 v1, null, v1, v130, vcc_lo
	v_add_co_u32 v131, vcc_lo, v158, v129
	v_add_co_ci_u32_e64 v132, null, v159, v130, vcc_lo
	global_load_dwordx2 v[0:1], v[0:1], off
	s_waitcnt vmcnt(0)
	buffer_store_dword v0, off, s[36:39], 0 offset:492 ; 4-byte Folded Spill
	buffer_store_dword v1, off, s[36:39], 0 offset:496 ; 4-byte Folded Spill
	global_load_dwordx2 v[0:1], v[131:132], off
	s_waitcnt vmcnt(0)
	buffer_store_dword v0, off, s[36:39], 0 offset:516 ; 4-byte Folded Spill
	buffer_store_dword v1, off, s[36:39], 0 offset:520 ; 4-byte Folded Spill
.LBB130_173:                            ;   in Loop: Header=BB130_144 Depth=1
	s_or_b32 exec_lo, exec_lo, s7
	v_add_co_u32 v0, vcc_lo, v133, 13
	v_mov_b32_e32 v131, 0
	v_mov_b32_e32 v132, 0
	v_add_co_ci_u32_e64 v1, null, 0, v134, vcc_lo
	buffer_store_dword v131, off, s[36:39], 0 offset:524 ; 4-byte Folded Spill
	buffer_store_dword v132, off, s[36:39], 0 offset:528 ; 4-byte Folded Spill
	v_mov_b32_e32 v131, 0
	v_cmp_gt_i64_e32 vcc_lo, s[8:9], v[0:1]
	v_mov_b32_e32 v0, 0
	v_mov_b32_e32 v132, 0
	v_mov_b32_e32 v1, 0
	buffer_store_dword v131, off, s[36:39], 0 offset:532 ; 4-byte Folded Spill
	buffer_store_dword v132, off, s[36:39], 0 offset:536 ; 4-byte Folded Spill
	;; [unrolled: 1-line block ×4, first 2 shown]
	s_and_saveexec_b32 s7, vcc_lo
	s_cbranch_execz .LBB130_175
; %bb.174:                              ;   in Loop: Header=BB130_144 Depth=1
	s_clause 0x3
	buffer_load_dword v0, off, s[36:39], 0 offset:324
	buffer_load_dword v1, off, s[36:39], 0 offset:328
	;; [unrolled: 1-line block ×4, first 2 shown]
	s_waitcnt vmcnt(3)
	v_add_co_u32 v0, vcc_lo, v0, v129
	s_waitcnt vmcnt(2)
	v_add_co_ci_u32_e64 v1, null, v1, v130, vcc_lo
	s_waitcnt vmcnt(1)
	v_add_co_u32 v131, vcc_lo, v131, v129
	s_waitcnt vmcnt(0)
	v_add_co_ci_u32_e64 v132, null, v132, v130, vcc_lo
	global_load_dwordx2 v[0:1], v[0:1], off
	s_waitcnt vmcnt(0)
	buffer_store_dword v0, off, s[36:39], 0 offset:532 ; 4-byte Folded Spill
	buffer_store_dword v1, off, s[36:39], 0 offset:536 ; 4-byte Folded Spill
	global_load_dwordx2 v[0:1], v[131:132], off
	s_waitcnt vmcnt(0)
	buffer_store_dword v0, off, s[36:39], 0 offset:540 ; 4-byte Folded Spill
	buffer_store_dword v1, off, s[36:39], 0 offset:544 ; 4-byte Folded Spill
.LBB130_175:                            ;   in Loop: Header=BB130_144 Depth=1
	s_or_b32 exec_lo, exec_lo, s7
	v_add_co_u32 v0, vcc_lo, v133, 14
	v_add_co_ci_u32_e64 v1, null, 0, v134, vcc_lo
	v_cmp_gt_i64_e32 vcc_lo, s[8:9], v[0:1]
	v_mov_b32_e32 v0, 0
	v_mov_b32_e32 v1, 0
	buffer_store_dword v0, off, s[36:39], 0 offset:548 ; 4-byte Folded Spill
	buffer_store_dword v1, off, s[36:39], 0 offset:552 ; 4-byte Folded Spill
	s_and_saveexec_b32 s7, vcc_lo
	s_cbranch_execz .LBB130_177
; %bb.176:                              ;   in Loop: Header=BB130_144 Depth=1
	s_clause 0x3
	buffer_load_dword v0, off, s[36:39], 0 offset:308
	buffer_load_dword v1, off, s[36:39], 0 offset:312
	;; [unrolled: 1-line block ×4, first 2 shown]
	s_waitcnt vmcnt(3)
	v_add_co_u32 v0, vcc_lo, v0, v129
	s_waitcnt vmcnt(2)
	v_add_co_ci_u32_e64 v1, null, v1, v130, vcc_lo
	s_waitcnt vmcnt(1)
	v_add_co_u32 v131, vcc_lo, v131, v129
	s_waitcnt vmcnt(0)
	v_add_co_ci_u32_e64 v132, null, v132, v130, vcc_lo
	global_load_dwordx2 v[0:1], v[0:1], off
	s_waitcnt vmcnt(0)
	buffer_store_dword v0, off, s[36:39], 0 offset:524 ; 4-byte Folded Spill
	buffer_store_dword v1, off, s[36:39], 0 offset:528 ; 4-byte Folded Spill
	global_load_dwordx2 v[0:1], v[131:132], off
	s_waitcnt vmcnt(0)
	buffer_store_dword v0, off, s[36:39], 0 offset:548 ; 4-byte Folded Spill
	buffer_store_dword v1, off, s[36:39], 0 offset:552 ; 4-byte Folded Spill
.LBB130_177:                            ;   in Loop: Header=BB130_144 Depth=1
	s_or_b32 exec_lo, exec_lo, s7
	v_add_co_u32 v0, vcc_lo, v133, 15
	v_mov_b32_e32 v131, 0
	v_mov_b32_e32 v132, 0
	v_add_co_ci_u32_e64 v1, null, 0, v134, vcc_lo
	buffer_store_dword v131, off, s[36:39], 0 offset:556 ; 4-byte Folded Spill
	buffer_store_dword v132, off, s[36:39], 0 offset:560 ; 4-byte Folded Spill
	v_mov_b32_e32 v131, 0
	v_cmp_gt_i64_e32 vcc_lo, s[8:9], v[0:1]
	v_mov_b32_e32 v0, 0
	v_mov_b32_e32 v132, 0
	;; [unrolled: 1-line block ×3, first 2 shown]
	buffer_store_dword v131, off, s[36:39], 0 offset:564 ; 4-byte Folded Spill
	buffer_store_dword v132, off, s[36:39], 0 offset:568 ; 4-byte Folded Spill
	;; [unrolled: 1-line block ×4, first 2 shown]
	s_and_saveexec_b32 s7, vcc_lo
	s_cbranch_execz .LBB130_179
; %bb.178:                              ;   in Loop: Header=BB130_144 Depth=1
	s_clause 0x3
	buffer_load_dword v0, off, s[36:39], 0 offset:292
	buffer_load_dword v1, off, s[36:39], 0 offset:296
	;; [unrolled: 1-line block ×4, first 2 shown]
	s_waitcnt vmcnt(3)
	v_add_co_u32 v0, vcc_lo, v0, v129
	s_waitcnt vmcnt(2)
	v_add_co_ci_u32_e64 v1, null, v1, v130, vcc_lo
	s_waitcnt vmcnt(1)
	v_add_co_u32 v131, vcc_lo, v131, v129
	s_waitcnt vmcnt(0)
	v_add_co_ci_u32_e64 v132, null, v132, v130, vcc_lo
	global_load_dwordx2 v[0:1], v[0:1], off
	s_waitcnt vmcnt(0)
	buffer_store_dword v0, off, s[36:39], 0 offset:564 ; 4-byte Folded Spill
	buffer_store_dword v1, off, s[36:39], 0 offset:568 ; 4-byte Folded Spill
	global_load_dwordx2 v[0:1], v[131:132], off
	s_waitcnt vmcnt(0)
	buffer_store_dword v0, off, s[36:39], 0 offset:572 ; 4-byte Folded Spill
	buffer_store_dword v1, off, s[36:39], 0 offset:576 ; 4-byte Folded Spill
.LBB130_179:                            ;   in Loop: Header=BB130_144 Depth=1
	s_or_b32 exec_lo, exec_lo, s7
	v_add_co_u32 v0, vcc_lo, v133, 16
	v_add_co_ci_u32_e64 v1, null, 0, v134, vcc_lo
	v_cmp_gt_i64_e32 vcc_lo, s[8:9], v[0:1]
	v_mov_b32_e32 v0, 0
	v_mov_b32_e32 v1, 0
	buffer_store_dword v0, off, s[36:39], 0 offset:580 ; 4-byte Folded Spill
	buffer_store_dword v1, off, s[36:39], 0 offset:584 ; 4-byte Folded Spill
	s_and_saveexec_b32 s7, vcc_lo
	s_cbranch_execz .LBB130_181
; %bb.180:                              ;   in Loop: Header=BB130_144 Depth=1
	s_clause 0x3
	buffer_load_dword v0, off, s[36:39], 0 offset:276
	buffer_load_dword v1, off, s[36:39], 0 offset:280
	;; [unrolled: 1-line block ×4, first 2 shown]
	s_waitcnt vmcnt(3)
	v_add_co_u32 v0, vcc_lo, v0, v129
	s_waitcnt vmcnt(2)
	v_add_co_ci_u32_e64 v1, null, v1, v130, vcc_lo
	s_waitcnt vmcnt(1)
	v_add_co_u32 v131, vcc_lo, v131, v129
	s_waitcnt vmcnt(0)
	v_add_co_ci_u32_e64 v132, null, v132, v130, vcc_lo
	global_load_dwordx2 v[0:1], v[0:1], off
	s_waitcnt vmcnt(0)
	buffer_store_dword v0, off, s[36:39], 0 offset:556 ; 4-byte Folded Spill
	buffer_store_dword v1, off, s[36:39], 0 offset:560 ; 4-byte Folded Spill
	global_load_dwordx2 v[0:1], v[131:132], off
	s_waitcnt vmcnt(0)
	buffer_store_dword v0, off, s[36:39], 0 offset:580 ; 4-byte Folded Spill
	buffer_store_dword v1, off, s[36:39], 0 offset:584 ; 4-byte Folded Spill
.LBB130_181:                            ;   in Loop: Header=BB130_144 Depth=1
	s_or_b32 exec_lo, exec_lo, s7
	v_add_co_u32 v0, vcc_lo, v133, 17
	v_mov_b32_e32 v203, 0
	v_mov_b32_e32 v205, 0
	v_mov_b32_e32 v207, 0
	v_add_co_ci_u32_e64 v1, null, 0, v134, vcc_lo
	v_mov_b32_e32 v204, 0
	v_mov_b32_e32 v206, 0
	v_mov_b32_e32 v208, 0
	s_mov_b32 s7, exec_lo
	v_cmpx_gt_i64_e64 s[8:9], v[0:1]
	s_cbranch_execz .LBB130_183
; %bb.182:                              ;   in Loop: Header=BB130_144 Depth=1
	s_clause 0x3
	buffer_load_dword v0, off, s[36:39], 0 offset:260
	buffer_load_dword v1, off, s[36:39], 0 offset:264
	buffer_load_dword v131, off, s[36:39], 0 offset:268
	buffer_load_dword v132, off, s[36:39], 0 offset:272
	s_waitcnt vmcnt(3)
	v_add_co_u32 v0, vcc_lo, v0, v129
	s_waitcnt vmcnt(2)
	v_add_co_ci_u32_e64 v1, null, v1, v130, vcc_lo
	s_waitcnt vmcnt(1)
	v_add_co_u32 v131, vcc_lo, v131, v129
	s_waitcnt vmcnt(0)
	v_add_co_ci_u32_e64 v132, null, v132, v130, vcc_lo
	global_load_dwordx2 v[205:206], v[0:1], off
	global_load_dwordx2 v[207:208], v[131:132], off
.LBB130_183:                            ;   in Loop: Header=BB130_144 Depth=1
	s_or_b32 exec_lo, exec_lo, s7
	v_add_co_u32 v0, vcc_lo, v133, 18
	v_mov_b32_e32 v209, 0
	v_add_co_ci_u32_e64 v1, null, 0, v134, vcc_lo
	v_mov_b32_e32 v210, 0
	s_mov_b32 s7, exec_lo
	v_cmpx_gt_i64_e64 s[8:9], v[0:1]
	s_cbranch_execz .LBB130_185
; %bb.184:                              ;   in Loop: Header=BB130_144 Depth=1
	s_clause 0x3
	buffer_load_dword v0, off, s[36:39], 0 offset:244
	buffer_load_dword v1, off, s[36:39], 0 offset:248
	buffer_load_dword v131, off, s[36:39], 0 offset:252
	buffer_load_dword v132, off, s[36:39], 0 offset:256
	s_waitcnt vmcnt(3)
	v_add_co_u32 v0, vcc_lo, v0, v129
	s_waitcnt vmcnt(2)
	v_add_co_ci_u32_e64 v1, null, v1, v130, vcc_lo
	s_waitcnt vmcnt(1)
	v_add_co_u32 v131, vcc_lo, v131, v129
	s_waitcnt vmcnt(0)
	v_add_co_ci_u32_e64 v132, null, v132, v130, vcc_lo
	global_load_dwordx2 v[203:204], v[0:1], off
	global_load_dwordx2 v[209:210], v[131:132], off
.LBB130_185:                            ;   in Loop: Header=BB130_144 Depth=1
	s_or_b32 exec_lo, exec_lo, s7
	v_add_co_u32 v0, vcc_lo, v133, 19
	v_mov_b32_e32 v211, 0
	v_mov_b32_e32 v213, 0
	v_mov_b32_e32 v215, 0
	v_add_co_ci_u32_e64 v1, null, 0, v134, vcc_lo
	v_mov_b32_e32 v212, 0
	v_mov_b32_e32 v214, 0
	v_mov_b32_e32 v216, 0
	s_mov_b32 s7, exec_lo
	v_cmpx_gt_i64_e64 s[8:9], v[0:1]
	s_cbranch_execz .LBB130_187
; %bb.186:                              ;   in Loop: Header=BB130_144 Depth=1
	s_clause 0x3
	buffer_load_dword v0, off, s[36:39], 0 offset:228
	buffer_load_dword v1, off, s[36:39], 0 offset:232
	buffer_load_dword v131, off, s[36:39], 0 offset:236
	buffer_load_dword v132, off, s[36:39], 0 offset:240
	s_waitcnt vmcnt(3)
	v_add_co_u32 v0, vcc_lo, v0, v129
	s_waitcnt vmcnt(2)
	v_add_co_ci_u32_e64 v1, null, v1, v130, vcc_lo
	s_waitcnt vmcnt(1)
	v_add_co_u32 v131, vcc_lo, v131, v129
	s_waitcnt vmcnt(0)
	v_add_co_ci_u32_e64 v132, null, v132, v130, vcc_lo
	global_load_dwordx2 v[213:214], v[0:1], off
	global_load_dwordx2 v[215:216], v[131:132], off
.LBB130_187:                            ;   in Loop: Header=BB130_144 Depth=1
	s_or_b32 exec_lo, exec_lo, s7
	v_add_co_u32 v0, vcc_lo, v133, 20
	v_mov_b32_e32 v217, 0
	v_add_co_ci_u32_e64 v1, null, 0, v134, vcc_lo
	v_mov_b32_e32 v218, 0
	s_mov_b32 s7, exec_lo
	v_cmpx_gt_i64_e64 s[8:9], v[0:1]
	s_cbranch_execz .LBB130_189
; %bb.188:                              ;   in Loop: Header=BB130_144 Depth=1
	s_clause 0x3
	buffer_load_dword v0, off, s[36:39], 0 offset:212
	buffer_load_dword v1, off, s[36:39], 0 offset:216
	buffer_load_dword v131, off, s[36:39], 0 offset:220
	buffer_load_dword v132, off, s[36:39], 0 offset:224
	s_waitcnt vmcnt(3)
	v_add_co_u32 v0, vcc_lo, v0, v129
	s_waitcnt vmcnt(2)
	v_add_co_ci_u32_e64 v1, null, v1, v130, vcc_lo
	s_waitcnt vmcnt(1)
	v_add_co_u32 v131, vcc_lo, v131, v129
	s_waitcnt vmcnt(0)
	v_add_co_ci_u32_e64 v132, null, v132, v130, vcc_lo
	global_load_dwordx2 v[211:212], v[0:1], off
	global_load_dwordx2 v[217:218], v[131:132], off
.LBB130_189:                            ;   in Loop: Header=BB130_144 Depth=1
	;; [unrolled: 54-line block ×6, first 2 shown]
	s_or_b32 exec_lo, exec_lo, s7
	v_add_co_u32 v0, vcc_lo, v133, 29
	v_mov_b32_e32 v251, 0
	v_mov_b32_e32 v253, 0
	v_mov_b32_e32 v131, 0
	v_add_co_ci_u32_e64 v1, null, 0, v134, vcc_lo
	v_mov_b32_e32 v252, 0
	v_mov_b32_e32 v254, 0
	;; [unrolled: 1-line block ×3, first 2 shown]
	s_mov_b32 s7, exec_lo
	v_cmpx_gt_i64_e64 s[8:9], v[0:1]
	s_cbranch_execz .LBB130_207
; %bb.206:                              ;   in Loop: Header=BB130_144 Depth=1
	s_clause 0x3
	buffer_load_dword v0, off, s[36:39], 0 offset:68
	buffer_load_dword v1, off, s[36:39], 0 offset:72
	;; [unrolled: 1-line block ×4, first 2 shown]
	s_waitcnt vmcnt(3)
	v_add_co_u32 v0, vcc_lo, v0, v129
	s_waitcnt vmcnt(2)
	v_add_co_ci_u32_e64 v1, null, v1, v130, vcc_lo
	s_waitcnt vmcnt(1)
	v_add_co_u32 v131, vcc_lo, v131, v129
	s_waitcnt vmcnt(0)
	v_add_co_ci_u32_e64 v132, null, v132, v130, vcc_lo
	global_load_dwordx2 v[253:254], v[0:1], off
	global_load_dwordx2 v[131:132], v[131:132], off
.LBB130_207:                            ;   in Loop: Header=BB130_144 Depth=1
	s_or_b32 exec_lo, exec_lo, s7
	v_add_co_u32 v0, vcc_lo, v133, 30
	v_add_co_ci_u32_e64 v1, null, 0, v134, vcc_lo
	v_cmp_gt_i64_e32 vcc_lo, s[8:9], v[0:1]
	v_mov_b32_e32 v0, 0
	v_mov_b32_e32 v1, 0
	s_and_saveexec_b32 s7, vcc_lo
	s_cbranch_execz .LBB130_209
; %bb.208:                              ;   in Loop: Header=BB130_144 Depth=1
	s_clause 0x3
	buffer_load_dword v0, off, s[36:39], 0 offset:44
	buffer_load_dword v1, off, s[36:39], 0 offset:52
	buffer_load_dword v135, off, s[36:39], 0 offset:60
	buffer_load_dword v136, off, s[36:39], 0 offset:64
	s_waitcnt vmcnt(3)
	v_add_co_u32 v0, vcc_lo, v0, v129
	s_waitcnt vmcnt(2)
	v_add_co_ci_u32_e64 v1, null, v1, v130, vcc_lo
	s_waitcnt vmcnt(1)
	v_add_co_u32 v135, vcc_lo, v135, v129
	s_waitcnt vmcnt(0)
	v_add_co_ci_u32_e64 v136, null, v136, v130, vcc_lo
	global_load_dwordx2 v[251:252], v[0:1], off
	global_load_dwordx2 v[0:1], v[135:136], off
.LBB130_209:                            ;   in Loop: Header=BB130_144 Depth=1
	s_or_b32 exec_lo, exec_lo, s7
	v_add_co_u32 v135, vcc_lo, v133, 31
	v_add_co_ci_u32_e64 v136, null, 0, v134, vcc_lo
	v_mov_b32_e32 v147, v145
	v_mov_b32_e32 v146, v144
	v_cmp_gt_i64_e32 vcc_lo, s[8:9], v[135:136]
	v_mov_b32_e32 v135, 0
	v_mov_b32_e32 v136, 0
	s_and_saveexec_b32 s7, vcc_lo
	s_cbranch_execz .LBB130_211
; %bb.210:                              ;   in Loop: Header=BB130_144 Depth=1
	s_clause 0x3
	buffer_load_dword v135, off, s[36:39], 0 offset:12
	buffer_load_dword v136, off, s[36:39], 0 offset:20
	;; [unrolled: 1-line block ×4, first 2 shown]
	s_waitcnt vmcnt(3)
	v_add_co_u32 v135, vcc_lo, v135, v129
	s_waitcnt vmcnt(2)
	v_add_co_ci_u32_e64 v136, null, v136, v130, vcc_lo
	s_waitcnt vmcnt(1)
	v_add_co_u32 v144, vcc_lo, v144, v129
	s_waitcnt vmcnt(0)
	v_add_co_ci_u32_e64 v145, null, v145, v130, vcc_lo
	global_load_dwordx2 v[135:136], v[135:136], off
	global_load_dwordx2 v[144:145], v[144:145], off
	s_waitcnt vmcnt(0)
	v_mul_f64 v[135:136], v[135:136], v[144:145]
.LBB130_211:                            ;   in Loop: Header=BB130_144 Depth=1
	s_or_b32 exec_lo, exec_lo, s7
	s_clause 0x1
	buffer_load_dword v144, off, s[36:39], 0 offset:356
	buffer_load_dword v145, off, s[36:39], 0 offset:360
	s_waitcnt vmcnt(2)
	v_mul_f64 v[131:132], v[253:254], v[131:132]
	v_mul_f64 v[0:1], v[251:252], v[0:1]
	s_mov_b32 s7, 0
	s_waitcnt vmcnt(0)
	v_mul_f64 v[144:145], v[144:145], v[148:149]
	s_clause 0x1
	buffer_load_dword v148, off, s[36:39], 0 offset:364
	buffer_load_dword v149, off, s[36:39], 0 offset:368
	s_waitcnt vmcnt(0)
	v_mul_f64 v[146:147], v[146:147], v[148:149]
	ds_bpermute_b32 v148, v128, v126
	ds_bpermute_b32 v149, v128, v127
	s_waitcnt lgkmcnt(0)
	v_fma_f64 v[144:145], v[144:145], v[148:149], v[150:151]
	ds_bpermute_b32 v148, v128, v126 offset:4
	ds_bpermute_b32 v149, v128, v127 offset:4
	s_waitcnt lgkmcnt(0)
	v_fma_f64 v[144:145], v[146:147], v[148:149], v[144:145]
	s_clause 0x1
	buffer_load_dword v146, off, s[36:39], 0 offset:372
	buffer_load_dword v147, off, s[36:39], 0 offset:376
	s_waitcnt vmcnt(0)
	v_mul_f64 v[146:147], v[152:153], v[146:147]
	s_clause 0x3
	buffer_load_dword v148, off, s[36:39], 0 offset:388
	buffer_load_dword v149, off, s[36:39], 0 offset:392
	;; [unrolled: 1-line block ×4, first 2 shown]
	s_waitcnt vmcnt(0)
	v_mul_f64 v[148:149], v[148:149], v[152:153]
	v_mov_b32_e32 v153, v151
	v_mov_b32_e32 v152, v150
	ds_bpermute_b32 v150, v128, v126 offset:8
	ds_bpermute_b32 v151, v128, v127 offset:8
	s_waitcnt lgkmcnt(0)
	v_fma_f64 v[144:145], v[146:147], v[150:151], v[144:145]
	s_clause 0x3
	buffer_load_dword v150, off, s[36:39], 0 offset:380
	buffer_load_dword v151, off, s[36:39], 0 offset:384
	;; [unrolled: 1-line block ×4, first 2 shown]
	ds_bpermute_b32 v146, v128, v126 offset:12
	ds_bpermute_b32 v147, v128, v127 offset:12
	s_waitcnt lgkmcnt(0)
	v_fma_f64 v[144:145], v[148:149], v[146:147], v[144:145]
	s_clause 0x1
	buffer_load_dword v148, off, s[36:39], 0 offset:412
	buffer_load_dword v149, off, s[36:39], 0 offset:416
	ds_bpermute_b32 v146, v128, v126 offset:16
	ds_bpermute_b32 v147, v128, v127 offset:16
	s_waitcnt vmcnt(2)
	v_mul_f64 v[150:151], v[150:151], v[154:155]
	s_waitcnt lgkmcnt(0)
	v_fma_f64 v[144:145], v[150:151], v[146:147], v[144:145]
	s_waitcnt vmcnt(0)
	v_mul_f64 v[148:149], v[201:202], v[148:149]
	s_clause 0x1
	buffer_load_dword v150, off, s[36:39], 0 offset:420
	buffer_load_dword v151, off, s[36:39], 0 offset:424
	ds_bpermute_b32 v146, v128, v126 offset:20
	ds_bpermute_b32 v147, v128, v127 offset:20
	s_waitcnt lgkmcnt(0)
	v_fma_f64 v[144:145], v[148:149], v[146:147], v[144:145]
	s_clause 0x3
	buffer_load_dword v148, off, s[36:39], 0 offset:436
	buffer_load_dword v149, off, s[36:39], 0 offset:440
	;; [unrolled: 1-line block ×4, first 2 shown]
	ds_bpermute_b32 v146, v128, v126 offset:24
	ds_bpermute_b32 v147, v128, v127 offset:24
	s_waitcnt vmcnt(4)
	v_mul_f64 v[150:151], v[156:157], v[150:151]
	s_waitcnt lgkmcnt(0)
	v_fma_f64 v[144:145], v[150:151], v[146:147], v[144:145]
	s_waitcnt vmcnt(0)
	v_mul_f64 v[148:149], v[148:149], v[154:155]
	s_clause 0x3
	buffer_load_dword v150, off, s[36:39], 0 offset:428
	buffer_load_dword v151, off, s[36:39], 0 offset:432
	;; [unrolled: 1-line block ×4, first 2 shown]
	ds_bpermute_b32 v146, v128, v126 offset:28
	ds_bpermute_b32 v147, v128, v127 offset:28
	s_waitcnt lgkmcnt(0)
	v_fma_f64 v[144:145], v[148:149], v[146:147], v[144:145]
	ds_bpermute_b32 v146, v128, v126 offset:32
	ds_bpermute_b32 v147, v128, v127 offset:32
	s_waitcnt vmcnt(0)
	v_mul_f64 v[150:151], v[150:151], v[154:155]
	s_clause 0x3
	buffer_load_dword v148, off, s[36:39], 0 offset:468
	buffer_load_dword v149, off, s[36:39], 0 offset:472
	buffer_load_dword v154, off, s[36:39], 0 offset:476
	buffer_load_dword v155, off, s[36:39], 0 offset:480
	s_waitcnt lgkmcnt(0)
	v_fma_f64 v[144:145], v[150:151], v[146:147], v[144:145]
	ds_bpermute_b32 v146, v128, v126 offset:36
	ds_bpermute_b32 v147, v128, v127 offset:36
	s_waitcnt vmcnt(0)
	v_mul_f64 v[148:149], v[148:149], v[154:155]
	s_clause 0x3
	buffer_load_dword v150, off, s[36:39], 0 offset:460
	buffer_load_dword v151, off, s[36:39], 0 offset:464
	buffer_load_dword v154, off, s[36:39], 0 offset:484
	buffer_load_dword v155, off, s[36:39], 0 offset:488
	;; [unrolled: 11-line block ×8, first 2 shown]
	s_waitcnt lgkmcnt(0)
	v_fma_f64 v[144:145], v[148:149], v[146:147], v[144:145]
	ds_bpermute_b32 v146, v128, v126 offset:64
	ds_bpermute_b32 v147, v128, v127 offset:64
	v_mul_f64 v[148:149], v[205:206], v[207:208]
	s_waitcnt vmcnt(0)
	v_mul_f64 v[150:151], v[150:151], v[154:155]
	s_waitcnt lgkmcnt(0)
	v_fma_f64 v[144:145], v[150:151], v[146:147], v[144:145]
	ds_bpermute_b32 v146, v128, v126 offset:68
	ds_bpermute_b32 v147, v128, v127 offset:68
	v_mul_f64 v[150:151], v[203:204], v[209:210]
	s_waitcnt lgkmcnt(0)
	v_fma_f64 v[144:145], v[148:149], v[146:147], v[144:145]
	ds_bpermute_b32 v146, v128, v126 offset:72
	ds_bpermute_b32 v147, v128, v127 offset:72
	;; [unrolled: 5-line block ×12, first 2 shown]
	s_waitcnt lgkmcnt(0)
	v_fma_f64 v[144:145], v[150:151], v[146:147], v[144:145]
	ds_bpermute_b32 v146, v128, v126 offset:116
	ds_bpermute_b32 v147, v128, v127 offset:116
	v_mov_b32_e32 v150, v152
	v_mov_b32_e32 v151, v153
	s_waitcnt lgkmcnt(0)
	v_fma_f64 v[131:132], v[131:132], v[146:147], v[144:145]
	ds_bpermute_b32 v144, v128, v126 offset:120
	ds_bpermute_b32 v145, v128, v127 offset:120
	;; [unrolled: 1-line block ×4, first 2 shown]
	s_waitcnt lgkmcnt(2)
	v_fma_f64 v[0:1], v[0:1], v[144:145], v[131:132]
	s_waitcnt lgkmcnt(0)
	v_fma_f64 v[126:127], v[135:136], v[126:127], v[0:1]
.LBB130_212:                            ;   in Loop: Header=BB130_144 Depth=1
	s_and_b32 vcc_lo, exec_lo, s7
	s_cbranch_vccz .LBB130_216
; %bb.213:                              ;   in Loop: Header=BB130_144 Depth=1
	s_load_dword s7, s[20:21], 0x0
	s_waitcnt lgkmcnt(0)
	s_cmp_lt_u32 s6, s7
	s_cselect_b32 s7, 12, 18
	s_add_u32 s24, s20, s7
	s_addc_u32 s25, s21, 0
	s_mov_b32 s7, exec_lo
	global_load_ushort v0, v128, s[24:25]
	s_clause 0x2
	buffer_load_dword v126, off, s[36:39], 0 offset:348
	buffer_load_dword v127, off, s[36:39], 0 offset:352
	;; [unrolled: 1-line block ×3, first 2 shown]
	s_waitcnt vmcnt(0)
	v_mad_u32_u24 v0, v126, v0, v1
	v_mov_b32_e32 v126, 0
	v_mov_b32_e32 v127, 0
	v_and_b32_e32 v0, 31, v0
	v_add_co_u32 v0, vcc_lo, v133, v0
	v_add_co_ci_u32_e64 v1, null, 0, v134, vcc_lo
	v_cmpx_gt_i64_e64 s[8:9], v[0:1]
	s_cbranch_execz .LBB130_215
; %bb.214:                              ;   in Loop: Header=BB130_144 Depth=1
	v_lshlrev_b64 v[0:1], 3, v[0:1]
	v_add_co_u32 v0, vcc_lo, s16, v0
	v_add_co_ci_u32_e64 v1, null, s17, v1, vcc_lo
	global_load_dwordx2 v[126:127], v[0:1], off
.LBB130_215:                            ;   in Loop: Header=BB130_144 Depth=1
	s_or_b32 exec_lo, exec_lo, s7
	v_add_co_u32 v0, vcc_lo, v137, v129
	v_add_co_ci_u32_e64 v1, null, v138, v130, vcc_lo
	v_add_co_u32 v131, vcc_lo, v139, v129
	v_add_co_ci_u32_e64 v132, null, v140, v130, vcc_lo
	global_load_dwordx2 v[0:1], v[0:1], off
	global_load_dwordx2 v[131:132], v[131:132], off
	s_waitcnt vmcnt(0)
	v_mul_f64 v[0:1], v[0:1], v[131:132]
	ds_bpermute_b32 v131, v128, v126
	ds_bpermute_b32 v132, v128, v127
	s_waitcnt lgkmcnt(0)
	v_fma_f64 v[0:1], v[0:1], v[131:132], v[150:151]
	v_add_co_u32 v131, vcc_lo, v2, v129
	v_add_co_ci_u32_e64 v132, null, v3, v130, vcc_lo
	v_add_co_u32 v133, vcc_lo, v20, v129
	v_add_co_ci_u32_e64 v134, null, v21, v130, vcc_lo
	global_load_dwordx2 v[131:132], v[131:132], off
	global_load_dwordx2 v[133:134], v[133:134], off
	s_waitcnt vmcnt(0)
	v_mul_f64 v[131:132], v[131:132], v[133:134]
	ds_bpermute_b32 v133, v128, v126 offset:4
	ds_bpermute_b32 v134, v128, v127 offset:4
	s_waitcnt lgkmcnt(0)
	v_fma_f64 v[0:1], v[131:132], v[133:134], v[0:1]
	v_add_co_u32 v131, vcc_lo, v4, v129
	v_add_co_ci_u32_e64 v132, null, v5, v130, vcc_lo
	v_add_co_u32 v133, vcc_lo, v22, v129
	v_add_co_ci_u32_e64 v134, null, v23, v130, vcc_lo
	global_load_dwordx2 v[131:132], v[131:132], off
	global_load_dwordx2 v[133:134], v[133:134], off
	s_waitcnt vmcnt(0)
	v_mul_f64 v[131:132], v[131:132], v[133:134]
	ds_bpermute_b32 v133, v128, v126 offset:8
	ds_bpermute_b32 v134, v128, v127 offset:8
	;; [unrolled: 12-line block ×30, first 2 shown]
	ds_bpermute_b32 v126, v128, v126 offset:124
	ds_bpermute_b32 v127, v128, v127 offset:124
	s_waitcnt lgkmcnt(2)
	v_fma_f64 v[0:1], v[131:132], v[133:134], v[0:1]
	v_add_co_u32 v131, vcc_lo, v122, v129
	v_add_co_ci_u32_e64 v132, null, v123, v130, vcc_lo
	v_add_co_u32 v133, vcc_lo, v124, v129
	v_add_co_ci_u32_e64 v134, null, v125, v130, vcc_lo
	global_load_dwordx2 v[131:132], v[131:132], off
	global_load_dwordx2 v[133:134], v[133:134], off
	s_waitcnt vmcnt(0)
	v_mul_f64 v[131:132], v[131:132], v[133:134]
	s_waitcnt lgkmcnt(0)
	v_fma_f64 v[126:127], v[131:132], v[126:127], v[0:1]
.LBB130_216:                            ;   in Loop: Header=BB130_144 Depth=1
	buffer_load_dword v0, off, s[36:39], 0  ; 4-byte Folded Reload
	v_add_co_u32 v137, vcc_lo, v137, s12
	v_add_co_ci_u32_e64 v138, null, s13, v138, vcc_lo
	v_add_co_u32 v139, vcc_lo, v139, s12
	v_add_co_ci_u32_e64 v140, null, s13, v140, vcc_lo
	;; [unrolled: 2-line block ×64, first 2 shown]
	s_add_u32 s22, s22, s1
	s_addc_u32 s23, s23, 0
	s_add_u32 s14, s14, s1
	v_cmp_ge_i64_e64 s7, s[22:23], s[8:9]
	s_addc_u32 s15, 0, s15
	s_waitcnt vmcnt(0)
	v_add_co_u32 v0, vcc_lo, v0, s1
	v_add_co_ci_u32_e64 v143, null, 0, v143, vcc_lo
	buffer_store_dword v0, off, s[36:39], 0 ; 4-byte Folded Spill
	buffer_load_dword v0, off, s[36:39], 0 offset:12 ; 4-byte Folded Reload
	s_waitcnt vmcnt(0)
	v_add_co_u32 v0, vcc_lo, v0, s12
	buffer_store_dword v0, off, s[36:39], 0 offset:12 ; 4-byte Folded Spill
	buffer_load_dword v0, off, s[36:39], 0 offset:20 ; 4-byte Folded Reload
	s_waitcnt vmcnt(0)
	v_add_co_ci_u32_e64 v0, null, s13, v0, vcc_lo
	buffer_store_dword v0, off, s[36:39], 0 offset:20 ; 4-byte Folded Spill
	buffer_load_dword v0, off, s[36:39], 0 offset:28 ; 4-byte Folded Reload
	s_waitcnt vmcnt(0)
	v_add_co_u32 v0, vcc_lo, v0, s12
	buffer_store_dword v0, off, s[36:39], 0 offset:28 ; 4-byte Folded Spill
	buffer_load_dword v0, off, s[36:39], 0 offset:36 ; 4-byte Folded Reload
	s_waitcnt vmcnt(0)
	v_add_co_ci_u32_e64 v0, null, s13, v0, vcc_lo
	buffer_store_dword v0, off, s[36:39], 0 offset:36 ; 4-byte Folded Spill
	;; [unrolled: 8-line block ×38, first 2 shown]
	buffer_load_dword v0, off, s[36:39], 0 offset:340 ; 4-byte Folded Reload
	s_waitcnt vmcnt(0)
	v_add_co_u32 v0, vcc_lo, v0, s12
	buffer_store_dword v0, off, s[36:39], 0 offset:340 ; 4-byte Folded Spill
	buffer_load_dword v0, off, s[36:39], 0 offset:344 ; 4-byte Folded Reload
	s_waitcnt vmcnt(0)
	v_add_co_ci_u32_e64 v0, null, s13, v0, vcc_lo
	v_add_co_u32 v158, vcc_lo, v158, s12
	v_add_co_ci_u32_e64 v159, null, s13, v159, vcc_lo
	v_add_co_u32 v160, vcc_lo, v160, s12
	;; [unrolled: 2-line block ×23, first 2 shown]
	v_add_co_ci_u32_e64 v142, null, s13, v142, vcc_lo
	s_and_b32 vcc_lo, exec_lo, s7
	buffer_store_dword v0, off, s[36:39], 0 offset:344 ; 4-byte Folded Spill
	s_cbranch_vccnz .LBB130_218
; %bb.217:                              ;   in Loop: Header=BB130_144 Depth=1
	v_mov_b32_e32 v151, v127
	v_mov_b32_e32 v150, v126
	s_branch .LBB130_144
.LBB130_218:
	buffer_load_dword v0, off, s[36:39], 0 offset:8 ; 4-byte Folded Reload
	s_mov_b32 s7, 0
	s_lshl_b64 s[6:7], s[6:7], 5
	s_waitcnt lgkmcnt(0)
	s_cmp_lg_u64 s[2:3], 0
	v_mov_b32_e32 v1, s7
	s_cselect_b32 s1, -1, 0
	s_waitcnt vmcnt(0)
	v_or_b32_e32 v0, s6, v0
	v_cmp_gt_i64_e32 vcc_lo, s[10:11], v[0:1]
	s_and_b32 s1, vcc_lo, s1
	s_and_saveexec_b32 s6, s1
	s_cbranch_execz .LBB130_220
; %bb.219:
	s_load_dword s1, s[4:5], 0x4c
	s_clause 0x1
	buffer_load_dword v2, off, s[36:39], 0 offset:348
	buffer_load_dword v3, off, s[36:39], 0 offset:352
	s_waitcnt vmcnt(0)
	v_mov_b32_e32 v3, 0
	v_lshlrev_b64 v[0:1], 3, v[0:1]
	s_waitcnt lgkmcnt(0)
	s_lshr_b32 s1, s1, 16
	v_mad_u64_u32 v[2:3], null, s1, s0, v[2:3]
	v_mul_lo_u32 v4, v3, s10
	v_mul_lo_u32 v5, v2, s11
	v_mad_u64_u32 v[2:3], null, v2, s10, 0
	v_add3_u32 v3, v3, v5, v4
	v_lshlrev_b64 v[2:3], 3, v[2:3]
	v_add_co_u32 v2, vcc_lo, s2, v2
	v_add_co_ci_u32_e64 v3, null, s3, v3, vcc_lo
	v_add_co_u32 v0, vcc_lo, v2, v0
	v_add_co_ci_u32_e64 v1, null, v3, v1, vcc_lo
	global_store_dwordx2 v[0:1], v[126:127], off
.LBB130_220:
	s_endpgm
	.section	.rodata,"a",@progbits
	.p2align	6, 0x0
	.amdhsa_kernel _ZN2at6native12_GLOBAL__N_135GammaBetaBackwardCUDAKernelTemplateIddLj32ELj1ELj32ELb1ELb0ELb1EEEvllPKT_S5_PKT0_S8_PS3_S9_
		.amdhsa_group_segment_fixed_size 0
		.amdhsa_private_segment_fixed_size 592
		.amdhsa_kernarg_size 320
		.amdhsa_user_sgpr_count 6
		.amdhsa_user_sgpr_private_segment_buffer 1
		.amdhsa_user_sgpr_dispatch_ptr 0
		.amdhsa_user_sgpr_queue_ptr 0
		.amdhsa_user_sgpr_kernarg_segment_ptr 1
		.amdhsa_user_sgpr_dispatch_id 0
		.amdhsa_user_sgpr_flat_scratch_init 0
		.amdhsa_user_sgpr_private_segment_size 0
		.amdhsa_wavefront_size32 1
		.amdhsa_uses_dynamic_stack 0
		.amdhsa_system_sgpr_private_segment_wavefront_offset 1
		.amdhsa_system_sgpr_workgroup_id_x 1
		.amdhsa_system_sgpr_workgroup_id_y 1
		.amdhsa_system_sgpr_workgroup_id_z 0
		.amdhsa_system_sgpr_workgroup_info 0
		.amdhsa_system_vgpr_workitem_id 1
		.amdhsa_next_free_vgpr 256
		.amdhsa_next_free_sgpr 40
		.amdhsa_reserve_vcc 1
		.amdhsa_reserve_flat_scratch 0
		.amdhsa_float_round_mode_32 0
		.amdhsa_float_round_mode_16_64 0
		.amdhsa_float_denorm_mode_32 3
		.amdhsa_float_denorm_mode_16_64 3
		.amdhsa_dx10_clamp 1
		.amdhsa_ieee_mode 1
		.amdhsa_fp16_overflow 0
		.amdhsa_workgroup_processor_mode 1
		.amdhsa_memory_ordered 1
		.amdhsa_forward_progress 1
		.amdhsa_shared_vgpr_count 0
		.amdhsa_exception_fp_ieee_invalid_op 0
		.amdhsa_exception_fp_denorm_src 0
		.amdhsa_exception_fp_ieee_div_zero 0
		.amdhsa_exception_fp_ieee_overflow 0
		.amdhsa_exception_fp_ieee_underflow 0
		.amdhsa_exception_fp_ieee_inexact 0
		.amdhsa_exception_int_div_zero 0
	.end_amdhsa_kernel
	.section	.text._ZN2at6native12_GLOBAL__N_135GammaBetaBackwardCUDAKernelTemplateIddLj32ELj1ELj32ELb1ELb0ELb1EEEvllPKT_S5_PKT0_S8_PS3_S9_,"axG",@progbits,_ZN2at6native12_GLOBAL__N_135GammaBetaBackwardCUDAKernelTemplateIddLj32ELj1ELj32ELb1ELb0ELb1EEEvllPKT_S5_PKT0_S8_PS3_S9_,comdat
.Lfunc_end130:
	.size	_ZN2at6native12_GLOBAL__N_135GammaBetaBackwardCUDAKernelTemplateIddLj32ELj1ELj32ELb1ELb0ELb1EEEvllPKT_S5_PKT0_S8_PS3_S9_, .Lfunc_end130-_ZN2at6native12_GLOBAL__N_135GammaBetaBackwardCUDAKernelTemplateIddLj32ELj1ELj32ELb1ELb0ELb1EEEvllPKT_S5_PKT0_S8_PS3_S9_
                                        ; -- End function
	.set _ZN2at6native12_GLOBAL__N_135GammaBetaBackwardCUDAKernelTemplateIddLj32ELj1ELj32ELb1ELb0ELb1EEEvllPKT_S5_PKT0_S8_PS3_S9_.num_vgpr, 256
	.set _ZN2at6native12_GLOBAL__N_135GammaBetaBackwardCUDAKernelTemplateIddLj32ELj1ELj32ELb1ELb0ELb1EEEvllPKT_S5_PKT0_S8_PS3_S9_.num_agpr, 0
	.set _ZN2at6native12_GLOBAL__N_135GammaBetaBackwardCUDAKernelTemplateIddLj32ELj1ELj32ELb1ELb0ELb1EEEvllPKT_S5_PKT0_S8_PS3_S9_.numbered_sgpr, 40
	.set _ZN2at6native12_GLOBAL__N_135GammaBetaBackwardCUDAKernelTemplateIddLj32ELj1ELj32ELb1ELb0ELb1EEEvllPKT_S5_PKT0_S8_PS3_S9_.num_named_barrier, 0
	.set _ZN2at6native12_GLOBAL__N_135GammaBetaBackwardCUDAKernelTemplateIddLj32ELj1ELj32ELb1ELb0ELb1EEEvllPKT_S5_PKT0_S8_PS3_S9_.private_seg_size, 592
	.set _ZN2at6native12_GLOBAL__N_135GammaBetaBackwardCUDAKernelTemplateIddLj32ELj1ELj32ELb1ELb0ELb1EEEvllPKT_S5_PKT0_S8_PS3_S9_.uses_vcc, 1
	.set _ZN2at6native12_GLOBAL__N_135GammaBetaBackwardCUDAKernelTemplateIddLj32ELj1ELj32ELb1ELb0ELb1EEEvllPKT_S5_PKT0_S8_PS3_S9_.uses_flat_scratch, 0
	.set _ZN2at6native12_GLOBAL__N_135GammaBetaBackwardCUDAKernelTemplateIddLj32ELj1ELj32ELb1ELb0ELb1EEEvllPKT_S5_PKT0_S8_PS3_S9_.has_dyn_sized_stack, 0
	.set _ZN2at6native12_GLOBAL__N_135GammaBetaBackwardCUDAKernelTemplateIddLj32ELj1ELj32ELb1ELb0ELb1EEEvllPKT_S5_PKT0_S8_PS3_S9_.has_recursion, 0
	.set _ZN2at6native12_GLOBAL__N_135GammaBetaBackwardCUDAKernelTemplateIddLj32ELj1ELj32ELb1ELb0ELb1EEEvllPKT_S5_PKT0_S8_PS3_S9_.has_indirect_call, 0
	.section	.AMDGPU.csdata,"",@progbits
; Kernel info:
; codeLenInByte = 32816
; TotalNumSgprs: 42
; NumVgprs: 256
; ScratchSize: 592
; MemoryBound: 1
; FloatMode: 240
; IeeeMode: 1
; LDSByteSize: 0 bytes/workgroup (compile time only)
; SGPRBlocks: 0
; VGPRBlocks: 31
; NumSGPRsForWavesPerEU: 42
; NumVGPRsForWavesPerEU: 256
; Occupancy: 4
; WaveLimiterHint : 0
; COMPUTE_PGM_RSRC2:SCRATCH_EN: 1
; COMPUTE_PGM_RSRC2:USER_SGPR: 6
; COMPUTE_PGM_RSRC2:TRAP_HANDLER: 0
; COMPUTE_PGM_RSRC2:TGID_X_EN: 1
; COMPUTE_PGM_RSRC2:TGID_Y_EN: 1
; COMPUTE_PGM_RSRC2:TGID_Z_EN: 0
; COMPUTE_PGM_RSRC2:TIDIG_COMP_CNT: 1
	.section	.text._ZN2at6native12_GLOBAL__N_135GammaBetaBackwardCUDAKernelTemplateIddLj32ELj1ELj8ELb1ELb1ELb1EEEvllPKT_S5_PKT0_S8_PS3_S9_,"axG",@progbits,_ZN2at6native12_GLOBAL__N_135GammaBetaBackwardCUDAKernelTemplateIddLj32ELj1ELj8ELb1ELb1ELb1EEEvllPKT_S5_PKT0_S8_PS3_S9_,comdat
	.globl	_ZN2at6native12_GLOBAL__N_135GammaBetaBackwardCUDAKernelTemplateIddLj32ELj1ELj8ELb1ELb1ELb1EEEvllPKT_S5_PKT0_S8_PS3_S9_ ; -- Begin function _ZN2at6native12_GLOBAL__N_135GammaBetaBackwardCUDAKernelTemplateIddLj32ELj1ELj8ELb1ELb1ELb1EEEvllPKT_S5_PKT0_S8_PS3_S9_
	.p2align	8
	.type	_ZN2at6native12_GLOBAL__N_135GammaBetaBackwardCUDAKernelTemplateIddLj32ELj1ELj8ELb1ELb1ELb1EEEvllPKT_S5_PKT0_S8_PS3_S9_,@function
_ZN2at6native12_GLOBAL__N_135GammaBetaBackwardCUDAKernelTemplateIddLj32ELj1ELj8ELb1ELb1ELb1EEEvllPKT_S5_PKT0_S8_PS3_S9_: ; @_ZN2at6native12_GLOBAL__N_135GammaBetaBackwardCUDAKernelTemplateIddLj32ELj1ELj8ELb1ELb1ELb1EEEvllPKT_S5_PKT0_S8_PS3_S9_
; %bb.0:
	s_clause 0x1
	s_load_dwordx4 s[8:11], s[4:5], 0x0
	s_load_dwordx2 s[2:3], s[4:5], 0x30
	s_lshl_b32 s16, s7, 3
	s_mov_b32 s17, 0
	v_mov_b32_e32 v8, 0
	v_mov_b32_e32 v9, 0
	s_waitcnt lgkmcnt(0)
	v_cmp_le_i64_e64 s0, s[8:9], s[16:17]
	s_and_b32 vcc_lo, exec_lo, s0
	s_cbranch_vccnz .LBB131_7
; %bb.1:
	s_clause 0x3
	s_load_dword s0, s[4:5], 0x4c
	s_load_dword s1, s[4:5], 0x44
	s_load_dwordx4 s[12:15], s[4:5], 0x10
	s_load_dwordx2 s[20:21], s[4:5], 0x28
	v_lshlrev_b32_e32 v4, 3, v1
	v_mov_b32_e32 v3, 0
	v_lshl_or_b32 v2, s6, 5, v0
	v_mov_b32_e32 v12, 8
	v_mov_b32_e32 v13, 4
	v_add_co_u32 v4, s18, v4, s16
	v_add_co_ci_u32_e64 v5, null, 0, 0, s18
	v_lshlrev_b64 v[8:9], 3, v[2:3]
	v_mul_lo_u32 v10, s11, v4
	v_mov_b32_e32 v14, 12
	v_mul_lo_u32 v11, s10, v5
	v_mov_b32_e32 v15, 16
	v_mov_b32_e32 v16, 20
	;; [unrolled: 1-line block ×3, first 2 shown]
	s_waitcnt lgkmcnt(0)
	s_and_b32 s0, s0, 0xffff
	s_lshl_b32 s18, s1, 3
	v_mad_u32_u24 v6, v1, s0, v0
	s_mul_i32 s1, s11, s18
	s_mul_hi_u32 s22, s10, s18
	v_mov_b32_e32 v18, 28
	s_mov_b32 s19, s17
	v_and_b32_e32 v21, 31, v6
	v_mad_u64_u32 v[6:7], null, s10, v4, 0
	s_add_i32 s23, s22, s1
	s_mul_i32 s22, s10, s18
	v_add_co_u32 v4, vcc_lo, v4, v21
	v_add_co_ci_u32_e64 v5, null, 0, v5, vcc_lo
	v_add3_u32 v7, v7, v11, v10
	v_cmp_gt_u32_e64 s0, 8, v21
	s_lshl_b64 s[22:23], s[22:23], 3
	v_lshlrev_b64 v[10:11], 3, v[4:5]
	s_lshl_b64 s[24:25], s[10:11], 3
	v_lshlrev_b64 v[19:20], 3, v[6:7]
	v_add_co_u32 v6, vcc_lo, s20, v10
	v_add_co_ci_u32_e64 v7, null, s21, v11, vcc_lo
	v_add_co_u32 v2, vcc_lo, v19, v8
	v_add_co_ci_u32_e64 v19, null, v20, v9, vcc_lo
	v_mov_b32_e32 v8, 0
	v_mov_b32_e32 v9, 0
	s_lshl_b64 s[20:21], s[18:19], 3
	s_branch .LBB131_4
.LBB131_2:                              ;   in Loop: Header=BB131_4 Depth=1
	s_or_b32 exec_lo, exec_lo, s19
.LBB131_3:                              ;   in Loop: Header=BB131_4 Depth=1
	s_or_b32 exec_lo, exec_lo, s1
	v_add_co_u32 v20, vcc_lo, s12, v2
	v_add_co_ci_u32_e64 v21, null, s13, v19, vcc_lo
	v_add_co_u32 v22, vcc_lo, s14, v2
	v_add_co_ci_u32_e64 v23, null, s15, v19, vcc_lo
	global_load_dwordx2 v[24:25], v[20:21], off
	global_load_dwordx2 v[26:27], v[22:23], off
	v_add_co_u32 v20, vcc_lo, v20, s24
	v_add_co_ci_u32_e64 v21, null, s25, v21, vcc_lo
	v_add_co_u32 v22, vcc_lo, v22, s24
	v_add_co_ci_u32_e64 v23, null, s25, v23, vcc_lo
	global_load_dwordx2 v[28:29], v[20:21], off
	global_load_dwordx2 v[30:31], v[22:23], off
	;; [unrolled: 6-line block ×8, first 2 shown]
	s_add_u32 s16, s16, s18
	v_add_co_u32 v6, vcc_lo, v6, s20
	s_addc_u32 s17, s17, 0
	v_add_co_ci_u32_e64 v7, null, s21, v7, vcc_lo
	v_add_co_u32 v4, vcc_lo, v4, s18
	v_cmp_lt_i64_e64 s1, s[16:17], s[8:9]
	v_add_co_ci_u32_e64 v5, null, 0, v5, vcc_lo
	v_add_co_u32 v2, vcc_lo, v2, s22
	v_add_co_ci_u32_e64 v19, null, s23, v19, vcc_lo
	s_and_b32 vcc_lo, exec_lo, s1
	s_waitcnt vmcnt(14)
	v_mul_f64 v[24:25], v[24:25], v[26:27]
	ds_bpermute_b32 v26, v3, v10
	ds_bpermute_b32 v27, v3, v11
	s_waitcnt vmcnt(12)
	v_mul_f64 v[28:29], v[28:29], v[30:31]
	s_waitcnt lgkmcnt(0)
	v_fma_f64 v[8:9], v[24:25], v[26:27], v[8:9]
	ds_bpermute_b32 v24, v13, v10
	ds_bpermute_b32 v25, v13, v11
	s_waitcnt vmcnt(10)
	v_mul_f64 v[26:27], v[32:33], v[34:35]
	s_waitcnt lgkmcnt(0)
	v_fma_f64 v[8:9], v[28:29], v[24:25], v[8:9]
	ds_bpermute_b32 v24, v12, v10
	ds_bpermute_b32 v25, v12, v11
	s_waitcnt vmcnt(8)
	v_mul_f64 v[28:29], v[36:37], v[38:39]
	s_waitcnt lgkmcnt(0)
	v_fma_f64 v[8:9], v[26:27], v[24:25], v[8:9]
	ds_bpermute_b32 v24, v14, v10
	ds_bpermute_b32 v25, v14, v11
	s_waitcnt vmcnt(6)
	v_mul_f64 v[26:27], v[40:41], v[42:43]
	s_waitcnt vmcnt(0)
	v_mul_f64 v[20:21], v[20:21], v[22:23]
	s_waitcnt lgkmcnt(0)
	v_fma_f64 v[8:9], v[28:29], v[24:25], v[8:9]
	ds_bpermute_b32 v24, v15, v10
	ds_bpermute_b32 v25, v15, v11
	v_mul_f64 v[28:29], v[44:45], v[46:47]
	s_waitcnt lgkmcnt(0)
	v_fma_f64 v[8:9], v[26:27], v[24:25], v[8:9]
	ds_bpermute_b32 v24, v16, v10
	ds_bpermute_b32 v25, v16, v11
	v_mul_f64 v[26:27], v[48:49], v[50:51]
	s_waitcnt lgkmcnt(0)
	v_fma_f64 v[8:9], v[28:29], v[24:25], v[8:9]
	ds_bpermute_b32 v24, v17, v10
	ds_bpermute_b32 v25, v17, v11
	ds_bpermute_b32 v10, v18, v10
	ds_bpermute_b32 v11, v18, v11
	s_waitcnt lgkmcnt(2)
	v_fma_f64 v[8:9], v[26:27], v[24:25], v[8:9]
	s_waitcnt lgkmcnt(0)
	v_fma_f64 v[8:9], v[20:21], v[10:11], v[8:9]
	s_cbranch_vccz .LBB131_7
.LBB131_4:                              ; =>This Inner Loop Header: Depth=1
	v_mov_b32_e32 v10, 0
	v_mov_b32_e32 v11, 0
	s_and_saveexec_b32 s1, s0
	s_cbranch_execz .LBB131_3
; %bb.5:                                ;   in Loop: Header=BB131_4 Depth=1
	v_mov_b32_e32 v10, 0
	v_mov_b32_e32 v11, 0
	s_mov_b32 s19, exec_lo
	v_cmpx_gt_i64_e64 s[8:9], v[4:5]
	s_cbranch_execz .LBB131_2
; %bb.6:                                ;   in Loop: Header=BB131_4 Depth=1
	global_load_dwordx2 v[10:11], v[6:7], off
	s_branch .LBB131_2
.LBB131_7:
	s_cmp_eq_u64 s[2:3], 0
	s_cbranch_scc1 .LBB131_9
; %bb.8:
	s_load_dword s0, s[4:5], 0x4c
	v_mov_b32_e32 v2, 0
	v_lshlrev_b32_e32 v0, 3, v0
	s_waitcnt lgkmcnt(0)
	s_lshr_b32 s0, s0, 16
	v_mad_u64_u32 v[1:2], null, s0, s7, v[1:2]
	s_mov_b32 s7, 0
	s_lshl_b64 s[0:1], s[6:7], 8
	v_mul_lo_u32 v3, v2, s10
	v_mul_lo_u32 v4, v1, s11
	v_mad_u64_u32 v[1:2], null, v1, s10, 0
	v_add3_u32 v2, v2, v4, v3
	v_lshlrev_b64 v[1:2], 3, v[1:2]
	v_add_co_u32 v1, vcc_lo, s2, v1
	v_add_co_ci_u32_e64 v2, null, s3, v2, vcc_lo
	v_add_co_u32 v1, vcc_lo, v1, s0
	v_add_co_ci_u32_e64 v2, null, s1, v2, vcc_lo
	;; [unrolled: 2-line block ×3, first 2 shown]
	global_store_dwordx2 v[0:1], v[8:9], off
.LBB131_9:
	s_endpgm
	.section	.rodata,"a",@progbits
	.p2align	6, 0x0
	.amdhsa_kernel _ZN2at6native12_GLOBAL__N_135GammaBetaBackwardCUDAKernelTemplateIddLj32ELj1ELj8ELb1ELb1ELb1EEEvllPKT_S5_PKT0_S8_PS3_S9_
		.amdhsa_group_segment_fixed_size 0
		.amdhsa_private_segment_fixed_size 0
		.amdhsa_kernarg_size 320
		.amdhsa_user_sgpr_count 6
		.amdhsa_user_sgpr_private_segment_buffer 1
		.amdhsa_user_sgpr_dispatch_ptr 0
		.amdhsa_user_sgpr_queue_ptr 0
		.amdhsa_user_sgpr_kernarg_segment_ptr 1
		.amdhsa_user_sgpr_dispatch_id 0
		.amdhsa_user_sgpr_flat_scratch_init 0
		.amdhsa_user_sgpr_private_segment_size 0
		.amdhsa_wavefront_size32 1
		.amdhsa_uses_dynamic_stack 0
		.amdhsa_system_sgpr_private_segment_wavefront_offset 0
		.amdhsa_system_sgpr_workgroup_id_x 1
		.amdhsa_system_sgpr_workgroup_id_y 1
		.amdhsa_system_sgpr_workgroup_id_z 0
		.amdhsa_system_sgpr_workgroup_info 0
		.amdhsa_system_vgpr_workitem_id 1
		.amdhsa_next_free_vgpr 52
		.amdhsa_next_free_sgpr 26
		.amdhsa_reserve_vcc 1
		.amdhsa_reserve_flat_scratch 0
		.amdhsa_float_round_mode_32 0
		.amdhsa_float_round_mode_16_64 0
		.amdhsa_float_denorm_mode_32 3
		.amdhsa_float_denorm_mode_16_64 3
		.amdhsa_dx10_clamp 1
		.amdhsa_ieee_mode 1
		.amdhsa_fp16_overflow 0
		.amdhsa_workgroup_processor_mode 1
		.amdhsa_memory_ordered 1
		.amdhsa_forward_progress 1
		.amdhsa_shared_vgpr_count 0
		.amdhsa_exception_fp_ieee_invalid_op 0
		.amdhsa_exception_fp_denorm_src 0
		.amdhsa_exception_fp_ieee_div_zero 0
		.amdhsa_exception_fp_ieee_overflow 0
		.amdhsa_exception_fp_ieee_underflow 0
		.amdhsa_exception_fp_ieee_inexact 0
		.amdhsa_exception_int_div_zero 0
	.end_amdhsa_kernel
	.section	.text._ZN2at6native12_GLOBAL__N_135GammaBetaBackwardCUDAKernelTemplateIddLj32ELj1ELj8ELb1ELb1ELb1EEEvllPKT_S5_PKT0_S8_PS3_S9_,"axG",@progbits,_ZN2at6native12_GLOBAL__N_135GammaBetaBackwardCUDAKernelTemplateIddLj32ELj1ELj8ELb1ELb1ELb1EEEvllPKT_S5_PKT0_S8_PS3_S9_,comdat
.Lfunc_end131:
	.size	_ZN2at6native12_GLOBAL__N_135GammaBetaBackwardCUDAKernelTemplateIddLj32ELj1ELj8ELb1ELb1ELb1EEEvllPKT_S5_PKT0_S8_PS3_S9_, .Lfunc_end131-_ZN2at6native12_GLOBAL__N_135GammaBetaBackwardCUDAKernelTemplateIddLj32ELj1ELj8ELb1ELb1ELb1EEEvllPKT_S5_PKT0_S8_PS3_S9_
                                        ; -- End function
	.set _ZN2at6native12_GLOBAL__N_135GammaBetaBackwardCUDAKernelTemplateIddLj32ELj1ELj8ELb1ELb1ELb1EEEvllPKT_S5_PKT0_S8_PS3_S9_.num_vgpr, 52
	.set _ZN2at6native12_GLOBAL__N_135GammaBetaBackwardCUDAKernelTemplateIddLj32ELj1ELj8ELb1ELb1ELb1EEEvllPKT_S5_PKT0_S8_PS3_S9_.num_agpr, 0
	.set _ZN2at6native12_GLOBAL__N_135GammaBetaBackwardCUDAKernelTemplateIddLj32ELj1ELj8ELb1ELb1ELb1EEEvllPKT_S5_PKT0_S8_PS3_S9_.numbered_sgpr, 26
	.set _ZN2at6native12_GLOBAL__N_135GammaBetaBackwardCUDAKernelTemplateIddLj32ELj1ELj8ELb1ELb1ELb1EEEvllPKT_S5_PKT0_S8_PS3_S9_.num_named_barrier, 0
	.set _ZN2at6native12_GLOBAL__N_135GammaBetaBackwardCUDAKernelTemplateIddLj32ELj1ELj8ELb1ELb1ELb1EEEvllPKT_S5_PKT0_S8_PS3_S9_.private_seg_size, 0
	.set _ZN2at6native12_GLOBAL__N_135GammaBetaBackwardCUDAKernelTemplateIddLj32ELj1ELj8ELb1ELb1ELb1EEEvllPKT_S5_PKT0_S8_PS3_S9_.uses_vcc, 1
	.set _ZN2at6native12_GLOBAL__N_135GammaBetaBackwardCUDAKernelTemplateIddLj32ELj1ELj8ELb1ELb1ELb1EEEvllPKT_S5_PKT0_S8_PS3_S9_.uses_flat_scratch, 0
	.set _ZN2at6native12_GLOBAL__N_135GammaBetaBackwardCUDAKernelTemplateIddLj32ELj1ELj8ELb1ELb1ELb1EEEvllPKT_S5_PKT0_S8_PS3_S9_.has_dyn_sized_stack, 0
	.set _ZN2at6native12_GLOBAL__N_135GammaBetaBackwardCUDAKernelTemplateIddLj32ELj1ELj8ELb1ELb1ELb1EEEvllPKT_S5_PKT0_S8_PS3_S9_.has_recursion, 0
	.set _ZN2at6native12_GLOBAL__N_135GammaBetaBackwardCUDAKernelTemplateIddLj32ELj1ELj8ELb1ELb1ELb1EEEvllPKT_S5_PKT0_S8_PS3_S9_.has_indirect_call, 0
	.section	.AMDGPU.csdata,"",@progbits
; Kernel info:
; codeLenInByte = 1312
; TotalNumSgprs: 28
; NumVgprs: 52
; ScratchSize: 0
; MemoryBound: 0
; FloatMode: 240
; IeeeMode: 1
; LDSByteSize: 0 bytes/workgroup (compile time only)
; SGPRBlocks: 0
; VGPRBlocks: 6
; NumSGPRsForWavesPerEU: 28
; NumVGPRsForWavesPerEU: 52
; Occupancy: 16
; WaveLimiterHint : 0
; COMPUTE_PGM_RSRC2:SCRATCH_EN: 0
; COMPUTE_PGM_RSRC2:USER_SGPR: 6
; COMPUTE_PGM_RSRC2:TRAP_HANDLER: 0
; COMPUTE_PGM_RSRC2:TGID_X_EN: 1
; COMPUTE_PGM_RSRC2:TGID_Y_EN: 1
; COMPUTE_PGM_RSRC2:TGID_Z_EN: 0
; COMPUTE_PGM_RSRC2:TIDIG_COMP_CNT: 1
	.section	.text._ZN2at6native12_GLOBAL__N_135GammaBetaBackwardCUDAKernelTemplateIddLj32ELj1ELj8ELb1ELb0ELb1EEEvllPKT_S5_PKT0_S8_PS3_S9_,"axG",@progbits,_ZN2at6native12_GLOBAL__N_135GammaBetaBackwardCUDAKernelTemplateIddLj32ELj1ELj8ELb1ELb0ELb1EEEvllPKT_S5_PKT0_S8_PS3_S9_,comdat
	.globl	_ZN2at6native12_GLOBAL__N_135GammaBetaBackwardCUDAKernelTemplateIddLj32ELj1ELj8ELb1ELb0ELb1EEEvllPKT_S5_PKT0_S8_PS3_S9_ ; -- Begin function _ZN2at6native12_GLOBAL__N_135GammaBetaBackwardCUDAKernelTemplateIddLj32ELj1ELj8ELb1ELb0ELb1EEEvllPKT_S5_PKT0_S8_PS3_S9_
	.p2align	8
	.type	_ZN2at6native12_GLOBAL__N_135GammaBetaBackwardCUDAKernelTemplateIddLj32ELj1ELj8ELb1ELb0ELb1EEEvllPKT_S5_PKT0_S8_PS3_S9_,@function
_ZN2at6native12_GLOBAL__N_135GammaBetaBackwardCUDAKernelTemplateIddLj32ELj1ELj8ELb1ELb0ELb1EEEvllPKT_S5_PKT0_S8_PS3_S9_: ; @_ZN2at6native12_GLOBAL__N_135GammaBetaBackwardCUDAKernelTemplateIddLj32ELj1ELj8ELb1ELb0ELb1EEEvllPKT_S5_PKT0_S8_PS3_S9_
; %bb.0:
	s_clause 0x1
	s_load_dwordx8 s[8:15], s[4:5], 0x0
	s_load_dwordx2 s[16:17], s[4:5], 0x28
	s_mov_b32 s0, s7
	s_lshl_b32 s7, s6, 5
	s_mov_b32 s19, 0
	s_or_b32 s18, s7, 31
	s_waitcnt lgkmcnt(0)
	v_cmp_le_i64_e64 s1, s[10:11], s[18:19]
	s_lshl_b32 s18, s0, 3
	v_cmp_gt_i64_e64 s26, s[8:9], s[18:19]
	s_and_b32 vcc_lo, exec_lo, s1
	v_cndmask_b32_e64 v2, 0, 1, s26
	v_cmp_ne_u32_e64 s1, 1, v2
	s_cbranch_vccz .LBB132_48
; %bb.1:
	v_mov_b32_e32 v37, 0
	v_mov_b32_e32 v38, 0
	s_and_b32 vcc_lo, exec_lo, s1
	s_cbranch_vccnz .LBB132_49
; %bb.2:
	v_lshlrev_b32_e32 v45, 3, v1
	v_mov_b32_e32 v2, 0
	v_add_nc_u32_e32 v3, s7, v0
	s_load_dword s2, s[4:5], 0x44
	s_add_u32 s20, s4, 64
	v_add_co_u32 v11, s1, v45, s18
	v_add_co_ci_u32_e64 v12, null, 0, 0, s1
	v_mov_b32_e32 v4, v2
	v_mul_lo_u32 v7, s11, v11
	v_mad_u64_u32 v[5:6], null, s10, v11, 0
	v_mul_lo_u32 v8, s10, v12
	v_cmp_gt_i64_e64 s1, s[10:11], v[3:4]
	v_lshlrev_b64 v[35:36], 3, v[3:4]
	s_addc_u32 s21, s5, 0
	v_mov_b32_e32 v37, 0
	v_mov_b32_e32 v46, v2
	;; [unrolled: 1-line block ×3, first 2 shown]
	s_mov_b64 s[24:25], s[18:19]
	v_add3_u32 v6, v6, v8, v7
	v_add_co_u32 v7, vcc_lo, v11, 7
	v_add_co_ci_u32_e64 v8, null, 0, v12, vcc_lo
	v_add_co_u32 v9, vcc_lo, v11, 6
	v_add_co_ci_u32_e64 v10, null, 0, v12, vcc_lo
	v_lshlrev_b64 v[3:4], 3, v[5:6]
	v_mul_lo_u32 v13, s11, v7
	v_mul_lo_u32 v14, s10, v8
	v_mad_u64_u32 v[7:8], null, s10, v7, 0
	v_mul_lo_u32 v15, s11, v9
	v_mul_lo_u32 v16, s10, v10
	v_mad_u64_u32 v[9:10], null, s10, v9, 0
	v_add_co_u32 v47, vcc_lo, s12, v3
	v_add_co_ci_u32_e64 v48, null, s13, v4, vcc_lo
	v_add_co_u32 v49, vcc_lo, s14, v3
	v_add3_u32 v8, v8, v14, v13
	v_add_co_ci_u32_e64 v50, null, s15, v4, vcc_lo
	v_add_co_u32 v13, vcc_lo, v11, 5
	v_add3_u32 v10, v10, v16, v15
	v_add_co_ci_u32_e64 v14, null, 0, v12, vcc_lo
	v_lshlrev_b64 v[3:4], 3, v[7:8]
	v_mul_lo_u32 v15, s11, v13
	v_lshlrev_b64 v[7:8], 3, v[9:10]
	v_mul_lo_u32 v14, s10, v14
	v_mad_u64_u32 v[9:10], null, s10, v13, 0
	v_add_co_u32 v51, vcc_lo, s12, v3
	v_add_co_ci_u32_e64 v52, null, s13, v4, vcc_lo
	v_add_co_u32 v53, vcc_lo, s14, v3
	s_waitcnt lgkmcnt(0)
	s_lshl_b32 s27, s2, 3
	v_add_co_ci_u32_e64 v54, null, s15, v4, vcc_lo
	v_add_co_u32 v55, vcc_lo, s12, v7
	v_add3_u32 v10, v10, v14, v15
	s_mul_i32 s2, s11, s27
	s_mul_hi_u32 s3, s10, s27
	v_add_co_ci_u32_e64 v56, null, s13, v8, vcc_lo
	v_add_co_u32 v13, vcc_lo, v11, 4
	s_add_i32 s23, s3, s2
	v_add_co_u32 v57, s2, s14, v7
	v_add_co_ci_u32_e64 v7, null, 0, v12, vcc_lo
	v_lshlrev_b64 v[3:4], 3, v[9:10]
	v_add_co_u32 v9, vcc_lo, v11, 3
	v_add_co_ci_u32_e64 v10, null, 0, v12, vcc_lo
	v_add_co_ci_u32_e64 v58, null, s15, v8, s2
	v_mul_lo_u32 v14, s11, v13
	v_mul_lo_u32 v15, s10, v7
	v_mad_u64_u32 v[7:8], null, s10, v13, 0
	v_mul_lo_u32 v13, s11, v9
	v_mul_lo_u32 v16, s10, v10
	v_mad_u64_u32 v[9:10], null, s10, v9, 0
	v_add_co_u32 v59, vcc_lo, s12, v3
	v_add_co_ci_u32_e64 v60, null, s13, v4, vcc_lo
	v_add3_u32 v8, v8, v15, v14
	v_add_co_u32 v61, vcc_lo, s14, v3
	v_add_co_ci_u32_e64 v62, null, s15, v4, vcc_lo
	v_add_co_u32 v11, vcc_lo, v11, 2
	v_add3_u32 v10, v10, v16, v13
	v_add_co_ci_u32_e64 v12, null, 0, v12, vcc_lo
	v_lshlrev_b64 v[3:4], 3, v[7:8]
	v_mul_lo_u32 v13, s11, v11
	v_lshlrev_b64 v[7:8], 3, v[9:10]
	v_mul_lo_u32 v12, s10, v12
	v_mad_u64_u32 v[9:10], null, s10, v11, 0
	v_add_co_u32 v63, vcc_lo, s12, v3
	v_add_co_ci_u32_e64 v64, null, s13, v4, vcc_lo
	v_add_co_u32 v65, vcc_lo, s14, v3
	v_add_co_ci_u32_e64 v66, null, s15, v4, vcc_lo
	;; [unrolled: 2-line block ×3, first 2 shown]
	v_add3_u32 v10, v10, v12, v13
	v_add_co_u32 v69, vcc_lo, s14, v7
	v_add_co_ci_u32_e64 v70, null, s15, v8, vcc_lo
	v_add_co_u32 v5, vcc_lo, v5, s10
	v_add_co_ci_u32_e64 v6, null, s11, v6, vcc_lo
	v_lshlrev_b64 v[3:4], 3, v[9:10]
	s_mul_i32 s22, s10, s27
	v_lshlrev_b64 v[5:6], 3, v[5:6]
	s_lshl_b64 s[2:3], s[22:23], 3
	s_mov_b64 s[22:23], 7
	v_add_co_u32 v71, vcc_lo, s12, v3
	v_add_co_ci_u32_e64 v72, null, s13, v4, vcc_lo
	v_add_co_u32 v73, vcc_lo, s14, v3
	v_add_co_ci_u32_e64 v74, null, s15, v4, vcc_lo
	;; [unrolled: 2-line block ×4, first 2 shown]
	s_branch .LBB132_5
.LBB132_3:                              ;   in Loop: Header=BB132_5 Depth=1
	s_or_b32 exec_lo, exec_lo, s28
	s_waitcnt vmcnt(0)
	v_mul_f64 v[3:4], v[19:20], v[3:4]
	ds_bpermute_b32 v19, v2, v41
	ds_bpermute_b32 v20, v2, v42
	v_mul_f64 v[5:6], v[21:22], v[5:6]
	v_mul_f64 v[7:8], v[23:24], v[7:8]
	;; [unrolled: 1-line block ×3, first 2 shown]
	s_waitcnt lgkmcnt(0)
	v_fma_f64 v[3:4], v[3:4], v[19:20], v[37:38]
	ds_bpermute_b32 v19, v2, v41 offset:4
	ds_bpermute_b32 v20, v2, v42 offset:4
	s_waitcnt lgkmcnt(0)
	v_fma_f64 v[3:4], v[5:6], v[19:20], v[3:4]
	ds_bpermute_b32 v5, v2, v41 offset:8
	ds_bpermute_b32 v6, v2, v42 offset:8
	;; [unrolled: 4-line block ×3, first 2 shown]
	v_mul_f64 v[7:8], v[27:28], v[11:12]
	s_waitcnt lgkmcnt(0)
	v_fma_f64 v[3:4], v[9:10], v[5:6], v[3:4]
	ds_bpermute_b32 v5, v2, v41 offset:16
	ds_bpermute_b32 v6, v2, v42 offset:16
	v_mul_f64 v[9:10], v[29:30], v[13:14]
	s_waitcnt lgkmcnt(0)
	v_fma_f64 v[3:4], v[7:8], v[5:6], v[3:4]
	ds_bpermute_b32 v5, v2, v41 offset:20
	ds_bpermute_b32 v6, v2, v42 offset:20
	;; [unrolled: 1-line block ×4, first 2 shown]
	s_waitcnt lgkmcnt(2)
	v_fma_f64 v[3:4], v[9:10], v[5:6], v[3:4]
	v_mul_f64 v[5:6], v[31:32], v[15:16]
	s_waitcnt lgkmcnt(0)
	v_fma_f64 v[43:44], v[5:6], v[7:8], v[3:4]
	ds_bpermute_b32 v3, v2, v41 offset:28
	ds_bpermute_b32 v4, v2, v42 offset:28
.LBB132_4:                              ;   in Loop: Header=BB132_5 Depth=1
	v_mul_f64 v[5:6], v[17:18], v[33:34]
	v_add_co_u32 v47, vcc_lo, v47, s2
	v_add_co_ci_u32_e64 v48, null, s3, v48, vcc_lo
	v_add_co_u32 v49, vcc_lo, v49, s2
	v_add_co_ci_u32_e64 v50, null, s3, v50, vcc_lo
	;; [unrolled: 2-line block ×8, first 2 shown]
	v_add_co_u32 v63, vcc_lo, v63, s2
	s_waitcnt lgkmcnt(0)
	v_fma_f64 v[37:38], v[5:6], v[3:4], v[43:44]
	v_add_co_ci_u32_e64 v64, null, s3, v64, vcc_lo
	v_add_co_u32 v65, vcc_lo, v65, s2
	v_add_co_ci_u32_e64 v66, null, s3, v66, vcc_lo
	v_add_co_u32 v67, vcc_lo, v67, s2
	v_add_co_ci_u32_e64 v68, null, s3, v68, vcc_lo
	v_add_co_u32 v69, vcc_lo, v69, s2
	v_add_co_ci_u32_e64 v70, null, s3, v70, vcc_lo
	v_add_co_u32 v71, vcc_lo, v71, s2
	v_add_co_ci_u32_e64 v72, null, s3, v72, vcc_lo
	v_add_co_u32 v73, vcc_lo, v73, s2
	s_add_u32 s24, s24, s27
	v_add_co_ci_u32_e64 v74, null, s3, v74, vcc_lo
	v_add_co_u32 v75, vcc_lo, v75, s2
	s_addc_u32 s25, s25, 0
	v_add_co_ci_u32_e64 v76, null, s3, v76, vcc_lo
	v_add_co_u32 v77, vcc_lo, v77, s2
	v_cmp_lt_i64_e64 s28, s[24:25], s[8:9]
	v_add_co_ci_u32_e64 v78, null, s3, v78, vcc_lo
	v_add_co_u32 v45, vcc_lo, v45, s27
	v_add_co_ci_u32_e64 v46, null, 0, v46, vcc_lo
	s_add_u32 s22, s22, s27
	s_addc_u32 s23, 0, s23
	s_and_b32 vcc_lo, exec_lo, s28
	s_cbranch_vccz .LBB132_49
.LBB132_5:                              ; =>This Inner Loop Header: Depth=1
	s_add_u32 s28, s18, s22
	s_addc_u32 s29, 0, s23
	v_add_co_u32 v39, vcc_lo, s18, v45
	v_cmp_ge_i64_e64 s28, s[28:29], s[8:9]
	v_add_co_ci_u32_e64 v40, null, 0, v46, vcc_lo
                                        ; implicit-def: $vgpr3_vgpr4_vgpr5_vgpr6_vgpr7_vgpr8_vgpr9_vgpr10_vgpr11_vgpr12_vgpr13_vgpr14_vgpr15_vgpr16_vgpr17_vgpr18
                                        ; implicit-def: $vgpr43_vgpr44
                                        ; implicit-def: $vgpr19_vgpr20_vgpr21_vgpr22_vgpr23_vgpr24_vgpr25_vgpr26_vgpr27_vgpr28_vgpr29_vgpr30_vgpr31_vgpr32_vgpr33_vgpr34
                                        ; implicit-def: $vgpr3
	s_and_b32 vcc_lo, exec_lo, s28
	s_mov_b32 s28, -1
	s_cbranch_vccz .LBB132_27
; %bb.6:                                ;   in Loop: Header=BB132_5 Depth=1
	s_load_dword s28, s[20:21], 0xc
	v_mov_b32_e32 v41, 0
	v_mov_b32_e32 v42, 0
	s_waitcnt lgkmcnt(0)
	s_and_b32 s28, s28, 0xffff
	v_mad_u32_u24 v3, v1, s28, v0
	s_mov_b32 s28, exec_lo
	v_and_b32_e32 v3, 31, v3
	v_cmpx_gt_u32_e32 8, v3
	s_cbranch_execz .LBB132_10
; %bb.7:                                ;   in Loop: Header=BB132_5 Depth=1
	v_add_co_u32 v3, vcc_lo, v39, v3
	v_mov_b32_e32 v41, 0
	v_add_co_ci_u32_e64 v4, null, 0, v40, vcc_lo
	v_mov_b32_e32 v42, 0
	s_mov_b32 s29, exec_lo
	v_cmpx_gt_i64_e64 s[8:9], v[3:4]
	s_cbranch_execz .LBB132_9
; %bb.8:                                ;   in Loop: Header=BB132_5 Depth=1
	v_lshlrev_b64 v[3:4], 3, v[3:4]
	v_add_co_u32 v3, vcc_lo, s16, v3
	v_add_co_ci_u32_e64 v4, null, s17, v4, vcc_lo
	global_load_dwordx2 v[41:42], v[3:4], off
.LBB132_9:                              ;   in Loop: Header=BB132_5 Depth=1
	s_or_b32 exec_lo, exec_lo, s29
.LBB132_10:                             ;   in Loop: Header=BB132_5 Depth=1
	s_or_b32 exec_lo, exec_lo, s28
	v_mov_b32_e32 v17, v2
	v_mov_b32_e32 v3, v2
	;; [unrolled: 1-line block ×15, first 2 shown]
	v_cmp_gt_i64_e32 vcc_lo, s[8:9], v[39:40]
	v_mov_b32_e32 v34, v17
	v_mov_b32_e32 v31, v14
	;; [unrolled: 1-line block ×32, first 2 shown]
	s_and_b32 s29, s1, vcc_lo
	s_and_saveexec_b32 s28, s29
	s_cbranch_execz .LBB132_12
; %bb.11:                               ;   in Loop: Header=BB132_5 Depth=1
	v_add_co_u32 v3, vcc_lo, v47, v35
	v_add_co_ci_u32_e64 v4, null, v48, v36, vcc_lo
	v_add_co_u32 v5, vcc_lo, v49, v35
	v_add_co_ci_u32_e64 v6, null, v50, v36, vcc_lo
	global_load_dwordx2 v[3:4], v[3:4], off
	global_load_dwordx2 v[19:20], v[5:6], off
	v_mov_b32_e32 v5, v2
	v_mov_b32_e32 v6, v2
	;; [unrolled: 1-line block ×28, first 2 shown]
.LBB132_12:                             ;   in Loop: Header=BB132_5 Depth=1
	s_or_b32 exec_lo, exec_lo, s28
	v_add_co_u32 v43, vcc_lo, v39, 1
	v_add_co_ci_u32_e64 v44, null, 0, v40, vcc_lo
	v_cmp_gt_i64_e32 vcc_lo, s[8:9], v[43:44]
	s_and_b32 s29, s1, vcc_lo
	s_and_saveexec_b32 s28, s29
	s_cbranch_execz .LBB132_14
; %bb.13:                               ;   in Loop: Header=BB132_5 Depth=1
	v_add_co_u32 v5, vcc_lo, v75, v35
	v_add_co_ci_u32_e64 v6, null, v76, v36, vcc_lo
	v_add_co_u32 v21, vcc_lo, v77, v35
	v_add_co_ci_u32_e64 v22, null, v78, v36, vcc_lo
	global_load_dwordx2 v[5:6], v[5:6], off
	global_load_dwordx2 v[21:22], v[21:22], off
.LBB132_14:                             ;   in Loop: Header=BB132_5 Depth=1
	s_or_b32 exec_lo, exec_lo, s28
	v_add_co_u32 v43, vcc_lo, v39, 2
	v_add_co_ci_u32_e64 v44, null, 0, v40, vcc_lo
	v_cmp_gt_i64_e32 vcc_lo, s[8:9], v[43:44]
	s_and_b32 s29, s1, vcc_lo
	s_and_saveexec_b32 s28, s29
	s_cbranch_execz .LBB132_16
; %bb.15:                               ;   in Loop: Header=BB132_5 Depth=1
	v_add_co_u32 v7, vcc_lo, v71, v35
	v_add_co_ci_u32_e64 v8, null, v72, v36, vcc_lo
	v_add_co_u32 v23, vcc_lo, v73, v35
	v_add_co_ci_u32_e64 v24, null, v74, v36, vcc_lo
	global_load_dwordx2 v[7:8], v[7:8], off
	global_load_dwordx2 v[23:24], v[23:24], off
.LBB132_16:                             ;   in Loop: Header=BB132_5 Depth=1
	;; [unrolled: 15-line block ×7, first 2 shown]
	s_or_b32 exec_lo, exec_lo, s28
	s_waitcnt vmcnt(0)
	v_mul_f64 v[3:4], v[19:20], v[3:4]
	ds_bpermute_b32 v19, v2, v41
	ds_bpermute_b32 v20, v2, v42
	v_mul_f64 v[5:6], v[21:22], v[5:6]
	v_mul_f64 v[7:8], v[23:24], v[7:8]
	;; [unrolled: 1-line block ×3, first 2 shown]
	s_mov_b32 s28, 0
	s_waitcnt lgkmcnt(0)
	v_fma_f64 v[3:4], v[3:4], v[19:20], v[37:38]
	ds_bpermute_b32 v19, v2, v41 offset:4
	ds_bpermute_b32 v20, v2, v42 offset:4
	s_waitcnt lgkmcnt(0)
	v_fma_f64 v[3:4], v[5:6], v[19:20], v[3:4]
	ds_bpermute_b32 v5, v2, v41 offset:8
	ds_bpermute_b32 v6, v2, v42 offset:8
	;; [unrolled: 4-line block ×3, first 2 shown]
	v_mul_f64 v[7:8], v[27:28], v[11:12]
	s_waitcnt lgkmcnt(0)
	v_fma_f64 v[3:4], v[9:10], v[5:6], v[3:4]
	ds_bpermute_b32 v5, v2, v41 offset:16
	ds_bpermute_b32 v6, v2, v42 offset:16
	v_mul_f64 v[9:10], v[29:30], v[13:14]
	s_waitcnt lgkmcnt(0)
	v_fma_f64 v[3:4], v[7:8], v[5:6], v[3:4]
	ds_bpermute_b32 v5, v2, v41 offset:20
	ds_bpermute_b32 v6, v2, v42 offset:20
	;; [unrolled: 1-line block ×4, first 2 shown]
	s_waitcnt lgkmcnt(2)
	v_fma_f64 v[3:4], v[9:10], v[5:6], v[3:4]
	v_mul_f64 v[5:6], v[31:32], v[15:16]
	s_waitcnt lgkmcnt(0)
	v_fma_f64 v[43:44], v[5:6], v[7:8], v[3:4]
	ds_bpermute_b32 v3, v2, v41 offset:28
	ds_bpermute_b32 v4, v2, v42 offset:28
.LBB132_27:                             ;   in Loop: Header=BB132_5 Depth=1
	s_and_b32 vcc_lo, exec_lo, s28
	s_cbranch_vccz .LBB132_4
; %bb.28:                               ;   in Loop: Header=BB132_5 Depth=1
	s_load_dword s28, s[20:21], 0x0
	v_mov_b32_e32 v41, 0
	v_mov_b32_e32 v42, 0
	s_waitcnt lgkmcnt(0)
	s_cmp_lt_u32 s6, s28
	s_cselect_b32 s28, 12, 18
	s_add_u32 s28, s20, s28
	s_addc_u32 s29, s21, 0
	global_load_ushort v3, v2, s[28:29]
	s_mov_b32 s28, exec_lo
	s_waitcnt vmcnt(0)
	v_mad_u32_u24 v3, v1, v3, v0
	v_and_b32_e32 v3, 31, v3
	v_cmpx_gt_u32_e32 8, v3
	s_cbranch_execz .LBB132_32
; %bb.29:                               ;   in Loop: Header=BB132_5 Depth=1
	v_add_co_u32 v3, vcc_lo, v39, v3
	v_mov_b32_e32 v41, 0
	v_add_co_ci_u32_e64 v4, null, 0, v40, vcc_lo
	v_mov_b32_e32 v42, 0
	s_mov_b32 s29, exec_lo
	v_cmpx_gt_i64_e64 s[8:9], v[3:4]
	s_cbranch_execz .LBB132_31
; %bb.30:                               ;   in Loop: Header=BB132_5 Depth=1
	v_lshlrev_b64 v[3:4], 3, v[3:4]
	v_add_co_u32 v3, vcc_lo, s16, v3
	v_add_co_ci_u32_e64 v4, null, s17, v4, vcc_lo
	global_load_dwordx2 v[41:42], v[3:4], off
.LBB132_31:                             ;   in Loop: Header=BB132_5 Depth=1
	s_or_b32 exec_lo, exec_lo, s29
.LBB132_32:                             ;   in Loop: Header=BB132_5 Depth=1
	s_or_b32 exec_lo, exec_lo, s28
	v_mov_b32_e32 v17, v2
	v_mov_b32_e32 v3, v2
	;; [unrolled: 1-line block ×47, first 2 shown]
	s_and_saveexec_b32 s28, s1
	s_cbranch_execnz .LBB132_40
; %bb.33:                               ;   in Loop: Header=BB132_5 Depth=1
	s_or_b32 exec_lo, exec_lo, s28
	s_and_saveexec_b32 s28, s1
	s_cbranch_execnz .LBB132_41
.LBB132_34:                             ;   in Loop: Header=BB132_5 Depth=1
	s_or_b32 exec_lo, exec_lo, s28
	s_and_saveexec_b32 s28, s1
	s_cbranch_execnz .LBB132_42
.LBB132_35:                             ;   in Loop: Header=BB132_5 Depth=1
	s_or_b32 exec_lo, exec_lo, s28
	s_and_saveexec_b32 s28, s1
	s_cbranch_execnz .LBB132_43
.LBB132_36:                             ;   in Loop: Header=BB132_5 Depth=1
	s_or_b32 exec_lo, exec_lo, s28
	s_and_saveexec_b32 s28, s1
	s_cbranch_execnz .LBB132_44
.LBB132_37:                             ;   in Loop: Header=BB132_5 Depth=1
	s_or_b32 exec_lo, exec_lo, s28
	s_and_saveexec_b32 s28, s1
	s_cbranch_execnz .LBB132_45
.LBB132_38:                             ;   in Loop: Header=BB132_5 Depth=1
	s_or_b32 exec_lo, exec_lo, s28
	s_and_saveexec_b32 s28, s1
	s_cbranch_execnz .LBB132_46
.LBB132_39:                             ;   in Loop: Header=BB132_5 Depth=1
	s_or_b32 exec_lo, exec_lo, s28
	s_and_saveexec_b32 s28, s1
	s_cbranch_execz .LBB132_3
	s_branch .LBB132_47
.LBB132_40:                             ;   in Loop: Header=BB132_5 Depth=1
	v_add_co_u32 v3, vcc_lo, v47, v35
	v_add_co_ci_u32_e64 v4, null, v48, v36, vcc_lo
	v_add_co_u32 v5, vcc_lo, v49, v35
	v_add_co_ci_u32_e64 v6, null, v50, v36, vcc_lo
	global_load_dwordx2 v[3:4], v[3:4], off
	global_load_dwordx2 v[19:20], v[5:6], off
	v_mov_b32_e32 v5, v2
	v_mov_b32_e32 v6, v2
	;; [unrolled: 1-line block ×28, first 2 shown]
	s_or_b32 exec_lo, exec_lo, s28
	s_and_saveexec_b32 s28, s1
	s_cbranch_execz .LBB132_34
.LBB132_41:                             ;   in Loop: Header=BB132_5 Depth=1
	v_add_co_u32 v5, vcc_lo, v75, v35
	v_add_co_ci_u32_e64 v6, null, v76, v36, vcc_lo
	v_add_co_u32 v21, vcc_lo, v77, v35
	v_add_co_ci_u32_e64 v22, null, v78, v36, vcc_lo
	global_load_dwordx2 v[5:6], v[5:6], off
	global_load_dwordx2 v[21:22], v[21:22], off
	s_or_b32 exec_lo, exec_lo, s28
	s_and_saveexec_b32 s28, s1
	s_cbranch_execz .LBB132_35
.LBB132_42:                             ;   in Loop: Header=BB132_5 Depth=1
	v_add_co_u32 v7, vcc_lo, v71, v35
	v_add_co_ci_u32_e64 v8, null, v72, v36, vcc_lo
	v_add_co_u32 v23, vcc_lo, v73, v35
	v_add_co_ci_u32_e64 v24, null, v74, v36, vcc_lo
	global_load_dwordx2 v[7:8], v[7:8], off
	global_load_dwordx2 v[23:24], v[23:24], off
	s_or_b32 exec_lo, exec_lo, s28
	s_and_saveexec_b32 s28, s1
	s_cbranch_execz .LBB132_36
.LBB132_43:                             ;   in Loop: Header=BB132_5 Depth=1
	v_add_co_u32 v9, vcc_lo, v67, v35
	v_add_co_ci_u32_e64 v10, null, v68, v36, vcc_lo
	v_add_co_u32 v25, vcc_lo, v69, v35
	v_add_co_ci_u32_e64 v26, null, v70, v36, vcc_lo
	global_load_dwordx2 v[9:10], v[9:10], off
	global_load_dwordx2 v[25:26], v[25:26], off
	s_or_b32 exec_lo, exec_lo, s28
	s_and_saveexec_b32 s28, s1
	s_cbranch_execz .LBB132_37
.LBB132_44:                             ;   in Loop: Header=BB132_5 Depth=1
	v_add_co_u32 v11, vcc_lo, v63, v35
	v_add_co_ci_u32_e64 v12, null, v64, v36, vcc_lo
	v_add_co_u32 v27, vcc_lo, v65, v35
	v_add_co_ci_u32_e64 v28, null, v66, v36, vcc_lo
	global_load_dwordx2 v[11:12], v[11:12], off
	global_load_dwordx2 v[27:28], v[27:28], off
	s_or_b32 exec_lo, exec_lo, s28
	s_and_saveexec_b32 s28, s1
	s_cbranch_execz .LBB132_38
.LBB132_45:                             ;   in Loop: Header=BB132_5 Depth=1
	v_add_co_u32 v13, vcc_lo, v59, v35
	v_add_co_ci_u32_e64 v14, null, v60, v36, vcc_lo
	v_add_co_u32 v29, vcc_lo, v61, v35
	v_add_co_ci_u32_e64 v30, null, v62, v36, vcc_lo
	global_load_dwordx2 v[13:14], v[13:14], off
	global_load_dwordx2 v[29:30], v[29:30], off
	s_or_b32 exec_lo, exec_lo, s28
	s_and_saveexec_b32 s28, s1
	s_cbranch_execz .LBB132_39
.LBB132_46:                             ;   in Loop: Header=BB132_5 Depth=1
	v_add_co_u32 v15, vcc_lo, v55, v35
	v_add_co_ci_u32_e64 v16, null, v56, v36, vcc_lo
	v_add_co_u32 v31, vcc_lo, v57, v35
	v_add_co_ci_u32_e64 v32, null, v58, v36, vcc_lo
	global_load_dwordx2 v[15:16], v[15:16], off
	global_load_dwordx2 v[31:32], v[31:32], off
	s_or_b32 exec_lo, exec_lo, s28
	s_and_saveexec_b32 s28, s1
	s_cbranch_execz .LBB132_3
.LBB132_47:                             ;   in Loop: Header=BB132_5 Depth=1
	v_add_co_u32 v17, vcc_lo, v51, v35
	v_add_co_ci_u32_e64 v18, null, v52, v36, vcc_lo
	v_add_co_u32 v33, vcc_lo, v53, v35
	v_add_co_ci_u32_e64 v34, null, v54, v36, vcc_lo
	global_load_dwordx2 v[17:18], v[17:18], off
	global_load_dwordx2 v[33:34], v[33:34], off
	s_branch .LBB132_3
.LBB132_48:
                                        ; implicit-def: $vgpr37_vgpr38
	s_load_dwordx2 s[2:3], s[4:5], 0x30
	s_branch .LBB132_50
.LBB132_49:
	s_load_dwordx2 s[2:3], s[4:5], 0x30
	s_cbranch_execnz .LBB132_82
.LBB132_50:
	v_mov_b32_e32 v37, 0
	v_mov_b32_e32 v38, 0
	s_andn2_b32 vcc_lo, exec_lo, s26
	s_cbranch_vccnz .LBB132_82
; %bb.51:
	v_lshlrev_b32_e32 v71, 3, v1
	v_lshlrev_b32_e32 v4, 6, v1
	s_add_u32 s20, s4, 64
	s_addc_u32 s21, s5, 0
	s_lshl_b64 s[22:23], s[18:19], 3
	v_add_co_u32 v10, s1, v71, s18
	v_add_co_ci_u32_e64 v11, null, 0, 0, s1
	v_add_co_u32 v7, s1, v4, s22
	v_mul_lo_u32 v5, s11, v10
	v_mul_lo_u32 v6, s10, v11
	v_mad_u64_u32 v[2:3], null, s10, v10, 0
	v_add_co_ci_u32_e64 v8, null, 0, s23, s1
	v_mov_b32_e32 v67, 0
	v_mov_b32_e32 v68, 0
	s_mov_b64 s[22:23], s[18:19]
	v_add3_u32 v3, v3, v6, v5
	v_add_co_u32 v6, vcc_lo, v7, 8
	v_add_co_ci_u32_e64 v9, null, 0, v8, vcc_lo
	v_lshlrev_b64 v[4:5], 3, v[2:3]
	v_mad_u64_u32 v[35:36], null, s10, v6, s[12:13]
	v_mul_lo_u32 v9, s10, v9
	v_mul_lo_u32 v12, s11, v6
	v_mad_u64_u32 v[51:52], null, s10, v6, s[14:15]
	v_add_co_u32 v72, vcc_lo, s12, v4
	v_add_co_ci_u32_e64 v73, null, s13, v5, vcc_lo
	v_add_co_u32 v74, vcc_lo, s14, v4
	v_add_co_ci_u32_e64 v75, null, s15, v5, vcc_lo
	;; [unrolled: 2-line block ×4, first 2 shown]
	v_add_co_u32 v16, vcc_lo, v7, 32
	v_mad_u64_u32 v[39:40], null, s10, v4, s[12:13]
	v_mul_lo_u32 v5, s10, v5
	v_mul_lo_u32 v15, s11, v4
	v_add_co_ci_u32_e64 v18, null, 0, v8, vcc_lo
	v_add_co_u32 v19, vcc_lo, v7, 40
	v_mad_u64_u32 v[53:54], null, s10, v4, s[14:15]
	v_add_co_ci_u32_e64 v20, null, 0, v8, vcc_lo
	v_add_co_u32 v22, vcc_lo, v7, 48
	v_add_co_ci_u32_e64 v24, null, 0, v8, vcc_lo
	v_add_co_u32 v7, vcc_lo, v7, 56
	;; [unrolled: 2-line block ×3, first 2 shown]
	v_add3_u32 v40, v15, v40, v5
	v_add3_u32 v54, v15, v54, v5
	v_add_co_ci_u32_e64 v5, null, 0, v11, vcc_lo
	v_add3_u32 v36, v12, v36, v9
	v_add3_u32 v52, v12, v52, v9
	v_mul_lo_u32 v6, s11, v4
	v_mul_lo_u32 v9, s10, v5
	v_mad_u64_u32 v[4:5], null, s10, v4, 0
	v_mad_u64_u32 v[49:50], null, s10, v7, s[12:13]
	v_mul_lo_u32 v8, s10, v8
	v_mul_lo_u32 v26, s11, v7
	v_mad_u64_u32 v[63:64], null, s10, v7, s[14:15]
	v_add3_u32 v5, v5, v9, v6
	v_add_co_u32 v6, vcc_lo, v10, 6
	v_add_co_ci_u32_e64 v7, null, 0, v11, vcc_lo
	v_mad_u64_u32 v[41:42], null, s10, v13, s[12:13]
	v_mul_lo_u32 v14, s10, v14
	v_mul_lo_u32 v17, s11, v13
	v_add3_u32 v50, v26, v50, v8
	v_mad_u64_u32 v[55:56], null, s10, v13, s[14:15]
	v_add3_u32 v64, v26, v64, v8
	v_mul_lo_u32 v8, s11, v6
	v_mul_lo_u32 v9, s10, v7
	v_mad_u64_u32 v[6:7], null, s10, v6, 0
	v_lshlrev_b64 v[4:5], 3, v[4:5]
	v_add_co_u32 v12, vcc_lo, v10, 5
	v_add_co_ci_u32_e64 v13, null, 0, v11, vcc_lo
	v_add3_u32 v42, v17, v42, v14
	v_add_co_u32 v76, vcc_lo, s12, v4
	v_add3_u32 v56, v17, v56, v14
	v_add3_u32 v7, v7, v9, v8
	v_mul_lo_u32 v14, s11, v12
	v_mul_lo_u32 v13, s10, v13
	v_mad_u64_u32 v[8:9], null, s10, v12, 0
	v_add_co_ci_u32_e64 v77, null, s13, v5, vcc_lo
	v_add_co_u32 v12, vcc_lo, v10, 4
	v_add_co_ci_u32_e64 v15, null, 0, v11, vcc_lo
	v_add_co_u32 v78, vcc_lo, s14, v4
	v_add_co_ci_u32_e64 v79, null, s15, v5, vcc_lo
	v_lshlrev_b64 v[4:5], 3, v[6:7]
	v_add3_u32 v9, v9, v13, v14
	v_mul_lo_u32 v13, s11, v12
	v_mul_lo_u32 v14, s10, v15
	v_mad_u64_u32 v[6:7], null, s10, v12, 0
	v_lshlrev_b64 v[8:9], 3, v[8:9]
	v_add_co_u32 v80, vcc_lo, s12, v4
	v_add_co_ci_u32_e64 v81, null, s13, v5, vcc_lo
	v_add_co_u32 v82, vcc_lo, s14, v4
	v_add3_u32 v7, v7, v14, v13
	v_add_co_ci_u32_e64 v83, null, s15, v5, vcc_lo
	v_add_co_u32 v84, vcc_lo, s12, v8
	v_add_co_ci_u32_e64 v85, null, s13, v9, vcc_lo
	v_lshlrev_b64 v[4:5], 3, v[6:7]
	v_add_co_u32 v6, vcc_lo, v10, 3
	v_add_co_ci_u32_e64 v7, null, 0, v11, vcc_lo
	v_add_co_u32 v86, s1, s14, v8
	v_add_co_u32 v8, vcc_lo, v10, 2
	v_add_co_ci_u32_e64 v87, null, s15, v9, s1
	v_mul_lo_u32 v12, s11, v6
	v_add_co_ci_u32_e64 v9, null, 0, v11, vcc_lo
	v_mul_lo_u32 v10, s10, v7
	v_mad_u64_u32 v[6:7], null, s10, v6, 0
	v_mul_lo_u32 v11, s11, v8
	v_mul_lo_u32 v13, s10, v9
	v_mad_u64_u32 v[8:9], null, s10, v8, 0
	v_add_co_u32 v88, vcc_lo, s12, v4
	v_add3_u32 v7, v7, v10, v12
	s_load_dword s1, s[4:5], 0x44
	v_add_co_ci_u32_e64 v89, null, s13, v5, vcc_lo
	v_add_co_u32 v90, vcc_lo, s14, v4
	v_add_co_ci_u32_e64 v91, null, s15, v5, vcc_lo
	v_lshlrev_b64 v[4:5], 3, v[6:7]
	v_add3_u32 v9, v9, v13, v11
	v_add_co_u32 v2, vcc_lo, v2, s10
	v_add_co_ci_u32_e64 v3, null, s11, v3, vcc_lo
	v_lshlrev_b64 v[6:7], 3, v[8:9]
	v_add_co_u32 v92, vcc_lo, s12, v4
	v_add_co_ci_u32_e64 v93, null, s13, v5, vcc_lo
	v_add_co_u32 v94, vcc_lo, s14, v4
	v_lshlrev_b64 v[3:4], 3, v[2:3]
	v_mov_b32_e32 v2, 0
	v_mad_u64_u32 v[43:44], null, s10, v16, s[12:13]
	v_mul_lo_u32 v18, s10, v18
	v_mul_lo_u32 v21, s11, v16
	v_mad_u64_u32 v[45:46], null, s10, v19, s[12:13]
	v_mul_lo_u32 v20, s10, v20
	v_mul_lo_u32 v23, s11, v19
	;; [unrolled: 3-line block ×3, first 2 shown]
	v_mad_u64_u32 v[57:58], null, s10, v16, s[14:15]
	v_mad_u64_u32 v[59:60], null, s10, v19, s[14:15]
	;; [unrolled: 1-line block ×3, first 2 shown]
	v_add_co_ci_u32_e64 v95, null, s15, v5, vcc_lo
	v_add_co_u32 v96, vcc_lo, s12, v6
	v_add_co_ci_u32_e64 v97, null, s13, v7, vcc_lo
	v_add_co_u32 v98, vcc_lo, s14, v6
	v_add_nc_u32_e32 v5, s7, v0
	v_mov_b32_e32 v6, v2
	v_add_co_ci_u32_e64 v99, null, s15, v7, vcc_lo
	v_add_co_u32 v100, vcc_lo, s12, v3
	s_waitcnt lgkmcnt(0)
	s_lshl_b32 s1, s1, 3
	v_add_co_ci_u32_e64 v101, null, s13, v4, vcc_lo
	v_add_co_u32 v102, vcc_lo, s14, v3
	s_mul_i32 s7, s11, s1
	s_mul_hi_u32 s12, s10, s1
	v_lshlrev_b64 v[65:66], 3, v[5:6]
	v_add3_u32 v44, v21, v44, v18
	v_add3_u32 v46, v23, v46, v20
	;; [unrolled: 1-line block ×6, first 2 shown]
	v_add_co_ci_u32_e64 v103, null, s15, v4, vcc_lo
	v_mov_b32_e32 v104, v2
	s_add_i32 s13, s12, s7
	s_mul_i32 s12, s10, s1
	s_mov_b64 s[14:15], 7
	s_lshl_b64 s[12:13], s[12:13], 3
.LBB132_52:                             ; =>This Inner Loop Header: Depth=1
	s_add_u32 s24, s18, s14
	s_addc_u32 s25, 0, s15
	v_add_co_u32 v69, vcc_lo, s18, v71
	v_cmp_ge_i64_e64 s7, s[24:25], s[8:9]
	v_add_co_ci_u32_e64 v70, null, 0, v104, vcc_lo
                                        ; implicit-def: $vgpr37_vgpr38
	s_and_b32 vcc_lo, exec_lo, s7
	s_mov_b32 s7, -1
	s_cbranch_vccz .LBB132_74
; %bb.53:                               ;   in Loop: Header=BB132_52 Depth=1
	s_load_dword s7, s[20:21], 0xc
	v_mov_b32_e32 v37, 0
	v_mov_b32_e32 v38, 0
	s_waitcnt lgkmcnt(0)
	s_and_b32 s7, s7, 0xffff
	v_mad_u32_u24 v3, v1, s7, v0
	s_mov_b32 s7, exec_lo
	v_and_b32_e32 v3, 31, v3
	v_cmpx_gt_u32_e32 8, v3
	s_cbranch_execz .LBB132_57
; %bb.54:                               ;   in Loop: Header=BB132_52 Depth=1
	v_add_co_u32 v3, vcc_lo, v69, v3
	v_mov_b32_e32 v37, 0
	v_add_co_ci_u32_e64 v4, null, 0, v70, vcc_lo
	v_mov_b32_e32 v38, 0
	s_mov_b32 s19, exec_lo
	v_cmpx_gt_i64_e64 s[8:9], v[3:4]
	s_cbranch_execz .LBB132_56
; %bb.55:                               ;   in Loop: Header=BB132_52 Depth=1
	v_lshlrev_b64 v[3:4], 3, v[3:4]
	v_add_co_u32 v3, vcc_lo, s16, v3
	v_add_co_ci_u32_e64 v4, null, s17, v4, vcc_lo
	global_load_dwordx2 v[37:38], v[3:4], off
.LBB132_56:                             ;   in Loop: Header=BB132_52 Depth=1
	s_or_b32 exec_lo, exec_lo, s19
.LBB132_57:                             ;   in Loop: Header=BB132_52 Depth=1
	s_or_b32 exec_lo, exec_lo, s7
	v_mov_b32_e32 v17, v2
	v_mov_b32_e32 v3, v2
	;; [unrolled: 1-line block ×47, first 2 shown]
	s_mov_b32 s7, exec_lo
	v_cmpx_gt_i64_e64 s[8:9], v[69:70]
	s_cbranch_execz .LBB132_59
; %bb.58:                               ;   in Loop: Header=BB132_52 Depth=1
	v_add_co_u32 v3, vcc_lo, v72, v65
	v_add_co_ci_u32_e64 v4, null, v73, v66, vcc_lo
	v_add_co_u32 v5, vcc_lo, v74, v65
	v_add_co_ci_u32_e64 v6, null, v75, v66, vcc_lo
	global_load_dwordx2 v[3:4], v[3:4], off
	global_load_dwordx2 v[19:20], v[5:6], off
	v_mov_b32_e32 v5, v2
	v_mov_b32_e32 v6, v2
	v_mov_b32_e32 v7, v2
	v_mov_b32_e32 v8, v2
	v_mov_b32_e32 v9, v2
	v_mov_b32_e32 v10, v2
	v_mov_b32_e32 v11, v2
	v_mov_b32_e32 v12, v2
	v_mov_b32_e32 v13, v2
	v_mov_b32_e32 v14, v2
	v_mov_b32_e32 v15, v2
	v_mov_b32_e32 v16, v2
	v_mov_b32_e32 v17, v2
	v_mov_b32_e32 v18, v2
	v_mov_b32_e32 v21, v2
	v_mov_b32_e32 v22, v2
	v_mov_b32_e32 v23, v2
	v_mov_b32_e32 v24, v2
	v_mov_b32_e32 v25, v2
	v_mov_b32_e32 v26, v2
	v_mov_b32_e32 v27, v2
	v_mov_b32_e32 v28, v2
	v_mov_b32_e32 v29, v2
	v_mov_b32_e32 v30, v2
	v_mov_b32_e32 v31, v2
	v_mov_b32_e32 v32, v2
	v_mov_b32_e32 v33, v2
	v_mov_b32_e32 v34, v2
.LBB132_59:                             ;   in Loop: Header=BB132_52 Depth=1
	s_or_b32 exec_lo, exec_lo, s7
	v_add_co_u32 v105, vcc_lo, v69, 1
	v_add_co_ci_u32_e64 v106, null, 0, v70, vcc_lo
	s_mov_b32 s7, exec_lo
	v_cmpx_gt_i64_e64 s[8:9], v[105:106]
	s_cbranch_execz .LBB132_61
; %bb.60:                               ;   in Loop: Header=BB132_52 Depth=1
	v_add_co_u32 v5, vcc_lo, v100, v65
	v_add_co_ci_u32_e64 v6, null, v101, v66, vcc_lo
	v_add_co_u32 v21, vcc_lo, v102, v65
	v_add_co_ci_u32_e64 v22, null, v103, v66, vcc_lo
	global_load_dwordx2 v[5:6], v[5:6], off
	global_load_dwordx2 v[21:22], v[21:22], off
.LBB132_61:                             ;   in Loop: Header=BB132_52 Depth=1
	s_or_b32 exec_lo, exec_lo, s7
	v_add_co_u32 v105, vcc_lo, v69, 2
	v_add_co_ci_u32_e64 v106, null, 0, v70, vcc_lo
	s_mov_b32 s7, exec_lo
	v_cmpx_gt_i64_e64 s[8:9], v[105:106]
	s_cbranch_execz .LBB132_63
; %bb.62:                               ;   in Loop: Header=BB132_52 Depth=1
	v_add_co_u32 v7, vcc_lo, v96, v65
	v_add_co_ci_u32_e64 v8, null, v97, v66, vcc_lo
	v_add_co_u32 v23, vcc_lo, v98, v65
	v_add_co_ci_u32_e64 v24, null, v99, v66, vcc_lo
	global_load_dwordx2 v[7:8], v[7:8], off
	global_load_dwordx2 v[23:24], v[23:24], off
.LBB132_63:                             ;   in Loop: Header=BB132_52 Depth=1
	;; [unrolled: 14-line block ×7, first 2 shown]
	s_or_b32 exec_lo, exec_lo, s7
	s_waitcnt vmcnt(0)
	v_mul_f64 v[3:4], v[19:20], v[3:4]
	ds_bpermute_b32 v19, v2, v37
	ds_bpermute_b32 v20, v2, v38
	v_mul_f64 v[5:6], v[21:22], v[5:6]
	v_mul_f64 v[7:8], v[23:24], v[7:8]
	;; [unrolled: 1-line block ×3, first 2 shown]
	s_mov_b32 s7, 0
	s_waitcnt lgkmcnt(0)
	v_fma_f64 v[3:4], v[3:4], v[19:20], v[67:68]
	ds_bpermute_b32 v19, v2, v37 offset:4
	ds_bpermute_b32 v20, v2, v38 offset:4
	s_waitcnt lgkmcnt(0)
	v_fma_f64 v[3:4], v[5:6], v[19:20], v[3:4]
	ds_bpermute_b32 v5, v2, v37 offset:8
	ds_bpermute_b32 v6, v2, v38 offset:8
	;; [unrolled: 4-line block ×3, first 2 shown]
	v_mul_f64 v[7:8], v[27:28], v[11:12]
	s_waitcnt lgkmcnt(0)
	v_fma_f64 v[3:4], v[9:10], v[5:6], v[3:4]
	ds_bpermute_b32 v5, v2, v37 offset:16
	ds_bpermute_b32 v6, v2, v38 offset:16
	v_mul_f64 v[9:10], v[29:30], v[13:14]
	s_waitcnt lgkmcnt(0)
	v_fma_f64 v[3:4], v[7:8], v[5:6], v[3:4]
	ds_bpermute_b32 v5, v2, v37 offset:20
	ds_bpermute_b32 v6, v2, v38 offset:20
	;; [unrolled: 5-line block ×3, first 2 shown]
	s_waitcnt lgkmcnt(0)
	v_fma_f64 v[3:4], v[7:8], v[5:6], v[3:4]
	v_mul_f64 v[5:6], v[33:34], v[17:18]
	ds_bpermute_b32 v7, v2, v37 offset:28
	ds_bpermute_b32 v8, v2, v38 offset:28
	s_waitcnt lgkmcnt(0)
	v_fma_f64 v[37:38], v[5:6], v[7:8], v[3:4]
.LBB132_74:                             ;   in Loop: Header=BB132_52 Depth=1
	s_and_b32 vcc_lo, exec_lo, s7
	s_cbranch_vccz .LBB132_80
; %bb.75:                               ;   in Loop: Header=BB132_52 Depth=1
	s_load_dword s7, s[20:21], 0x0
	s_waitcnt lgkmcnt(0)
	s_cmp_lt_u32 s6, s7
	s_cselect_b32 s7, 12, 18
	s_add_u32 s24, s20, s7
	s_addc_u32 s25, s21, 0
	s_mov_b32 s7, exec_lo
	global_load_ushort v3, v2, s[24:25]
	s_waitcnt vmcnt(0)
	v_mad_u32_u24 v3, v1, v3, v0
	v_and_b32_e32 v5, 31, v3
	v_mov_b32_e32 v3, 0
	v_mov_b32_e32 v4, 0
	v_cmpx_gt_u32_e32 8, v5
	s_cbranch_execz .LBB132_79
; %bb.76:                               ;   in Loop: Header=BB132_52 Depth=1
	v_add_co_u32 v5, vcc_lo, v69, v5
	v_mov_b32_e32 v3, 0
	v_add_co_ci_u32_e64 v6, null, 0, v70, vcc_lo
	v_mov_b32_e32 v4, 0
	s_mov_b32 s19, exec_lo
	v_cmpx_gt_i64_e64 s[8:9], v[5:6]
	s_cbranch_execz .LBB132_78
; %bb.77:                               ;   in Loop: Header=BB132_52 Depth=1
	v_lshlrev_b64 v[3:4], 3, v[5:6]
	v_add_co_u32 v3, vcc_lo, s16, v3
	v_add_co_ci_u32_e64 v4, null, s17, v4, vcc_lo
	global_load_dwordx2 v[3:4], v[3:4], off
.LBB132_78:                             ;   in Loop: Header=BB132_52 Depth=1
	s_or_b32 exec_lo, exec_lo, s19
.LBB132_79:                             ;   in Loop: Header=BB132_52 Depth=1
	s_or_b32 exec_lo, exec_lo, s7
	v_add_co_u32 v5, vcc_lo, v72, v65
	v_add_co_ci_u32_e64 v6, null, v73, v66, vcc_lo
	v_add_co_u32 v7, vcc_lo, v74, v65
	v_add_co_ci_u32_e64 v8, null, v75, v66, vcc_lo
	global_load_dwordx2 v[5:6], v[5:6], off
	global_load_dwordx2 v[7:8], v[7:8], off
	v_add_co_u32 v9, vcc_lo, v35, v65
	v_add_co_ci_u32_e64 v10, null, v36, v66, vcc_lo
	v_add_co_u32 v11, vcc_lo, v51, v65
	v_add_co_ci_u32_e64 v12, null, v52, v66, vcc_lo
	global_load_dwordx2 v[9:10], v[9:10], off
	global_load_dwordx2 v[11:12], v[11:12], off
	;; [unrolled: 6-line block ×8, first 2 shown]
	s_waitcnt vmcnt(14)
	v_mul_f64 v[5:6], v[5:6], v[7:8]
	ds_bpermute_b32 v7, v2, v3
	ds_bpermute_b32 v8, v2, v4
	s_waitcnt vmcnt(12)
	v_mul_f64 v[9:10], v[9:10], v[11:12]
	s_waitcnt vmcnt(10)
	v_mul_f64 v[11:12], v[13:14], v[15:16]
	s_waitcnt lgkmcnt(0)
	v_fma_f64 v[5:6], v[5:6], v[7:8], v[67:68]
	ds_bpermute_b32 v7, v2, v3 offset:4
	ds_bpermute_b32 v8, v2, v4 offset:4
	s_waitcnt lgkmcnt(0)
	v_fma_f64 v[5:6], v[9:10], v[7:8], v[5:6]
	ds_bpermute_b32 v7, v2, v3 offset:8
	ds_bpermute_b32 v8, v2, v4 offset:8
	s_waitcnt vmcnt(8)
	v_mul_f64 v[9:10], v[17:18], v[19:20]
	s_waitcnt lgkmcnt(0)
	v_fma_f64 v[5:6], v[11:12], v[7:8], v[5:6]
	ds_bpermute_b32 v7, v2, v3 offset:12
	ds_bpermute_b32 v8, v2, v4 offset:12
	s_waitcnt vmcnt(6)
	v_mul_f64 v[11:12], v[21:22], v[23:24]
	;; [unrolled: 6-line block ×4, first 2 shown]
	s_waitcnt lgkmcnt(0)
	v_fma_f64 v[5:6], v[9:10], v[7:8], v[5:6]
	ds_bpermute_b32 v7, v2, v3 offset:24
	ds_bpermute_b32 v8, v2, v4 offset:24
	;; [unrolled: 1-line block ×4, first 2 shown]
	s_waitcnt lgkmcnt(2)
	v_fma_f64 v[5:6], v[11:12], v[7:8], v[5:6]
	s_waitcnt vmcnt(0)
	v_mul_f64 v[7:8], v[33:34], v[37:38]
	s_waitcnt lgkmcnt(0)
	v_fma_f64 v[37:38], v[7:8], v[3:4], v[5:6]
.LBB132_80:                             ;   in Loop: Header=BB132_52 Depth=1
	v_add_co_u32 v72, vcc_lo, v72, s12
	v_add_co_ci_u32_e64 v73, null, s13, v73, vcc_lo
	v_add_co_u32 v74, vcc_lo, v74, s12
	v_add_co_ci_u32_e64 v75, null, s13, v75, vcc_lo
	v_add_co_u32 v71, vcc_lo, v71, s1
	v_add_co_ci_u32_e64 v104, null, 0, v104, vcc_lo
	v_add_co_u32 v35, vcc_lo, v35, s12
	v_add_co_ci_u32_e64 v36, null, s13, v36, vcc_lo
	v_add_co_u32 v39, vcc_lo, v39, s12
	v_add_co_ci_u32_e64 v40, null, s13, v40, vcc_lo
	v_add_co_u32 v41, vcc_lo, v41, s12
	v_add_co_ci_u32_e64 v42, null, s13, v42, vcc_lo
	v_add_co_u32 v43, vcc_lo, v43, s12
	v_add_co_ci_u32_e64 v44, null, s13, v44, vcc_lo
	v_add_co_u32 v45, vcc_lo, v45, s12
	v_add_co_ci_u32_e64 v46, null, s13, v46, vcc_lo
	v_add_co_u32 v47, vcc_lo, v47, s12
	v_add_co_ci_u32_e64 v48, null, s13, v48, vcc_lo
	v_add_co_u32 v49, vcc_lo, v49, s12
	v_add_co_ci_u32_e64 v50, null, s13, v50, vcc_lo
	v_add_co_u32 v51, vcc_lo, v51, s12
	v_add_co_ci_u32_e64 v52, null, s13, v52, vcc_lo
	v_add_co_u32 v53, vcc_lo, v53, s12
	v_add_co_ci_u32_e64 v54, null, s13, v54, vcc_lo
	v_add_co_u32 v55, vcc_lo, v55, s12
	v_add_co_ci_u32_e64 v56, null, s13, v56, vcc_lo
	v_add_co_u32 v57, vcc_lo, v57, s12
	v_add_co_ci_u32_e64 v58, null, s13, v58, vcc_lo
	v_add_co_u32 v59, vcc_lo, v59, s12
	v_add_co_ci_u32_e64 v60, null, s13, v60, vcc_lo
	v_add_co_u32 v61, vcc_lo, v61, s12
	v_add_co_ci_u32_e64 v62, null, s13, v62, vcc_lo
	v_add_co_u32 v63, vcc_lo, v63, s12
	v_add_co_ci_u32_e64 v64, null, s13, v64, vcc_lo
	v_add_co_u32 v76, vcc_lo, v76, s12
	v_add_co_ci_u32_e64 v77, null, s13, v77, vcc_lo
	v_add_co_u32 v78, vcc_lo, v78, s12
	v_add_co_ci_u32_e64 v79, null, s13, v79, vcc_lo
	v_add_co_u32 v80, vcc_lo, v80, s12
	v_add_co_ci_u32_e64 v81, null, s13, v81, vcc_lo
	v_add_co_u32 v82, vcc_lo, v82, s12
	v_add_co_ci_u32_e64 v83, null, s13, v83, vcc_lo
	v_add_co_u32 v84, vcc_lo, v84, s12
	v_add_co_ci_u32_e64 v85, null, s13, v85, vcc_lo
	v_add_co_u32 v86, vcc_lo, v86, s12
	v_add_co_ci_u32_e64 v87, null, s13, v87, vcc_lo
	v_add_co_u32 v88, vcc_lo, v88, s12
	v_add_co_ci_u32_e64 v89, null, s13, v89, vcc_lo
	v_add_co_u32 v90, vcc_lo, v90, s12
	v_add_co_ci_u32_e64 v91, null, s13, v91, vcc_lo
	v_add_co_u32 v92, vcc_lo, v92, s12
	v_add_co_ci_u32_e64 v93, null, s13, v93, vcc_lo
	v_add_co_u32 v94, vcc_lo, v94, s12
	v_add_co_ci_u32_e64 v95, null, s13, v95, vcc_lo
	v_add_co_u32 v96, vcc_lo, v96, s12
	s_add_u32 s22, s22, s1
	v_add_co_ci_u32_e64 v97, null, s13, v97, vcc_lo
	v_add_co_u32 v98, vcc_lo, v98, s12
	s_addc_u32 s23, s23, 0
	v_add_co_ci_u32_e64 v99, null, s13, v99, vcc_lo
	v_add_co_u32 v100, vcc_lo, v100, s12
	v_cmp_ge_i64_e64 s7, s[22:23], s[8:9]
	v_add_co_ci_u32_e64 v101, null, s13, v101, vcc_lo
	v_add_co_u32 v102, vcc_lo, v102, s12
	v_add_co_ci_u32_e64 v103, null, s13, v103, vcc_lo
	s_add_u32 s14, s14, s1
	s_addc_u32 s15, 0, s15
	s_and_b32 vcc_lo, exec_lo, s7
	s_cbranch_vccnz .LBB132_82
; %bb.81:                               ;   in Loop: Header=BB132_52 Depth=1
	v_mov_b32_e32 v68, v38
	v_mov_b32_e32 v67, v37
	s_branch .LBB132_52
.LBB132_82:
	s_mov_b32 s7, 0
	s_lshl_b64 s[6:7], s[6:7], 5
	s_waitcnt lgkmcnt(0)
	s_cmp_lg_u64 s[2:3], 0
	v_or_b32_e32 v3, s6, v0
	v_mov_b32_e32 v4, s7
	s_cselect_b32 s1, -1, 0
	v_cmp_gt_i64_e32 vcc_lo, s[10:11], v[3:4]
	s_and_b32 s1, vcc_lo, s1
	s_and_saveexec_b32 s6, s1
	s_cbranch_execz .LBB132_84
; %bb.83:
	s_load_dword s1, s[4:5], 0x4c
	v_mov_b32_e32 v2, 0
	s_waitcnt lgkmcnt(0)
	s_lshr_b32 s1, s1, 16
	v_mad_u64_u32 v[0:1], null, s1, s0, v[1:2]
	v_mul_lo_u32 v2, v1, s10
	v_mul_lo_u32 v5, v0, s11
	v_mad_u64_u32 v[0:1], null, v0, s10, 0
	v_add3_u32 v1, v1, v5, v2
	v_lshlrev_b64 v[2:3], 3, v[3:4]
	v_lshlrev_b64 v[0:1], 3, v[0:1]
	v_add_co_u32 v0, vcc_lo, s2, v0
	v_add_co_ci_u32_e64 v1, null, s3, v1, vcc_lo
	v_add_co_u32 v0, vcc_lo, v0, v2
	v_add_co_ci_u32_e64 v1, null, v1, v3, vcc_lo
	global_store_dwordx2 v[0:1], v[37:38], off
.LBB132_84:
	s_endpgm
	.section	.rodata,"a",@progbits
	.p2align	6, 0x0
	.amdhsa_kernel _ZN2at6native12_GLOBAL__N_135GammaBetaBackwardCUDAKernelTemplateIddLj32ELj1ELj8ELb1ELb0ELb1EEEvllPKT_S5_PKT0_S8_PS3_S9_
		.amdhsa_group_segment_fixed_size 0
		.amdhsa_private_segment_fixed_size 0
		.amdhsa_kernarg_size 320
		.amdhsa_user_sgpr_count 6
		.amdhsa_user_sgpr_private_segment_buffer 1
		.amdhsa_user_sgpr_dispatch_ptr 0
		.amdhsa_user_sgpr_queue_ptr 0
		.amdhsa_user_sgpr_kernarg_segment_ptr 1
		.amdhsa_user_sgpr_dispatch_id 0
		.amdhsa_user_sgpr_flat_scratch_init 0
		.amdhsa_user_sgpr_private_segment_size 0
		.amdhsa_wavefront_size32 1
		.amdhsa_uses_dynamic_stack 0
		.amdhsa_system_sgpr_private_segment_wavefront_offset 0
		.amdhsa_system_sgpr_workgroup_id_x 1
		.amdhsa_system_sgpr_workgroup_id_y 1
		.amdhsa_system_sgpr_workgroup_id_z 0
		.amdhsa_system_sgpr_workgroup_info 0
		.amdhsa_system_vgpr_workitem_id 1
		.amdhsa_next_free_vgpr 107
		.amdhsa_next_free_sgpr 30
		.amdhsa_reserve_vcc 1
		.amdhsa_reserve_flat_scratch 0
		.amdhsa_float_round_mode_32 0
		.amdhsa_float_round_mode_16_64 0
		.amdhsa_float_denorm_mode_32 3
		.amdhsa_float_denorm_mode_16_64 3
		.amdhsa_dx10_clamp 1
		.amdhsa_ieee_mode 1
		.amdhsa_fp16_overflow 0
		.amdhsa_workgroup_processor_mode 1
		.amdhsa_memory_ordered 1
		.amdhsa_forward_progress 1
		.amdhsa_shared_vgpr_count 0
		.amdhsa_exception_fp_ieee_invalid_op 0
		.amdhsa_exception_fp_denorm_src 0
		.amdhsa_exception_fp_ieee_div_zero 0
		.amdhsa_exception_fp_ieee_overflow 0
		.amdhsa_exception_fp_ieee_underflow 0
		.amdhsa_exception_fp_ieee_inexact 0
		.amdhsa_exception_int_div_zero 0
	.end_amdhsa_kernel
	.section	.text._ZN2at6native12_GLOBAL__N_135GammaBetaBackwardCUDAKernelTemplateIddLj32ELj1ELj8ELb1ELb0ELb1EEEvllPKT_S5_PKT0_S8_PS3_S9_,"axG",@progbits,_ZN2at6native12_GLOBAL__N_135GammaBetaBackwardCUDAKernelTemplateIddLj32ELj1ELj8ELb1ELb0ELb1EEEvllPKT_S5_PKT0_S8_PS3_S9_,comdat
.Lfunc_end132:
	.size	_ZN2at6native12_GLOBAL__N_135GammaBetaBackwardCUDAKernelTemplateIddLj32ELj1ELj8ELb1ELb0ELb1EEEvllPKT_S5_PKT0_S8_PS3_S9_, .Lfunc_end132-_ZN2at6native12_GLOBAL__N_135GammaBetaBackwardCUDAKernelTemplateIddLj32ELj1ELj8ELb1ELb0ELb1EEEvllPKT_S5_PKT0_S8_PS3_S9_
                                        ; -- End function
	.set _ZN2at6native12_GLOBAL__N_135GammaBetaBackwardCUDAKernelTemplateIddLj32ELj1ELj8ELb1ELb0ELb1EEEvllPKT_S5_PKT0_S8_PS3_S9_.num_vgpr, 107
	.set _ZN2at6native12_GLOBAL__N_135GammaBetaBackwardCUDAKernelTemplateIddLj32ELj1ELj8ELb1ELb0ELb1EEEvllPKT_S5_PKT0_S8_PS3_S9_.num_agpr, 0
	.set _ZN2at6native12_GLOBAL__N_135GammaBetaBackwardCUDAKernelTemplateIddLj32ELj1ELj8ELb1ELb0ELb1EEEvllPKT_S5_PKT0_S8_PS3_S9_.numbered_sgpr, 30
	.set _ZN2at6native12_GLOBAL__N_135GammaBetaBackwardCUDAKernelTemplateIddLj32ELj1ELj8ELb1ELb0ELb1EEEvllPKT_S5_PKT0_S8_PS3_S9_.num_named_barrier, 0
	.set _ZN2at6native12_GLOBAL__N_135GammaBetaBackwardCUDAKernelTemplateIddLj32ELj1ELj8ELb1ELb0ELb1EEEvllPKT_S5_PKT0_S8_PS3_S9_.private_seg_size, 0
	.set _ZN2at6native12_GLOBAL__N_135GammaBetaBackwardCUDAKernelTemplateIddLj32ELj1ELj8ELb1ELb0ELb1EEEvllPKT_S5_PKT0_S8_PS3_S9_.uses_vcc, 1
	.set _ZN2at6native12_GLOBAL__N_135GammaBetaBackwardCUDAKernelTemplateIddLj32ELj1ELj8ELb1ELb0ELb1EEEvllPKT_S5_PKT0_S8_PS3_S9_.uses_flat_scratch, 0
	.set _ZN2at6native12_GLOBAL__N_135GammaBetaBackwardCUDAKernelTemplateIddLj32ELj1ELj8ELb1ELb0ELb1EEEvllPKT_S5_PKT0_S8_PS3_S9_.has_dyn_sized_stack, 0
	.set _ZN2at6native12_GLOBAL__N_135GammaBetaBackwardCUDAKernelTemplateIddLj32ELj1ELj8ELb1ELb0ELb1EEEvllPKT_S5_PKT0_S8_PS3_S9_.has_recursion, 0
	.set _ZN2at6native12_GLOBAL__N_135GammaBetaBackwardCUDAKernelTemplateIddLj32ELj1ELj8ELb1ELb0ELb1EEEvllPKT_S5_PKT0_S8_PS3_S9_.has_indirect_call, 0
	.section	.AMDGPU.csdata,"",@progbits
; Kernel info:
; codeLenInByte = 8176
; TotalNumSgprs: 32
; NumVgprs: 107
; ScratchSize: 0
; MemoryBound: 1
; FloatMode: 240
; IeeeMode: 1
; LDSByteSize: 0 bytes/workgroup (compile time only)
; SGPRBlocks: 0
; VGPRBlocks: 13
; NumSGPRsForWavesPerEU: 32
; NumVGPRsForWavesPerEU: 107
; Occupancy: 9
; WaveLimiterHint : 0
; COMPUTE_PGM_RSRC2:SCRATCH_EN: 0
; COMPUTE_PGM_RSRC2:USER_SGPR: 6
; COMPUTE_PGM_RSRC2:TRAP_HANDLER: 0
; COMPUTE_PGM_RSRC2:TGID_X_EN: 1
; COMPUTE_PGM_RSRC2:TGID_Y_EN: 1
; COMPUTE_PGM_RSRC2:TGID_Z_EN: 0
; COMPUTE_PGM_RSRC2:TIDIG_COMP_CNT: 1
	.section	.text._ZN2at6native12_GLOBAL__N_135GammaBetaBackwardCUDAKernelTemplateIddLj32ELj8ELj64ELb0ELb1ELb1EEEvllPKT_S5_PKT0_S8_PS3_S9_,"axG",@progbits,_ZN2at6native12_GLOBAL__N_135GammaBetaBackwardCUDAKernelTemplateIddLj32ELj8ELj64ELb0ELb1ELb1EEEvllPKT_S5_PKT0_S8_PS3_S9_,comdat
	.globl	_ZN2at6native12_GLOBAL__N_135GammaBetaBackwardCUDAKernelTemplateIddLj32ELj8ELj64ELb0ELb1ELb1EEEvllPKT_S5_PKT0_S8_PS3_S9_ ; -- Begin function _ZN2at6native12_GLOBAL__N_135GammaBetaBackwardCUDAKernelTemplateIddLj32ELj8ELj64ELb0ELb1ELb1EEEvllPKT_S5_PKT0_S8_PS3_S9_
	.p2align	8
	.type	_ZN2at6native12_GLOBAL__N_135GammaBetaBackwardCUDAKernelTemplateIddLj32ELj8ELj64ELb0ELb1ELb1EEEvllPKT_S5_PKT0_S8_PS3_S9_,@function
_ZN2at6native12_GLOBAL__N_135GammaBetaBackwardCUDAKernelTemplateIddLj32ELj8ELj64ELb0ELb1ELb1EEEvllPKT_S5_PKT0_S8_PS3_S9_: ; @_ZN2at6native12_GLOBAL__N_135GammaBetaBackwardCUDAKernelTemplateIddLj32ELj8ELj64ELb0ELb1ELb1EEEvllPKT_S5_PKT0_S8_PS3_S9_
; %bb.0:
	s_load_dwordx4 s[8:11], s[4:5], 0x0
	s_lshl_b32 s16, s7, 6
	s_mov_b32 s17, 0
	s_waitcnt lgkmcnt(0)
	v_cmp_gt_i64_e64 s0, s[8:9], s[16:17]
	s_and_b32 vcc_lo, exec_lo, s0
	s_cbranch_vccnz .LBB133_2
; %bb.1:
	s_mov_b32 s0, s17
	s_branch .LBB133_3
.LBB133_2:
	s_mov_b32 s0, -1
.LBB133_3:
	s_load_dwordx2 s[2:3], s[4:5], 0x30
	v_mov_b32_e32 v8, 0
	v_mov_b32_e32 v9, 0
	s_andn2_b32 vcc_lo, exec_lo, s0
	s_cbranch_vccnz .LBB133_10
; %bb.4:
	s_clause 0x3
	s_load_dword s0, s[4:5], 0x4c
	s_load_dword s1, s[4:5], 0x44
	s_load_dwordx4 s[12:15], s[4:5], 0x10
	s_load_dwordx2 s[18:19], s[4:5], 0x28
	v_lshlrev_b32_e32 v4, 3, v1
	v_mov_b32_e32 v3, 0
	v_lshl_add_u32 v2, s6, 5, v0
	v_mov_b32_e32 v12, 8
	v_mov_b32_e32 v13, 4
	v_add_co_u32 v4, s4, v4, s16
	v_add_co_ci_u32_e64 v5, null, 0, 0, s4
	v_lshlrev_b64 v[8:9], 3, v[2:3]
	v_mul_lo_u32 v10, s11, v4
	v_mov_b32_e32 v14, 12
	v_mul_lo_u32 v11, s10, v5
	v_mov_b32_e32 v15, 16
	v_mov_b32_e32 v16, 20
	;; [unrolled: 1-line block ×3, first 2 shown]
	s_waitcnt lgkmcnt(0)
	s_and_b32 s0, s0, 0xffff
	s_lshl_b32 s4, s1, 6
	v_mad_u32_u24 v6, v1, s0, v0
	s_mul_i32 s1, s11, s4
	s_mul_hi_u32 s7, s10, s4
	v_mov_b32_e32 v18, 28
	s_mov_b32 s5, 0
	v_and_b32_e32 v21, 31, v6
	v_mad_u64_u32 v[6:7], null, s10, v4, 0
	s_add_i32 s21, s7, s1
	s_mul_i32 s20, s10, s4
	v_add_co_u32 v4, vcc_lo, v4, v21
	v_add_co_ci_u32_e64 v5, null, 0, v5, vcc_lo
	v_add3_u32 v7, v7, v11, v10
	v_cmp_gt_u32_e64 s0, 8, v21
	s_lshl_b64 s[20:21], s[20:21], 3
	v_lshlrev_b64 v[10:11], 3, v[4:5]
	s_lshl_b64 s[10:11], s[10:11], 3
	v_lshlrev_b64 v[19:20], 3, v[6:7]
	v_add_co_u32 v6, vcc_lo, s18, v10
	v_add_co_ci_u32_e64 v7, null, s19, v11, vcc_lo
	v_add_co_u32 v2, vcc_lo, v19, v8
	v_add_co_ci_u32_e64 v19, null, v20, v9, vcc_lo
	v_mov_b32_e32 v8, 0
	v_mov_b32_e32 v9, 0
	s_lshl_b64 s[18:19], s[4:5], 3
	s_branch .LBB133_7
.LBB133_5:                              ;   in Loop: Header=BB133_7 Depth=1
	s_or_b32 exec_lo, exec_lo, s5
.LBB133_6:                              ;   in Loop: Header=BB133_7 Depth=1
	s_or_b32 exec_lo, exec_lo, s1
	v_add_co_u32 v20, vcc_lo, s12, v2
	v_add_co_ci_u32_e64 v21, null, s13, v19, vcc_lo
	v_add_co_u32 v22, vcc_lo, s14, v2
	v_add_co_ci_u32_e64 v23, null, s15, v19, vcc_lo
	global_load_dwordx2 v[24:25], v[20:21], off
	global_load_dwordx2 v[26:27], v[22:23], off
	v_add_co_u32 v20, vcc_lo, v20, s10
	v_add_co_ci_u32_e64 v21, null, s11, v21, vcc_lo
	v_add_co_u32 v22, vcc_lo, v22, s10
	v_add_co_ci_u32_e64 v23, null, s11, v23, vcc_lo
	global_load_dwordx2 v[28:29], v[20:21], off
	global_load_dwordx2 v[30:31], v[22:23], off
	;; [unrolled: 6-line block ×8, first 2 shown]
	s_add_u32 s16, s16, s4
	v_add_co_u32 v6, vcc_lo, v6, s18
	s_addc_u32 s17, s17, 0
	v_add_co_ci_u32_e64 v7, null, s19, v7, vcc_lo
	v_add_co_u32 v4, vcc_lo, v4, s4
	v_cmp_lt_i64_e64 s1, s[16:17], s[8:9]
	v_add_co_ci_u32_e64 v5, null, 0, v5, vcc_lo
	v_add_co_u32 v2, vcc_lo, v2, s20
	v_add_co_ci_u32_e64 v19, null, s21, v19, vcc_lo
	s_and_b32 vcc_lo, exec_lo, s1
	s_waitcnt vmcnt(14)
	v_mul_f64 v[24:25], v[24:25], v[26:27]
	ds_bpermute_b32 v26, v3, v10
	ds_bpermute_b32 v27, v3, v11
	s_waitcnt vmcnt(12)
	v_mul_f64 v[28:29], v[28:29], v[30:31]
	s_waitcnt lgkmcnt(0)
	v_fma_f64 v[8:9], v[24:25], v[26:27], v[8:9]
	ds_bpermute_b32 v24, v13, v10
	ds_bpermute_b32 v25, v13, v11
	s_waitcnt vmcnt(10)
	v_mul_f64 v[26:27], v[32:33], v[34:35]
	s_waitcnt lgkmcnt(0)
	v_fma_f64 v[8:9], v[28:29], v[24:25], v[8:9]
	ds_bpermute_b32 v24, v12, v10
	ds_bpermute_b32 v25, v12, v11
	s_waitcnt vmcnt(8)
	v_mul_f64 v[28:29], v[36:37], v[38:39]
	s_waitcnt lgkmcnt(0)
	v_fma_f64 v[8:9], v[26:27], v[24:25], v[8:9]
	ds_bpermute_b32 v24, v14, v10
	ds_bpermute_b32 v25, v14, v11
	s_waitcnt vmcnt(6)
	v_mul_f64 v[26:27], v[40:41], v[42:43]
	s_waitcnt vmcnt(0)
	v_mul_f64 v[20:21], v[20:21], v[22:23]
	s_waitcnt lgkmcnt(0)
	v_fma_f64 v[8:9], v[28:29], v[24:25], v[8:9]
	ds_bpermute_b32 v24, v15, v10
	ds_bpermute_b32 v25, v15, v11
	v_mul_f64 v[28:29], v[44:45], v[46:47]
	s_waitcnt lgkmcnt(0)
	v_fma_f64 v[8:9], v[26:27], v[24:25], v[8:9]
	ds_bpermute_b32 v24, v16, v10
	ds_bpermute_b32 v25, v16, v11
	;; [unrolled: 5-line block ×3, first 2 shown]
	ds_bpermute_b32 v10, v18, v10
	ds_bpermute_b32 v11, v18, v11
	s_waitcnt lgkmcnt(2)
	v_fma_f64 v[8:9], v[26:27], v[24:25], v[8:9]
	s_waitcnt lgkmcnt(0)
	v_fma_f64 v[8:9], v[20:21], v[10:11], v[8:9]
	s_cbranch_vccz .LBB133_10
.LBB133_7:                              ; =>This Inner Loop Header: Depth=1
	v_mov_b32_e32 v10, 0
	v_mov_b32_e32 v11, 0
	s_and_saveexec_b32 s1, s0
	s_cbranch_execz .LBB133_6
; %bb.8:                                ;   in Loop: Header=BB133_7 Depth=1
	v_mov_b32_e32 v10, 0
	v_mov_b32_e32 v11, 0
	s_mov_b32 s5, exec_lo
	v_cmpx_gt_i64_e64 s[8:9], v[4:5]
	s_cbranch_execz .LBB133_5
; %bb.9:                                ;   in Loop: Header=BB133_7 Depth=1
	global_load_dwordx2 v[10:11], v[6:7], off
	s_branch .LBB133_5
.LBB133_10:
	v_mad_u32_u24 v3, v1, 33, v0
	v_lshrrev_b32_e32 v4, 5, v0
	v_mov_b32_e32 v2, 0
	s_mov_b32 s0, exec_lo
	v_lshl_add_u32 v5, v3, 3, 0
	v_add_nc_u32_e32 v1, v4, v1
	v_mov_b32_e32 v3, v2
	ds_write_b64 v5, v[8:9]
	ds_write_b64 v5, v[2:3] offset:2112
	s_waitcnt lgkmcnt(0)
	s_barrier
	buffer_gl0_inv
	v_cmpx_gt_u32_e32 32, v1
	s_cbranch_execz .LBB133_30
; %bb.11:
	v_and_b32_e32 v2, 31, v0
	v_cmp_gt_u32_e32 vcc_lo, 8, v2
	v_mul_u32_u24_e32 v5, 33, v2
                                        ; implicit-def: $vgpr2_vgpr3
	s_and_saveexec_b32 s0, vcc_lo
	s_cbranch_execz .LBB133_13
; %bb.12:
	v_lshlrev_b32_e32 v2, 3, v1
	v_lshlrev_b32_e32 v3, 3, v5
	v_add3_u32 v2, 0, v2, v3
	ds_read_b64 v[2:3], v2
.LBB133_13:
	s_or_b32 exec_lo, exec_lo, s0
	v_mbcnt_lo_u32_b32 v4, -1, 0
	s_cmp_lg_u64 s[2:3], 0
	s_mov_b32 s7, 0
	s_cselect_b32 s1, -1, 0
	s_lshl_b64 s[6:7], s[6:7], 8
	v_xor_b32_e32 v6, 4, v4
	v_cmp_gt_i32_e64 s0, 32, v6
	v_cndmask_b32_e64 v6, v4, v6, s0
	v_lshlrev_b32_e32 v6, 2, v6
	s_waitcnt lgkmcnt(0)
	ds_bpermute_b32 v7, v6, v2
	ds_bpermute_b32 v8, v6, v3
	s_waitcnt lgkmcnt(0)
	v_add_f64 v[2:3], v[2:3], v[7:8]
	v_xor_b32_e32 v7, 2, v4
	v_cmp_gt_i32_e64 s0, 32, v7
	v_cndmask_b32_e64 v7, v4, v7, s0
	v_lshlrev_b32_e32 v7, 2, v7
	ds_bpermute_b32 v8, v7, v2
	ds_bpermute_b32 v9, v7, v3
	s_waitcnt lgkmcnt(0)
	v_add_f64 v[2:3], v[2:3], v[8:9]
	v_xor_b32_e32 v8, 1, v4
	v_cmp_gt_i32_e64 s0, 32, v8
	v_cndmask_b32_e64 v4, v4, v8, s0
	v_cmp_eq_u32_e64 s0, 0, v0
	v_lshlrev_b32_e32 v8, 2, v4
	s_and_b32 s4, s0, s1
	s_add_u32 s1, s2, s6
	s_addc_u32 s2, s3, s7
	ds_bpermute_b32 v9, v8, v2
	ds_bpermute_b32 v10, v8, v3
	s_waitcnt lgkmcnt(0)
	v_add_f64 v[3:4], v[2:3], v[9:10]
	s_and_saveexec_b32 s3, s4
	s_cbranch_execz .LBB133_15
; %bb.14:
	v_mov_b32_e32 v2, 0
	v_lshlrev_b64 v[9:10], 3, v[1:2]
	v_add_co_u32 v9, s0, s1, v9
	v_add_co_ci_u32_e64 v10, null, s2, v10, s0
	global_store_dwordx2 v[9:10], v[3:4], off
.LBB133_15:
	s_or_b32 exec_lo, exec_lo, s3
	v_cmp_gt_u32_e64 s0, 24, v1
	s_and_b32 exec_lo, exec_lo, s0
	s_cbranch_execz .LBB133_30
; %bb.16:
	s_and_saveexec_b32 s0, vcc_lo
	s_cbranch_execz .LBB133_18
; %bb.17:
	v_lshlrev_b32_e32 v0, 3, v1
	v_lshlrev_b32_e32 v2, 3, v5
	v_add3_u32 v0, 0, v0, v2
	ds_read_b64 v[3:4], v0 offset:64
.LBB133_18:
	s_or_b32 exec_lo, exec_lo, s0
	s_waitcnt lgkmcnt(0)
	ds_bpermute_b32 v9, v6, v3
	ds_bpermute_b32 v10, v6, v4
	s_waitcnt lgkmcnt(0)
	v_add_f64 v[2:3], v[3:4], v[9:10]
	ds_bpermute_b32 v9, v7, v2
	ds_bpermute_b32 v10, v7, v3
	s_waitcnt lgkmcnt(0)
	v_add_f64 v[2:3], v[2:3], v[9:10]
	;; [unrolled: 4-line block ×3, first 2 shown]
	s_and_saveexec_b32 s3, s4
	s_cbranch_execz .LBB133_20
; %bb.19:
	v_mov_b32_e32 v2, 0
	v_lshlrev_b64 v[9:10], 3, v[1:2]
	v_add_co_u32 v9, s0, s1, v9
	v_add_co_ci_u32_e64 v10, null, s2, v10, s0
	global_store_dwordx2 v[9:10], v[3:4], off offset:64
.LBB133_20:
	s_or_b32 exec_lo, exec_lo, s3
	v_cmp_gt_u32_e64 s0, 16, v1
	s_and_b32 exec_lo, exec_lo, s0
	s_cbranch_execz .LBB133_30
; %bb.21:
	s_and_saveexec_b32 s0, vcc_lo
	s_cbranch_execz .LBB133_23
; %bb.22:
	v_lshlrev_b32_e32 v0, 3, v1
	v_lshlrev_b32_e32 v2, 3, v5
	v_add3_u32 v0, 0, v0, v2
	ds_read_b64 v[3:4], v0 offset:128
.LBB133_23:
	s_or_b32 exec_lo, exec_lo, s0
	s_waitcnt lgkmcnt(0)
	ds_bpermute_b32 v9, v6, v3
	ds_bpermute_b32 v10, v6, v4
	s_waitcnt lgkmcnt(0)
	v_add_f64 v[2:3], v[3:4], v[9:10]
	ds_bpermute_b32 v9, v7, v2
	ds_bpermute_b32 v10, v7, v3
	s_waitcnt lgkmcnt(0)
	v_add_f64 v[2:3], v[2:3], v[9:10]
	ds_bpermute_b32 v9, v8, v2
	ds_bpermute_b32 v10, v8, v3
	s_waitcnt lgkmcnt(0)
	v_add_f64 v[3:4], v[2:3], v[9:10]
	s_and_saveexec_b32 s3, s4
	s_cbranch_execz .LBB133_25
; %bb.24:
	v_mov_b32_e32 v2, 0
	v_lshlrev_b64 v[9:10], 3, v[1:2]
	v_add_co_u32 v9, s0, s1, v9
	v_add_co_ci_u32_e64 v10, null, s2, v10, s0
	global_store_dwordx2 v[9:10], v[3:4], off offset:128
.LBB133_25:
	s_or_b32 exec_lo, exec_lo, s3
	v_cmp_gt_u32_e64 s0, 8, v1
	s_and_b32 exec_lo, exec_lo, s0
	s_cbranch_execz .LBB133_30
; %bb.26:
	s_and_saveexec_b32 s0, vcc_lo
	s_cbranch_execz .LBB133_28
; %bb.27:
	v_lshlrev_b32_e32 v0, 3, v1
	v_lshlrev_b32_e32 v2, 3, v5
	v_add3_u32 v0, 0, v0, v2
	ds_read_b64 v[3:4], v0 offset:192
.LBB133_28:
	s_or_b32 exec_lo, exec_lo, s0
	s_waitcnt lgkmcnt(0)
	ds_bpermute_b32 v5, v6, v3
	ds_bpermute_b32 v6, v6, v4
	s_waitcnt lgkmcnt(0)
	v_add_f64 v[2:3], v[3:4], v[5:6]
	ds_bpermute_b32 v4, v7, v2
	ds_bpermute_b32 v5, v7, v3
	s_waitcnt lgkmcnt(0)
	v_add_f64 v[2:3], v[2:3], v[4:5]
	ds_bpermute_b32 v4, v8, v2
	ds_bpermute_b32 v5, v8, v3
	s_and_saveexec_b32 s0, s4
	s_xor_b32 s0, exec_lo, s0
	s_cbranch_execz .LBB133_30
; %bb.29:
	s_waitcnt lgkmcnt(0)
	v_add_f64 v[3:4], v[2:3], v[4:5]
	v_mov_b32_e32 v2, 0
	v_lshlrev_b64 v[0:1], 3, v[1:2]
	v_add_co_u32 v0, vcc_lo, s1, v0
	v_add_co_ci_u32_e64 v1, null, s2, v1, vcc_lo
	global_store_dwordx2 v[0:1], v[3:4], off offset:192
.LBB133_30:
	s_endpgm
	.section	.rodata,"a",@progbits
	.p2align	6, 0x0
	.amdhsa_kernel _ZN2at6native12_GLOBAL__N_135GammaBetaBackwardCUDAKernelTemplateIddLj32ELj8ELj64ELb0ELb1ELb1EEEvllPKT_S5_PKT0_S8_PS3_S9_
		.amdhsa_group_segment_fixed_size 0
		.amdhsa_private_segment_fixed_size 0
		.amdhsa_kernarg_size 320
		.amdhsa_user_sgpr_count 6
		.amdhsa_user_sgpr_private_segment_buffer 1
		.amdhsa_user_sgpr_dispatch_ptr 0
		.amdhsa_user_sgpr_queue_ptr 0
		.amdhsa_user_sgpr_kernarg_segment_ptr 1
		.amdhsa_user_sgpr_dispatch_id 0
		.amdhsa_user_sgpr_flat_scratch_init 0
		.amdhsa_user_sgpr_private_segment_size 0
		.amdhsa_wavefront_size32 1
		.amdhsa_uses_dynamic_stack 0
		.amdhsa_system_sgpr_private_segment_wavefront_offset 0
		.amdhsa_system_sgpr_workgroup_id_x 1
		.amdhsa_system_sgpr_workgroup_id_y 1
		.amdhsa_system_sgpr_workgroup_id_z 0
		.amdhsa_system_sgpr_workgroup_info 0
		.amdhsa_system_vgpr_workitem_id 1
		.amdhsa_next_free_vgpr 52
		.amdhsa_next_free_sgpr 22
		.amdhsa_reserve_vcc 1
		.amdhsa_reserve_flat_scratch 0
		.amdhsa_float_round_mode_32 0
		.amdhsa_float_round_mode_16_64 0
		.amdhsa_float_denorm_mode_32 3
		.amdhsa_float_denorm_mode_16_64 3
		.amdhsa_dx10_clamp 1
		.amdhsa_ieee_mode 1
		.amdhsa_fp16_overflow 0
		.amdhsa_workgroup_processor_mode 1
		.amdhsa_memory_ordered 1
		.amdhsa_forward_progress 1
		.amdhsa_shared_vgpr_count 0
		.amdhsa_exception_fp_ieee_invalid_op 0
		.amdhsa_exception_fp_denorm_src 0
		.amdhsa_exception_fp_ieee_div_zero 0
		.amdhsa_exception_fp_ieee_overflow 0
		.amdhsa_exception_fp_ieee_underflow 0
		.amdhsa_exception_fp_ieee_inexact 0
		.amdhsa_exception_int_div_zero 0
	.end_amdhsa_kernel
	.section	.text._ZN2at6native12_GLOBAL__N_135GammaBetaBackwardCUDAKernelTemplateIddLj32ELj8ELj64ELb0ELb1ELb1EEEvllPKT_S5_PKT0_S8_PS3_S9_,"axG",@progbits,_ZN2at6native12_GLOBAL__N_135GammaBetaBackwardCUDAKernelTemplateIddLj32ELj8ELj64ELb0ELb1ELb1EEEvllPKT_S5_PKT0_S8_PS3_S9_,comdat
.Lfunc_end133:
	.size	_ZN2at6native12_GLOBAL__N_135GammaBetaBackwardCUDAKernelTemplateIddLj32ELj8ELj64ELb0ELb1ELb1EEEvllPKT_S5_PKT0_S8_PS3_S9_, .Lfunc_end133-_ZN2at6native12_GLOBAL__N_135GammaBetaBackwardCUDAKernelTemplateIddLj32ELj8ELj64ELb0ELb1ELb1EEEvllPKT_S5_PKT0_S8_PS3_S9_
                                        ; -- End function
	.set _ZN2at6native12_GLOBAL__N_135GammaBetaBackwardCUDAKernelTemplateIddLj32ELj8ELj64ELb0ELb1ELb1EEEvllPKT_S5_PKT0_S8_PS3_S9_.num_vgpr, 52
	.set _ZN2at6native12_GLOBAL__N_135GammaBetaBackwardCUDAKernelTemplateIddLj32ELj8ELj64ELb0ELb1ELb1EEEvllPKT_S5_PKT0_S8_PS3_S9_.num_agpr, 0
	.set _ZN2at6native12_GLOBAL__N_135GammaBetaBackwardCUDAKernelTemplateIddLj32ELj8ELj64ELb0ELb1ELb1EEEvllPKT_S5_PKT0_S8_PS3_S9_.numbered_sgpr, 22
	.set _ZN2at6native12_GLOBAL__N_135GammaBetaBackwardCUDAKernelTemplateIddLj32ELj8ELj64ELb0ELb1ELb1EEEvllPKT_S5_PKT0_S8_PS3_S9_.num_named_barrier, 0
	.set _ZN2at6native12_GLOBAL__N_135GammaBetaBackwardCUDAKernelTemplateIddLj32ELj8ELj64ELb0ELb1ELb1EEEvllPKT_S5_PKT0_S8_PS3_S9_.private_seg_size, 0
	.set _ZN2at6native12_GLOBAL__N_135GammaBetaBackwardCUDAKernelTemplateIddLj32ELj8ELj64ELb0ELb1ELb1EEEvllPKT_S5_PKT0_S8_PS3_S9_.uses_vcc, 1
	.set _ZN2at6native12_GLOBAL__N_135GammaBetaBackwardCUDAKernelTemplateIddLj32ELj8ELj64ELb0ELb1ELb1EEEvllPKT_S5_PKT0_S8_PS3_S9_.uses_flat_scratch, 0
	.set _ZN2at6native12_GLOBAL__N_135GammaBetaBackwardCUDAKernelTemplateIddLj32ELj8ELj64ELb0ELb1ELb1EEEvllPKT_S5_PKT0_S8_PS3_S9_.has_dyn_sized_stack, 0
	.set _ZN2at6native12_GLOBAL__N_135GammaBetaBackwardCUDAKernelTemplateIddLj32ELj8ELj64ELb0ELb1ELb1EEEvllPKT_S5_PKT0_S8_PS3_S9_.has_recursion, 0
	.set _ZN2at6native12_GLOBAL__N_135GammaBetaBackwardCUDAKernelTemplateIddLj32ELj8ELj64ELb0ELb1ELb1EEEvllPKT_S5_PKT0_S8_PS3_S9_.has_indirect_call, 0
	.section	.AMDGPU.csdata,"",@progbits
; Kernel info:
; codeLenInByte = 2124
; TotalNumSgprs: 24
; NumVgprs: 52
; ScratchSize: 0
; MemoryBound: 0
; FloatMode: 240
; IeeeMode: 1
; LDSByteSize: 0 bytes/workgroup (compile time only)
; SGPRBlocks: 0
; VGPRBlocks: 6
; NumSGPRsForWavesPerEU: 24
; NumVGPRsForWavesPerEU: 52
; Occupancy: 16
; WaveLimiterHint : 0
; COMPUTE_PGM_RSRC2:SCRATCH_EN: 0
; COMPUTE_PGM_RSRC2:USER_SGPR: 6
; COMPUTE_PGM_RSRC2:TRAP_HANDLER: 0
; COMPUTE_PGM_RSRC2:TGID_X_EN: 1
; COMPUTE_PGM_RSRC2:TGID_Y_EN: 1
; COMPUTE_PGM_RSRC2:TGID_Z_EN: 0
; COMPUTE_PGM_RSRC2:TIDIG_COMP_CNT: 1
	.section	.text._ZN2at6native12_GLOBAL__N_135GammaBetaBackwardCUDAKernelTemplateIddLj32ELj8ELj64ELb0ELb0ELb1EEEvllPKT_S5_PKT0_S8_PS3_S9_,"axG",@progbits,_ZN2at6native12_GLOBAL__N_135GammaBetaBackwardCUDAKernelTemplateIddLj32ELj8ELj64ELb0ELb0ELb1EEEvllPKT_S5_PKT0_S8_PS3_S9_,comdat
	.globl	_ZN2at6native12_GLOBAL__N_135GammaBetaBackwardCUDAKernelTemplateIddLj32ELj8ELj64ELb0ELb0ELb1EEEvllPKT_S5_PKT0_S8_PS3_S9_ ; -- Begin function _ZN2at6native12_GLOBAL__N_135GammaBetaBackwardCUDAKernelTemplateIddLj32ELj8ELj64ELb0ELb0ELb1EEEvllPKT_S5_PKT0_S8_PS3_S9_
	.p2align	8
	.type	_ZN2at6native12_GLOBAL__N_135GammaBetaBackwardCUDAKernelTemplateIddLj32ELj8ELj64ELb0ELb0ELb1EEEvllPKT_S5_PKT0_S8_PS3_S9_,@function
_ZN2at6native12_GLOBAL__N_135GammaBetaBackwardCUDAKernelTemplateIddLj32ELj8ELj64ELb0ELb0ELb1EEEvllPKT_S5_PKT0_S8_PS3_S9_: ; @_ZN2at6native12_GLOBAL__N_135GammaBetaBackwardCUDAKernelTemplateIddLj32ELj8ELj64ELb0ELb0ELb1EEEvllPKT_S5_PKT0_S8_PS3_S9_
; %bb.0:
	s_clause 0x1
	s_load_dwordx8 s[8:15], s[4:5], 0x0
	s_load_dwordx2 s[2:3], s[4:5], 0x28
	s_lshl_b32 s26, s6, 5
	s_mov_b32 s17, 0
	s_or_b32 s16, s26, 31
	s_waitcnt lgkmcnt(0)
	v_cmp_le_i64_e64 s0, s[10:11], s[16:17]
	s_lshl_b32 s16, s7, 6
	v_cmp_gt_i64_e64 s7, s[8:9], s[16:17]
	s_and_b32 vcc_lo, exec_lo, s0
	v_cndmask_b32_e64 v2, 0, 1, s7
	v_cmp_ne_u32_e64 s0, 1, v2
	s_cbranch_vccz .LBB134_48
; %bb.1:
	v_mov_b32_e32 v37, 0
	v_mov_b32_e32 v38, 0
	s_and_b32 vcc_lo, exec_lo, s0
	s_cbranch_vccnz .LBB134_49
; %bb.2:
	v_lshlrev_b32_e32 v43, 3, v1
	v_mov_b32_e32 v2, 0
	v_add_nc_u32_e32 v5, s26, v0
	s_load_dword s1, s[4:5], 0x44
	s_add_u32 s18, s4, 64
	v_add_co_u32 v11, s0, v43, s16
	v_add_co_ci_u32_e64 v12, null, 0, 0, s0
	v_mov_b32_e32 v6, v2
	v_mul_lo_u32 v7, s11, v11
	v_mad_u64_u32 v[3:4], null, s10, v11, 0
	v_mul_lo_u32 v8, s10, v12
	v_cmp_gt_i64_e64 s0, s[10:11], v[5:6]
	v_lshlrev_b64 v[35:36], 3, v[5:6]
	s_addc_u32 s19, s5, 0
	v_mov_b32_e32 v37, 0
	v_mov_b32_e32 v38, 0
	s_mov_b64 s[24:25], s[16:17]
	v_add3_u32 v4, v4, v8, v7
	v_add_co_u32 v7, vcc_lo, v11, 7
	v_add_co_ci_u32_e64 v8, null, 0, v12, vcc_lo
	v_lshlrev_b64 v[5:6], 3, v[3:4]
	v_mul_lo_u32 v13, s11, v7
	s_waitcnt lgkmcnt(0)
	s_lshl_b32 s27, s1, 6
	v_mul_lo_u32 v14, s10, v8
	v_mad_u64_u32 v[7:8], null, s10, v7, 0
	v_add_co_u32 v44, vcc_lo, s12, v5
	v_add_co_ci_u32_e64 v45, null, s13, v6, vcc_lo
	v_add_co_u32 v9, vcc_lo, v11, 6
	v_add_co_ci_u32_e64 v10, null, 0, v12, vcc_lo
	v_add_co_u32 v46, vcc_lo, s14, v5
	v_mul_lo_u32 v15, s11, v9
	v_mul_lo_u32 v16, s10, v10
	v_mad_u64_u32 v[9:10], null, s10, v9, 0
	v_add3_u32 v8, v8, v14, v13
	v_add_co_ci_u32_e64 v47, null, s15, v6, vcc_lo
	v_add_co_u32 v13, vcc_lo, v11, 5
	v_add_co_ci_u32_e64 v14, null, 0, v12, vcc_lo
	v_add3_u32 v10, v10, v16, v15
	v_lshlrev_b64 v[5:6], 3, v[7:8]
	v_mul_lo_u32 v15, s11, v13
	v_mul_lo_u32 v14, s10, v14
	s_mul_i32 s1, s11, s27
	v_lshlrev_b64 v[7:8], 3, v[9:10]
	v_mad_u64_u32 v[9:10], null, s10, v13, 0
	v_add_co_u32 v48, vcc_lo, s12, v5
	v_add_co_ci_u32_e64 v49, null, s13, v6, vcc_lo
	v_add_co_u32 v50, vcc_lo, s14, v5
	v_add_co_ci_u32_e64 v51, null, s15, v6, vcc_lo
	v_add_co_u32 v52, vcc_lo, s12, v7
	v_add3_u32 v10, v10, v14, v15
	s_mul_hi_u32 s20, s10, s27
	v_add_co_ci_u32_e64 v53, null, s13, v8, vcc_lo
	v_add_co_u32 v13, vcc_lo, v11, 4
	s_add_i32 s21, s20, s1
	v_add_co_u32 v54, s1, s14, v7
	v_add_co_ci_u32_e64 v7, null, 0, v12, vcc_lo
	v_lshlrev_b64 v[5:6], 3, v[9:10]
	v_add_co_u32 v9, vcc_lo, v11, 3
	v_add_co_ci_u32_e64 v10, null, 0, v12, vcc_lo
	v_add_co_ci_u32_e64 v55, null, s15, v8, s1
	v_mul_lo_u32 v14, s11, v13
	v_mul_lo_u32 v15, s10, v7
	v_mad_u64_u32 v[7:8], null, s10, v13, 0
	v_mul_lo_u32 v13, s11, v9
	v_mul_lo_u32 v16, s10, v10
	v_mad_u64_u32 v[9:10], null, s10, v9, 0
	v_add_co_u32 v56, vcc_lo, s12, v5
	v_add_co_ci_u32_e64 v57, null, s13, v6, vcc_lo
	v_add3_u32 v8, v8, v15, v14
	v_add_co_u32 v58, vcc_lo, s14, v5
	v_add_co_ci_u32_e64 v59, null, s15, v6, vcc_lo
	v_add_co_u32 v11, vcc_lo, v11, 2
	v_add3_u32 v10, v10, v16, v13
	v_add_co_ci_u32_e64 v12, null, 0, v12, vcc_lo
	v_lshlrev_b64 v[5:6], 3, v[7:8]
	v_mul_lo_u32 v13, s11, v11
	v_lshlrev_b64 v[7:8], 3, v[9:10]
	v_mul_lo_u32 v12, s10, v12
	v_mad_u64_u32 v[9:10], null, s10, v11, 0
	v_add_co_u32 v60, vcc_lo, s12, v5
	v_add_co_ci_u32_e64 v61, null, s13, v6, vcc_lo
	v_add_co_u32 v62, vcc_lo, s14, v5
	v_add_co_ci_u32_e64 v63, null, s15, v6, vcc_lo
	;; [unrolled: 2-line block ×3, first 2 shown]
	v_add3_u32 v10, v10, v12, v13
	v_add_co_u32 v66, vcc_lo, s14, v7
	v_add_co_ci_u32_e64 v67, null, s15, v8, vcc_lo
	v_add_co_u32 v3, vcc_lo, v3, s10
	v_add_co_ci_u32_e64 v4, null, s11, v4, vcc_lo
	v_lshlrev_b64 v[5:6], 3, v[9:10]
	s_mul_i32 s20, s10, s27
	v_lshlrev_b64 v[3:4], 3, v[3:4]
	s_lshl_b64 s[20:21], s[20:21], 3
	s_add_u32 s22, s16, 63
	v_add_co_u32 v68, vcc_lo, s12, v5
	v_add_co_ci_u32_e64 v69, null, s13, v6, vcc_lo
	v_add_co_u32 v70, vcc_lo, s14, v5
	v_add_co_ci_u32_e64 v71, null, s15, v6, vcc_lo
	;; [unrolled: 2-line block ×4, first 2 shown]
	s_addc_u32 s23, 0, 0
	s_branch .LBB134_5
.LBB134_3:                              ;   in Loop: Header=BB134_5 Depth=1
	s_or_b32 exec_lo, exec_lo, s1
	s_waitcnt vmcnt(0)
	v_mul_f64 v[3:4], v[19:20], v[3:4]
	ds_bpermute_b32 v19, v2, v39
	ds_bpermute_b32 v20, v2, v40
	v_mul_f64 v[5:6], v[21:22], v[5:6]
	v_mul_f64 v[7:8], v[23:24], v[7:8]
	;; [unrolled: 1-line block ×3, first 2 shown]
	s_waitcnt lgkmcnt(0)
	v_fma_f64 v[3:4], v[3:4], v[19:20], v[37:38]
	ds_bpermute_b32 v19, v2, v39 offset:4
	ds_bpermute_b32 v20, v2, v40 offset:4
	s_waitcnt lgkmcnt(0)
	v_fma_f64 v[3:4], v[5:6], v[19:20], v[3:4]
	ds_bpermute_b32 v5, v2, v39 offset:8
	ds_bpermute_b32 v6, v2, v40 offset:8
	s_waitcnt lgkmcnt(0)
	v_fma_f64 v[3:4], v[7:8], v[5:6], v[3:4]
	ds_bpermute_b32 v5, v2, v39 offset:12
	ds_bpermute_b32 v6, v2, v40 offset:12
	v_mul_f64 v[7:8], v[27:28], v[11:12]
	s_waitcnt lgkmcnt(0)
	v_fma_f64 v[3:4], v[9:10], v[5:6], v[3:4]
	ds_bpermute_b32 v5, v2, v39 offset:16
	ds_bpermute_b32 v6, v2, v40 offset:16
	v_mul_f64 v[9:10], v[29:30], v[13:14]
	s_waitcnt lgkmcnt(0)
	v_fma_f64 v[3:4], v[7:8], v[5:6], v[3:4]
	ds_bpermute_b32 v5, v2, v39 offset:20
	ds_bpermute_b32 v6, v2, v40 offset:20
	;; [unrolled: 1-line block ×4, first 2 shown]
	s_waitcnt lgkmcnt(2)
	v_fma_f64 v[3:4], v[9:10], v[5:6], v[3:4]
	v_mul_f64 v[5:6], v[31:32], v[15:16]
	s_waitcnt lgkmcnt(0)
	v_fma_f64 v[41:42], v[5:6], v[7:8], v[3:4]
	ds_bpermute_b32 v3, v2, v39 offset:28
	ds_bpermute_b32 v4, v2, v40 offset:28
.LBB134_4:                              ;   in Loop: Header=BB134_5 Depth=1
	v_mul_f64 v[5:6], v[17:18], v[33:34]
	v_add_co_u32 v44, vcc_lo, v44, s20
	v_add_co_ci_u32_e64 v45, null, s21, v45, vcc_lo
	v_add_co_u32 v46, vcc_lo, v46, s20
	v_add_co_ci_u32_e64 v47, null, s21, v47, vcc_lo
	;; [unrolled: 2-line block ×7, first 2 shown]
	v_add_co_u32 v58, vcc_lo, v58, s20
	s_waitcnt lgkmcnt(0)
	v_fma_f64 v[37:38], v[5:6], v[3:4], v[41:42]
	v_add_co_ci_u32_e64 v59, null, s21, v59, vcc_lo
	v_add_co_u32 v60, vcc_lo, v60, s20
	v_add_co_ci_u32_e64 v61, null, s21, v61, vcc_lo
	v_add_co_u32 v62, vcc_lo, v62, s20
	;; [unrolled: 2-line block ×5, first 2 shown]
	s_add_u32 s24, s24, s27
	v_add_co_ci_u32_e64 v69, null, s21, v69, vcc_lo
	v_add_co_u32 v70, vcc_lo, v70, s20
	s_addc_u32 s25, s25, 0
	v_add_co_ci_u32_e64 v71, null, s21, v71, vcc_lo
	v_add_co_u32 v72, vcc_lo, v72, s20
	v_cmp_lt_i64_e64 s1, s[24:25], s[8:9]
	v_add_co_ci_u32_e64 v73, null, s21, v73, vcc_lo
	v_add_co_u32 v74, vcc_lo, v74, s20
	v_add_co_ci_u32_e64 v75, null, s21, v75, vcc_lo
	s_add_u32 s22, s22, s27
	s_addc_u32 s23, s23, 0
	s_and_b32 vcc_lo, exec_lo, s1
	s_cbranch_vccz .LBB134_49
.LBB134_5:                              ; =>This Inner Loop Header: Depth=1
	v_cmp_ge_i64_e64 s1, s[22:23], s[8:9]
	v_add_co_u32 v76, s28, v43, s22
	v_add_co_ci_u32_e64 v77, null, 0, s23, s28
                                        ; implicit-def: $vgpr3_vgpr4_vgpr5_vgpr6_vgpr7_vgpr8_vgpr9_vgpr10_vgpr11_vgpr12_vgpr13_vgpr14_vgpr15_vgpr16_vgpr17_vgpr18
                                        ; implicit-def: $vgpr41_vgpr42
                                        ; implicit-def: $vgpr19_vgpr20_vgpr21_vgpr22_vgpr23_vgpr24_vgpr25_vgpr26_vgpr27_vgpr28_vgpr29_vgpr30_vgpr31_vgpr32_vgpr33_vgpr34
                                        ; implicit-def: $vgpr3
	s_and_b32 vcc_lo, exec_lo, s1
	s_mov_b32 s1, -1
	s_cbranch_vccz .LBB134_27
; %bb.6:                                ;   in Loop: Header=BB134_5 Depth=1
	s_load_dword s1, s[18:19], 0xc
	v_mov_b32_e32 v39, 0
	v_mov_b32_e32 v40, 0
	s_waitcnt lgkmcnt(0)
	s_and_b32 s1, s1, 0xffff
	v_mad_u32_u24 v3, v1, s1, v0
	s_mov_b32 s1, exec_lo
	v_and_b32_e32 v3, 31, v3
	v_cmpx_gt_u32_e32 8, v3
	s_cbranch_execz .LBB134_10
; %bb.7:                                ;   in Loop: Header=BB134_5 Depth=1
	v_add_co_u32 v3, vcc_lo, v76, v3
	v_add_co_ci_u32_e64 v4, null, 0, v77, vcc_lo
	v_mov_b32_e32 v39, 0
	v_add_co_u32 v3, vcc_lo, 0xffffffc1, v3
	v_add_co_ci_u32_e64 v4, null, -1, v4, vcc_lo
	v_mov_b32_e32 v40, 0
	s_mov_b32 s28, exec_lo
	v_cmpx_gt_i64_e64 s[8:9], v[3:4]
	s_cbranch_execz .LBB134_9
; %bb.8:                                ;   in Loop: Header=BB134_5 Depth=1
	v_lshlrev_b64 v[3:4], 3, v[3:4]
	v_add_co_u32 v3, vcc_lo, s2, v3
	v_add_co_ci_u32_e64 v4, null, s3, v4, vcc_lo
	global_load_dwordx2 v[39:40], v[3:4], off
.LBB134_9:                              ;   in Loop: Header=BB134_5 Depth=1
	s_or_b32 exec_lo, exec_lo, s28
.LBB134_10:                             ;   in Loop: Header=BB134_5 Depth=1
	s_or_b32 exec_lo, exec_lo, s1
	v_add_co_u32 v18, vcc_lo, 0xffffffc1, v76
	v_add_co_ci_u32_e64 v19, null, -1, v77, vcc_lo
	v_mov_b32_e32 v17, v2
	v_mov_b32_e32 v3, v2
	;; [unrolled: 1-line block ×15, first 2 shown]
	v_cmp_gt_i64_e32 vcc_lo, s[8:9], v[18:19]
	v_mov_b32_e32 v34, v17
	v_mov_b32_e32 v31, v14
	;; [unrolled: 1-line block ×32, first 2 shown]
	s_and_b32 s28, s0, vcc_lo
	s_and_saveexec_b32 s1, s28
	s_cbranch_execz .LBB134_12
; %bb.11:                               ;   in Loop: Header=BB134_5 Depth=1
	v_add_co_u32 v3, vcc_lo, v44, v35
	v_add_co_ci_u32_e64 v4, null, v45, v36, vcc_lo
	v_add_co_u32 v5, vcc_lo, v46, v35
	v_add_co_ci_u32_e64 v6, null, v47, v36, vcc_lo
	global_load_dwordx2 v[3:4], v[3:4], off
	global_load_dwordx2 v[19:20], v[5:6], off
	v_mov_b32_e32 v5, v2
	v_mov_b32_e32 v6, v2
	;; [unrolled: 1-line block ×28, first 2 shown]
.LBB134_12:                             ;   in Loop: Header=BB134_5 Depth=1
	s_or_b32 exec_lo, exec_lo, s1
	v_add_co_u32 v41, vcc_lo, 0xffffffc2, v76
	v_add_co_ci_u32_e64 v42, null, -1, v77, vcc_lo
	v_cmp_gt_i64_e32 vcc_lo, s[8:9], v[41:42]
	s_and_b32 s28, s0, vcc_lo
	s_and_saveexec_b32 s1, s28
	s_cbranch_execz .LBB134_14
; %bb.13:                               ;   in Loop: Header=BB134_5 Depth=1
	v_add_co_u32 v5, vcc_lo, v72, v35
	v_add_co_ci_u32_e64 v6, null, v73, v36, vcc_lo
	v_add_co_u32 v21, vcc_lo, v74, v35
	v_add_co_ci_u32_e64 v22, null, v75, v36, vcc_lo
	global_load_dwordx2 v[5:6], v[5:6], off
	global_load_dwordx2 v[21:22], v[21:22], off
.LBB134_14:                             ;   in Loop: Header=BB134_5 Depth=1
	s_or_b32 exec_lo, exec_lo, s1
	v_add_co_u32 v41, vcc_lo, 0xffffffc3, v76
	v_add_co_ci_u32_e64 v42, null, -1, v77, vcc_lo
	v_cmp_gt_i64_e32 vcc_lo, s[8:9], v[41:42]
	s_and_b32 s28, s0, vcc_lo
	s_and_saveexec_b32 s1, s28
	s_cbranch_execz .LBB134_16
; %bb.15:                               ;   in Loop: Header=BB134_5 Depth=1
	v_add_co_u32 v7, vcc_lo, v68, v35
	v_add_co_ci_u32_e64 v8, null, v69, v36, vcc_lo
	v_add_co_u32 v23, vcc_lo, v70, v35
	v_add_co_ci_u32_e64 v24, null, v71, v36, vcc_lo
	global_load_dwordx2 v[7:8], v[7:8], off
	global_load_dwordx2 v[23:24], v[23:24], off
.LBB134_16:                             ;   in Loop: Header=BB134_5 Depth=1
	;; [unrolled: 15-line block ×7, first 2 shown]
	s_or_b32 exec_lo, exec_lo, s1
	s_waitcnt vmcnt(0)
	v_mul_f64 v[3:4], v[19:20], v[3:4]
	ds_bpermute_b32 v19, v2, v39
	ds_bpermute_b32 v20, v2, v40
	v_mul_f64 v[5:6], v[21:22], v[5:6]
	v_mul_f64 v[7:8], v[23:24], v[7:8]
	;; [unrolled: 1-line block ×3, first 2 shown]
	s_mov_b32 s1, 0
	s_waitcnt lgkmcnt(0)
	v_fma_f64 v[3:4], v[3:4], v[19:20], v[37:38]
	ds_bpermute_b32 v19, v2, v39 offset:4
	ds_bpermute_b32 v20, v2, v40 offset:4
	s_waitcnt lgkmcnt(0)
	v_fma_f64 v[3:4], v[5:6], v[19:20], v[3:4]
	ds_bpermute_b32 v5, v2, v39 offset:8
	ds_bpermute_b32 v6, v2, v40 offset:8
	;; [unrolled: 4-line block ×3, first 2 shown]
	v_mul_f64 v[7:8], v[27:28], v[11:12]
	s_waitcnt lgkmcnt(0)
	v_fma_f64 v[3:4], v[9:10], v[5:6], v[3:4]
	ds_bpermute_b32 v5, v2, v39 offset:16
	ds_bpermute_b32 v6, v2, v40 offset:16
	v_mul_f64 v[9:10], v[29:30], v[13:14]
	s_waitcnt lgkmcnt(0)
	v_fma_f64 v[3:4], v[7:8], v[5:6], v[3:4]
	ds_bpermute_b32 v5, v2, v39 offset:20
	ds_bpermute_b32 v6, v2, v40 offset:20
	;; [unrolled: 1-line block ×4, first 2 shown]
	s_waitcnt lgkmcnt(2)
	v_fma_f64 v[3:4], v[9:10], v[5:6], v[3:4]
	v_mul_f64 v[5:6], v[31:32], v[15:16]
	s_waitcnt lgkmcnt(0)
	v_fma_f64 v[41:42], v[5:6], v[7:8], v[3:4]
	ds_bpermute_b32 v3, v2, v39 offset:28
	ds_bpermute_b32 v4, v2, v40 offset:28
.LBB134_27:                             ;   in Loop: Header=BB134_5 Depth=1
	s_and_b32 vcc_lo, exec_lo, s1
	s_cbranch_vccz .LBB134_4
; %bb.28:                               ;   in Loop: Header=BB134_5 Depth=1
	s_load_dword s1, s[18:19], 0x0
	v_mov_b32_e32 v39, 0
	v_mov_b32_e32 v40, 0
	s_waitcnt lgkmcnt(0)
	s_cmp_lt_u32 s6, s1
	s_cselect_b32 s1, 12, 18
	s_add_u32 s28, s18, s1
	s_addc_u32 s29, s19, 0
	s_mov_b32 s1, exec_lo
	global_load_ushort v3, v2, s[28:29]
	s_waitcnt vmcnt(0)
	v_mad_u32_u24 v3, v1, v3, v0
	v_and_b32_e32 v3, 31, v3
	v_cmpx_gt_u32_e32 8, v3
	s_cbranch_execz .LBB134_32
; %bb.29:                               ;   in Loop: Header=BB134_5 Depth=1
	v_add_co_u32 v3, vcc_lo, v76, v3
	v_add_co_ci_u32_e64 v4, null, 0, v77, vcc_lo
	v_mov_b32_e32 v39, 0
	v_add_co_u32 v3, vcc_lo, 0xffffffc1, v3
	v_add_co_ci_u32_e64 v4, null, -1, v4, vcc_lo
	v_mov_b32_e32 v40, 0
	s_mov_b32 s28, exec_lo
	v_cmpx_gt_i64_e64 s[8:9], v[3:4]
	s_cbranch_execz .LBB134_31
; %bb.30:                               ;   in Loop: Header=BB134_5 Depth=1
	v_lshlrev_b64 v[3:4], 3, v[3:4]
	v_add_co_u32 v3, vcc_lo, s2, v3
	v_add_co_ci_u32_e64 v4, null, s3, v4, vcc_lo
	global_load_dwordx2 v[39:40], v[3:4], off
.LBB134_31:                             ;   in Loop: Header=BB134_5 Depth=1
	s_or_b32 exec_lo, exec_lo, s28
.LBB134_32:                             ;   in Loop: Header=BB134_5 Depth=1
	s_or_b32 exec_lo, exec_lo, s1
	v_mov_b32_e32 v17, v2
	v_mov_b32_e32 v3, v2
	;; [unrolled: 1-line block ×47, first 2 shown]
	s_and_saveexec_b32 s1, s0
	s_cbranch_execnz .LBB134_40
; %bb.33:                               ;   in Loop: Header=BB134_5 Depth=1
	s_or_b32 exec_lo, exec_lo, s1
	s_and_saveexec_b32 s1, s0
	s_cbranch_execnz .LBB134_41
.LBB134_34:                             ;   in Loop: Header=BB134_5 Depth=1
	s_or_b32 exec_lo, exec_lo, s1
	s_and_saveexec_b32 s1, s0
	s_cbranch_execnz .LBB134_42
.LBB134_35:                             ;   in Loop: Header=BB134_5 Depth=1
	s_or_b32 exec_lo, exec_lo, s1
	s_and_saveexec_b32 s1, s0
	s_cbranch_execnz .LBB134_43
.LBB134_36:                             ;   in Loop: Header=BB134_5 Depth=1
	s_or_b32 exec_lo, exec_lo, s1
	s_and_saveexec_b32 s1, s0
	s_cbranch_execnz .LBB134_44
.LBB134_37:                             ;   in Loop: Header=BB134_5 Depth=1
	s_or_b32 exec_lo, exec_lo, s1
	s_and_saveexec_b32 s1, s0
	s_cbranch_execnz .LBB134_45
.LBB134_38:                             ;   in Loop: Header=BB134_5 Depth=1
	s_or_b32 exec_lo, exec_lo, s1
	s_and_saveexec_b32 s1, s0
	s_cbranch_execnz .LBB134_46
.LBB134_39:                             ;   in Loop: Header=BB134_5 Depth=1
	s_or_b32 exec_lo, exec_lo, s1
	s_and_saveexec_b32 s1, s0
	s_cbranch_execz .LBB134_3
	s_branch .LBB134_47
.LBB134_40:                             ;   in Loop: Header=BB134_5 Depth=1
	v_add_co_u32 v3, vcc_lo, v44, v35
	v_add_co_ci_u32_e64 v4, null, v45, v36, vcc_lo
	v_add_co_u32 v5, vcc_lo, v46, v35
	v_add_co_ci_u32_e64 v6, null, v47, v36, vcc_lo
	global_load_dwordx2 v[3:4], v[3:4], off
	global_load_dwordx2 v[19:20], v[5:6], off
	v_mov_b32_e32 v5, v2
	v_mov_b32_e32 v6, v2
	;; [unrolled: 1-line block ×28, first 2 shown]
	s_or_b32 exec_lo, exec_lo, s1
	s_and_saveexec_b32 s1, s0
	s_cbranch_execz .LBB134_34
.LBB134_41:                             ;   in Loop: Header=BB134_5 Depth=1
	v_add_co_u32 v5, vcc_lo, v72, v35
	v_add_co_ci_u32_e64 v6, null, v73, v36, vcc_lo
	v_add_co_u32 v21, vcc_lo, v74, v35
	v_add_co_ci_u32_e64 v22, null, v75, v36, vcc_lo
	global_load_dwordx2 v[5:6], v[5:6], off
	global_load_dwordx2 v[21:22], v[21:22], off
	s_or_b32 exec_lo, exec_lo, s1
	s_and_saveexec_b32 s1, s0
	s_cbranch_execz .LBB134_35
.LBB134_42:                             ;   in Loop: Header=BB134_5 Depth=1
	v_add_co_u32 v7, vcc_lo, v68, v35
	v_add_co_ci_u32_e64 v8, null, v69, v36, vcc_lo
	v_add_co_u32 v23, vcc_lo, v70, v35
	v_add_co_ci_u32_e64 v24, null, v71, v36, vcc_lo
	global_load_dwordx2 v[7:8], v[7:8], off
	global_load_dwordx2 v[23:24], v[23:24], off
	s_or_b32 exec_lo, exec_lo, s1
	s_and_saveexec_b32 s1, s0
	s_cbranch_execz .LBB134_36
.LBB134_43:                             ;   in Loop: Header=BB134_5 Depth=1
	v_add_co_u32 v9, vcc_lo, v64, v35
	v_add_co_ci_u32_e64 v10, null, v65, v36, vcc_lo
	v_add_co_u32 v25, vcc_lo, v66, v35
	v_add_co_ci_u32_e64 v26, null, v67, v36, vcc_lo
	global_load_dwordx2 v[9:10], v[9:10], off
	global_load_dwordx2 v[25:26], v[25:26], off
	s_or_b32 exec_lo, exec_lo, s1
	s_and_saveexec_b32 s1, s0
	s_cbranch_execz .LBB134_37
.LBB134_44:                             ;   in Loop: Header=BB134_5 Depth=1
	v_add_co_u32 v11, vcc_lo, v60, v35
	v_add_co_ci_u32_e64 v12, null, v61, v36, vcc_lo
	v_add_co_u32 v27, vcc_lo, v62, v35
	v_add_co_ci_u32_e64 v28, null, v63, v36, vcc_lo
	global_load_dwordx2 v[11:12], v[11:12], off
	global_load_dwordx2 v[27:28], v[27:28], off
	s_or_b32 exec_lo, exec_lo, s1
	s_and_saveexec_b32 s1, s0
	s_cbranch_execz .LBB134_38
.LBB134_45:                             ;   in Loop: Header=BB134_5 Depth=1
	v_add_co_u32 v13, vcc_lo, v56, v35
	v_add_co_ci_u32_e64 v14, null, v57, v36, vcc_lo
	v_add_co_u32 v29, vcc_lo, v58, v35
	v_add_co_ci_u32_e64 v30, null, v59, v36, vcc_lo
	global_load_dwordx2 v[13:14], v[13:14], off
	global_load_dwordx2 v[29:30], v[29:30], off
	s_or_b32 exec_lo, exec_lo, s1
	s_and_saveexec_b32 s1, s0
	s_cbranch_execz .LBB134_39
.LBB134_46:                             ;   in Loop: Header=BB134_5 Depth=1
	v_add_co_u32 v15, vcc_lo, v52, v35
	v_add_co_ci_u32_e64 v16, null, v53, v36, vcc_lo
	v_add_co_u32 v31, vcc_lo, v54, v35
	v_add_co_ci_u32_e64 v32, null, v55, v36, vcc_lo
	global_load_dwordx2 v[15:16], v[15:16], off
	global_load_dwordx2 v[31:32], v[31:32], off
	s_or_b32 exec_lo, exec_lo, s1
	s_and_saveexec_b32 s1, s0
	s_cbranch_execz .LBB134_3
.LBB134_47:                             ;   in Loop: Header=BB134_5 Depth=1
	v_add_co_u32 v17, vcc_lo, v48, v35
	v_add_co_ci_u32_e64 v18, null, v49, v36, vcc_lo
	v_add_co_u32 v33, vcc_lo, v50, v35
	v_add_co_ci_u32_e64 v34, null, v51, v36, vcc_lo
	global_load_dwordx2 v[17:18], v[17:18], off
	global_load_dwordx2 v[33:34], v[33:34], off
	s_branch .LBB134_3
.LBB134_48:
                                        ; implicit-def: $vgpr37_vgpr38
	s_branch .LBB134_50
.LBB134_49:
	s_cbranch_execnz .LBB134_82
.LBB134_50:
	v_mov_b32_e32 v37, 0
	v_mov_b32_e32 v38, 0
	s_andn2_b32 vcc_lo, exec_lo, s7
	s_cbranch_vccnz .LBB134_82
; %bb.51:
	s_load_dword s7, s[4:5], 0x44
	v_lshlrev_b32_e32 v69, 3, v1
	v_lshlrev_b32_e32 v6, 6, v1
	v_mov_b32_e32 v67, 0
	v_mov_b32_e32 v68, 0
	v_add_co_u32 v10, s0, v69, s16
	v_add_co_ci_u32_e64 v11, null, 0, 0, s0
	s_add_u32 s0, s4, 64
	v_mul_lo_u32 v4, s11, v10
	v_mad_u64_u32 v[2:3], null, s10, v10, 0
	v_mul_lo_u32 v5, s10, v11
	s_addc_u32 s1, s5, 0
	s_waitcnt lgkmcnt(0)
	s_lshl_b32 s7, s7, 6
	v_add3_u32 v3, v3, v5, v4
	s_mul_i32 s19, s11, s7
	s_mul_hi_u32 s20, s10, s7
	s_mul_i32 s18, s10, s7
	s_add_i32 s19, s20, s19
	v_lshlrev_b64 v[4:5], 3, v[2:3]
	s_lshl_b64 s[18:19], s[18:19], 3
	s_add_u32 s20, s16, 63
	s_addc_u32 s21, 0, 0
	s_lshl_b64 s[22:23], s[16:17], 3
	v_add_co_u32 v6, s22, v6, s22
	v_add_co_ci_u32_e64 v7, null, 0, s23, s22
	v_add_co_u32 v8, vcc_lo, v6, 8
	v_add_co_ci_u32_e64 v9, null, 0, v7, vcc_lo
	v_add_co_u32 v70, vcc_lo, s12, v4
	v_add_co_ci_u32_e64 v71, null, s13, v5, vcc_lo
	;; [unrolled: 2-line block ×6, first 2 shown]
	v_add_co_u32 v19, vcc_lo, v6, 40
	v_mad_u64_u32 v[39:40], null, s10, v4, s[12:13]
	v_mul_lo_u32 v5, s10, v5
	v_mul_lo_u32 v15, s11, v4
	v_mad_u64_u32 v[53:54], null, s10, v4, s[14:15]
	v_add_co_ci_u32_e64 v20, null, 0, v7, vcc_lo
	v_add_co_u32 v22, vcc_lo, v6, 48
	v_add_co_ci_u32_e64 v24, null, 0, v7, vcc_lo
	v_add_co_u32 v6, vcc_lo, v6, 56
	v_mad_u64_u32 v[35:36], null, s10, v8, s[12:13]
	v_mul_lo_u32 v9, s10, v9
	v_mul_lo_u32 v12, s11, v8
	v_mad_u64_u32 v[51:52], null, s10, v8, s[14:15]
	v_add_co_ci_u32_e64 v7, null, 0, v7, vcc_lo
	v_add_co_u32 v4, vcc_lo, v10, 7
	v_add3_u32 v40, v15, v40, v5
	v_add3_u32 v54, v15, v54, v5
	v_add_co_ci_u32_e64 v5, null, 0, v11, vcc_lo
	v_mul_lo_u32 v26, s10, v7
	v_add_co_u32 v7, vcc_lo, v10, 6
	v_add3_u32 v36, v12, v36, v9
	v_add3_u32 v52, v12, v52, v9
	v_add_co_ci_u32_e64 v12, null, 0, v11, vcc_lo
	v_mul_lo_u32 v8, s11, v4
	v_mul_lo_u32 v9, s10, v5
	v_mad_u64_u32 v[4:5], null, s10, v4, 0
	v_mad_u64_u32 v[41:42], null, s10, v13, s[12:13]
	v_mul_lo_u32 v17, s11, v13
	v_mad_u64_u32 v[49:50], null, s10, v6, s[12:13]
	v_mul_lo_u32 v27, s11, v6
	v_mad_u64_u32 v[55:56], null, s10, v13, s[14:15]
	v_mad_u64_u32 v[63:64], null, s10, v6, s[14:15]
	v_mul_lo_u32 v13, s11, v7
	v_mul_lo_u32 v12, s10, v12
	v_mad_u64_u32 v[6:7], null, s10, v7, 0
	v_add3_u32 v5, v5, v9, v8
	v_add_co_u32 v8, vcc_lo, v10, 5
	v_add_co_ci_u32_e64 v9, null, 0, v11, vcc_lo
	v_lshlrev_b64 v[4:5], 3, v[4:5]
	v_add3_u32 v7, v7, v12, v13
	v_mul_lo_u32 v12, s11, v8
	v_mul_lo_u32 v13, s10, v9
	v_mad_u64_u32 v[8:9], null, s10, v8, 0
	v_lshlrev_b64 v[6:7], 3, v[6:7]
	v_add_co_u32 v74, vcc_lo, s12, v4
	v_add_co_ci_u32_e64 v75, null, s13, v5, vcc_lo
	v_add_co_u32 v76, vcc_lo, s14, v4
	v_add_co_ci_u32_e64 v77, null, s15, v5, vcc_lo
	;; [unrolled: 2-line block ×3, first 2 shown]
	v_add3_u32 v9, v9, v13, v12
	v_add_co_u32 v12, vcc_lo, v10, 4
	v_add_co_ci_u32_e64 v13, null, 0, v11, vcc_lo
	v_add_co_u32 v80, vcc_lo, s14, v6
	v_add_co_ci_u32_e64 v81, null, s15, v7, vcc_lo
	v_lshlrev_b64 v[4:5], 3, v[8:9]
	v_mul_lo_u32 v8, s11, v12
	v_mul_lo_u32 v9, s10, v13
	v_mad_u64_u32 v[6:7], null, s10, v12, 0
	v_mul_lo_u32 v14, s10, v14
	v_add_co_u32 v12, vcc_lo, v10, 3
	v_add_co_ci_u32_e64 v13, null, 0, v11, vcc_lo
	v_add_co_u32 v82, vcc_lo, s12, v4
	v_add_co_ci_u32_e64 v83, null, s13, v5, vcc_lo
	v_add3_u32 v7, v7, v9, v8
	v_add_co_u32 v10, vcc_lo, v10, 2
	v_add3_u32 v42, v17, v42, v14
	v_add3_u32 v56, v17, v56, v14
	v_mul_lo_u32 v14, s11, v12
	v_mul_lo_u32 v13, s10, v13
	v_mad_u64_u32 v[8:9], null, s10, v12, 0
	v_add_co_ci_u32_e64 v11, null, 0, v11, vcc_lo
	v_add_co_u32 v84, vcc_lo, s14, v4
	v_add_co_ci_u32_e64 v85, null, s15, v5, vcc_lo
	v_lshlrev_b64 v[4:5], 3, v[6:7]
	v_mul_lo_u32 v12, s11, v10
	v_mul_lo_u32 v11, s10, v11
	v_mad_u64_u32 v[6:7], null, s10, v10, 0
	v_add3_u32 v9, v9, v13, v14
	v_add_co_u32 v86, vcc_lo, s12, v4
	v_add_co_ci_u32_e64 v87, null, s13, v5, vcc_lo
	v_add_co_u32 v88, vcc_lo, s14, v4
	v_add_co_ci_u32_e64 v89, null, s15, v5, vcc_lo
	v_lshlrev_b64 v[4:5], 3, v[8:9]
	v_add3_u32 v7, v7, v11, v12
	v_add_co_u32 v2, vcc_lo, v2, s10
	v_add_co_ci_u32_e64 v3, null, s11, v3, vcc_lo
	v_lshlrev_b64 v[6:7], 3, v[6:7]
	v_add_co_u32 v90, vcc_lo, s12, v4
	v_add_co_ci_u32_e64 v91, null, s13, v5, vcc_lo
	v_add_co_u32 v92, vcc_lo, s14, v4
	v_lshlrev_b64 v[3:4], 3, v[2:3]
	v_mov_b32_e32 v2, 0
	v_mad_u64_u32 v[43:44], null, s10, v16, s[12:13]
	v_mul_lo_u32 v18, s10, v18
	v_mul_lo_u32 v21, s11, v16
	v_mad_u64_u32 v[45:46], null, s10, v19, s[12:13]
	v_mul_lo_u32 v20, s10, v20
	v_mul_lo_u32 v23, s11, v19
	;; [unrolled: 3-line block ×3, first 2 shown]
	v_mad_u64_u32 v[57:58], null, s10, v16, s[14:15]
	v_mad_u64_u32 v[59:60], null, s10, v19, s[14:15]
	v_mad_u64_u32 v[61:62], null, s10, v22, s[14:15]
	v_add_co_ci_u32_e64 v93, null, s15, v5, vcc_lo
	v_add_co_u32 v94, vcc_lo, s12, v6
	v_add_co_ci_u32_e64 v95, null, s13, v7, vcc_lo
	v_add_co_u32 v96, vcc_lo, s14, v6
	v_add_nc_u32_e32 v5, s26, v0
	v_mov_b32_e32 v6, v2
	v_add_co_ci_u32_e64 v97, null, s15, v7, vcc_lo
	v_add_co_u32 v98, vcc_lo, s12, v3
	v_add_co_ci_u32_e64 v99, null, s13, v4, vcc_lo
	v_add_co_u32 v100, vcc_lo, s14, v3
	v_lshlrev_b64 v[65:66], 3, v[5:6]
	v_add3_u32 v44, v21, v44, v18
	v_add3_u32 v46, v23, v46, v20
	;; [unrolled: 1-line block ×8, first 2 shown]
	v_add_co_ci_u32_e64 v101, null, s15, v4, vcc_lo
.LBB134_52:                             ; =>This Inner Loop Header: Depth=1
	v_cmp_ge_i64_e64 s12, s[20:21], s[8:9]
	v_add_co_u32 v102, s13, v69, s20
	v_add_co_ci_u32_e64 v103, null, 0, s21, s13
                                        ; implicit-def: $vgpr37_vgpr38
	s_and_b32 vcc_lo, exec_lo, s12
	s_mov_b32 s12, -1
	s_cbranch_vccz .LBB134_74
; %bb.53:                               ;   in Loop: Header=BB134_52 Depth=1
	s_load_dword s12, s[0:1], 0xc
	v_mov_b32_e32 v37, 0
	v_mov_b32_e32 v38, 0
	s_waitcnt lgkmcnt(0)
	s_and_b32 s12, s12, 0xffff
	v_mad_u32_u24 v3, v1, s12, v0
	s_mov_b32 s12, exec_lo
	v_and_b32_e32 v3, 31, v3
	v_cmpx_gt_u32_e32 8, v3
	s_cbranch_execz .LBB134_57
; %bb.54:                               ;   in Loop: Header=BB134_52 Depth=1
	v_add_co_u32 v3, vcc_lo, v102, v3
	v_add_co_ci_u32_e64 v4, null, 0, v103, vcc_lo
	v_mov_b32_e32 v37, 0
	v_add_co_u32 v3, vcc_lo, 0xffffffc1, v3
	v_add_co_ci_u32_e64 v4, null, -1, v4, vcc_lo
	v_mov_b32_e32 v38, 0
	s_mov_b32 s13, exec_lo
	v_cmpx_gt_i64_e64 s[8:9], v[3:4]
	s_cbranch_execz .LBB134_56
; %bb.55:                               ;   in Loop: Header=BB134_52 Depth=1
	v_lshlrev_b64 v[3:4], 3, v[3:4]
	v_add_co_u32 v3, vcc_lo, s2, v3
	v_add_co_ci_u32_e64 v4, null, s3, v4, vcc_lo
	global_load_dwordx2 v[37:38], v[3:4], off
.LBB134_56:                             ;   in Loop: Header=BB134_52 Depth=1
	s_or_b32 exec_lo, exec_lo, s13
.LBB134_57:                             ;   in Loop: Header=BB134_52 Depth=1
	s_or_b32 exec_lo, exec_lo, s12
	v_add_co_u32 v18, vcc_lo, 0xffffffc1, v102
	v_add_co_ci_u32_e64 v19, null, -1, v103, vcc_lo
	v_mov_b32_e32 v17, v2
	v_mov_b32_e32 v3, v2
	;; [unrolled: 1-line block ×15, first 2 shown]
	v_cmp_gt_i64_e32 vcc_lo, s[8:9], v[18:19]
	v_mov_b32_e32 v34, v17
	v_mov_b32_e32 v31, v14
	;; [unrolled: 1-line block ×32, first 2 shown]
	s_and_saveexec_b32 s12, vcc_lo
	s_cbranch_execz .LBB134_59
; %bb.58:                               ;   in Loop: Header=BB134_52 Depth=1
	v_add_co_u32 v3, vcc_lo, v70, v65
	v_add_co_ci_u32_e64 v4, null, v71, v66, vcc_lo
	v_add_co_u32 v5, vcc_lo, v72, v65
	v_add_co_ci_u32_e64 v6, null, v73, v66, vcc_lo
	global_load_dwordx2 v[3:4], v[3:4], off
	global_load_dwordx2 v[19:20], v[5:6], off
	v_mov_b32_e32 v5, v2
	v_mov_b32_e32 v6, v2
	;; [unrolled: 1-line block ×28, first 2 shown]
.LBB134_59:                             ;   in Loop: Header=BB134_52 Depth=1
	s_or_b32 exec_lo, exec_lo, s12
	v_add_co_u32 v104, vcc_lo, 0xffffffc2, v102
	v_add_co_ci_u32_e64 v105, null, -1, v103, vcc_lo
	s_mov_b32 s12, exec_lo
	v_cmpx_gt_i64_e64 s[8:9], v[104:105]
	s_cbranch_execz .LBB134_61
; %bb.60:                               ;   in Loop: Header=BB134_52 Depth=1
	v_add_co_u32 v5, vcc_lo, v98, v65
	v_add_co_ci_u32_e64 v6, null, v99, v66, vcc_lo
	v_add_co_u32 v21, vcc_lo, v100, v65
	v_add_co_ci_u32_e64 v22, null, v101, v66, vcc_lo
	global_load_dwordx2 v[5:6], v[5:6], off
	global_load_dwordx2 v[21:22], v[21:22], off
.LBB134_61:                             ;   in Loop: Header=BB134_52 Depth=1
	s_or_b32 exec_lo, exec_lo, s12
	v_add_co_u32 v104, vcc_lo, 0xffffffc3, v102
	v_add_co_ci_u32_e64 v105, null, -1, v103, vcc_lo
	s_mov_b32 s12, exec_lo
	v_cmpx_gt_i64_e64 s[8:9], v[104:105]
	s_cbranch_execz .LBB134_63
; %bb.62:                               ;   in Loop: Header=BB134_52 Depth=1
	v_add_co_u32 v7, vcc_lo, v94, v65
	v_add_co_ci_u32_e64 v8, null, v95, v66, vcc_lo
	v_add_co_u32 v23, vcc_lo, v96, v65
	v_add_co_ci_u32_e64 v24, null, v97, v66, vcc_lo
	global_load_dwordx2 v[7:8], v[7:8], off
	global_load_dwordx2 v[23:24], v[23:24], off
.LBB134_63:                             ;   in Loop: Header=BB134_52 Depth=1
	;; [unrolled: 14-line block ×7, first 2 shown]
	s_or_b32 exec_lo, exec_lo, s12
	s_waitcnt vmcnt(0)
	v_mul_f64 v[3:4], v[19:20], v[3:4]
	ds_bpermute_b32 v19, v2, v37
	ds_bpermute_b32 v20, v2, v38
	v_mul_f64 v[5:6], v[21:22], v[5:6]
	v_mul_f64 v[7:8], v[23:24], v[7:8]
	v_mul_f64 v[9:10], v[25:26], v[9:10]
	s_mov_b32 s12, 0
	s_waitcnt lgkmcnt(0)
	v_fma_f64 v[3:4], v[3:4], v[19:20], v[67:68]
	ds_bpermute_b32 v19, v2, v37 offset:4
	ds_bpermute_b32 v20, v2, v38 offset:4
	s_waitcnt lgkmcnt(0)
	v_fma_f64 v[3:4], v[5:6], v[19:20], v[3:4]
	ds_bpermute_b32 v5, v2, v37 offset:8
	ds_bpermute_b32 v6, v2, v38 offset:8
	;; [unrolled: 4-line block ×3, first 2 shown]
	v_mul_f64 v[7:8], v[27:28], v[11:12]
	s_waitcnt lgkmcnt(0)
	v_fma_f64 v[3:4], v[9:10], v[5:6], v[3:4]
	ds_bpermute_b32 v5, v2, v37 offset:16
	ds_bpermute_b32 v6, v2, v38 offset:16
	v_mul_f64 v[9:10], v[29:30], v[13:14]
	s_waitcnt lgkmcnt(0)
	v_fma_f64 v[3:4], v[7:8], v[5:6], v[3:4]
	ds_bpermute_b32 v5, v2, v37 offset:20
	ds_bpermute_b32 v6, v2, v38 offset:20
	;; [unrolled: 5-line block ×3, first 2 shown]
	s_waitcnt lgkmcnt(0)
	v_fma_f64 v[3:4], v[7:8], v[5:6], v[3:4]
	v_mul_f64 v[5:6], v[33:34], v[17:18]
	ds_bpermute_b32 v7, v2, v37 offset:28
	ds_bpermute_b32 v8, v2, v38 offset:28
	s_waitcnt lgkmcnt(0)
	v_fma_f64 v[37:38], v[5:6], v[7:8], v[3:4]
.LBB134_74:                             ;   in Loop: Header=BB134_52 Depth=1
	s_and_b32 vcc_lo, exec_lo, s12
	s_cbranch_vccz .LBB134_80
; %bb.75:                               ;   in Loop: Header=BB134_52 Depth=1
	s_load_dword s12, s[0:1], 0x0
	s_waitcnt lgkmcnt(0)
	s_cmp_lt_u32 s6, s12
	s_cselect_b32 s12, 12, 18
	s_add_u32 s12, s0, s12
	s_addc_u32 s13, s1, 0
	global_load_ushort v3, v2, s[12:13]
	s_mov_b32 s12, exec_lo
	s_waitcnt vmcnt(0)
	v_mad_u32_u24 v3, v1, v3, v0
	v_and_b32_e32 v5, 31, v3
	v_mov_b32_e32 v3, 0
	v_mov_b32_e32 v4, 0
	v_cmpx_gt_u32_e32 8, v5
	s_cbranch_execz .LBB134_79
; %bb.76:                               ;   in Loop: Header=BB134_52 Depth=1
	v_add_co_u32 v3, vcc_lo, v102, v5
	v_add_co_ci_u32_e64 v4, null, 0, v103, vcc_lo
	s_mov_b32 s13, exec_lo
	v_add_co_u32 v5, vcc_lo, 0xffffffc1, v3
	v_add_co_ci_u32_e64 v6, null, -1, v4, vcc_lo
	v_mov_b32_e32 v3, 0
	v_mov_b32_e32 v4, 0
	v_cmpx_gt_i64_e64 s[8:9], v[5:6]
	s_cbranch_execz .LBB134_78
; %bb.77:                               ;   in Loop: Header=BB134_52 Depth=1
	v_lshlrev_b64 v[3:4], 3, v[5:6]
	v_add_co_u32 v3, vcc_lo, s2, v3
	v_add_co_ci_u32_e64 v4, null, s3, v4, vcc_lo
	global_load_dwordx2 v[3:4], v[3:4], off
.LBB134_78:                             ;   in Loop: Header=BB134_52 Depth=1
	s_or_b32 exec_lo, exec_lo, s13
.LBB134_79:                             ;   in Loop: Header=BB134_52 Depth=1
	s_or_b32 exec_lo, exec_lo, s12
	v_add_co_u32 v5, vcc_lo, v70, v65
	v_add_co_ci_u32_e64 v6, null, v71, v66, vcc_lo
	v_add_co_u32 v7, vcc_lo, v72, v65
	v_add_co_ci_u32_e64 v8, null, v73, v66, vcc_lo
	global_load_dwordx2 v[5:6], v[5:6], off
	global_load_dwordx2 v[7:8], v[7:8], off
	v_add_co_u32 v9, vcc_lo, v35, v65
	v_add_co_ci_u32_e64 v10, null, v36, v66, vcc_lo
	v_add_co_u32 v11, vcc_lo, v51, v65
	v_add_co_ci_u32_e64 v12, null, v52, v66, vcc_lo
	global_load_dwordx2 v[9:10], v[9:10], off
	global_load_dwordx2 v[11:12], v[11:12], off
	;; [unrolled: 6-line block ×8, first 2 shown]
	s_waitcnt vmcnt(14)
	v_mul_f64 v[5:6], v[5:6], v[7:8]
	ds_bpermute_b32 v7, v2, v3
	ds_bpermute_b32 v8, v2, v4
	s_waitcnt vmcnt(12)
	v_mul_f64 v[9:10], v[9:10], v[11:12]
	s_waitcnt vmcnt(10)
	v_mul_f64 v[11:12], v[13:14], v[15:16]
	s_waitcnt lgkmcnt(0)
	v_fma_f64 v[5:6], v[5:6], v[7:8], v[67:68]
	ds_bpermute_b32 v7, v2, v3 offset:4
	ds_bpermute_b32 v8, v2, v4 offset:4
	s_waitcnt lgkmcnt(0)
	v_fma_f64 v[5:6], v[9:10], v[7:8], v[5:6]
	ds_bpermute_b32 v7, v2, v3 offset:8
	ds_bpermute_b32 v8, v2, v4 offset:8
	s_waitcnt vmcnt(8)
	v_mul_f64 v[9:10], v[17:18], v[19:20]
	s_waitcnt lgkmcnt(0)
	v_fma_f64 v[5:6], v[11:12], v[7:8], v[5:6]
	ds_bpermute_b32 v7, v2, v3 offset:12
	ds_bpermute_b32 v8, v2, v4 offset:12
	s_waitcnt vmcnt(6)
	v_mul_f64 v[11:12], v[21:22], v[23:24]
	;; [unrolled: 6-line block ×4, first 2 shown]
	s_waitcnt lgkmcnt(0)
	v_fma_f64 v[5:6], v[9:10], v[7:8], v[5:6]
	ds_bpermute_b32 v7, v2, v3 offset:24
	ds_bpermute_b32 v8, v2, v4 offset:24
	;; [unrolled: 1-line block ×4, first 2 shown]
	s_waitcnt lgkmcnt(2)
	v_fma_f64 v[5:6], v[11:12], v[7:8], v[5:6]
	s_waitcnt vmcnt(0)
	v_mul_f64 v[7:8], v[33:34], v[37:38]
	s_waitcnt lgkmcnt(0)
	v_fma_f64 v[37:38], v[7:8], v[3:4], v[5:6]
.LBB134_80:                             ;   in Loop: Header=BB134_52 Depth=1
	v_add_co_u32 v70, vcc_lo, v70, s18
	v_add_co_ci_u32_e64 v71, null, s19, v71, vcc_lo
	v_add_co_u32 v72, vcc_lo, v72, s18
	v_add_co_ci_u32_e64 v73, null, s19, v73, vcc_lo
	;; [unrolled: 2-line block ×26, first 2 shown]
	v_add_co_u32 v94, vcc_lo, v94, s18
	s_add_u32 s16, s16, s7
	v_add_co_ci_u32_e64 v95, null, s19, v95, vcc_lo
	v_add_co_u32 v96, vcc_lo, v96, s18
	s_addc_u32 s17, s17, 0
	v_add_co_ci_u32_e64 v97, null, s19, v97, vcc_lo
	v_add_co_u32 v98, vcc_lo, v98, s18
	v_cmp_ge_i64_e64 s12, s[16:17], s[8:9]
	v_add_co_ci_u32_e64 v99, null, s19, v99, vcc_lo
	v_add_co_u32 v100, vcc_lo, v100, s18
	v_add_co_ci_u32_e64 v101, null, s19, v101, vcc_lo
	s_add_u32 s20, s20, s7
	s_addc_u32 s21, s21, 0
	s_and_b32 vcc_lo, exec_lo, s12
	s_cbranch_vccnz .LBB134_82
; %bb.81:                               ;   in Loop: Header=BB134_52 Depth=1
	v_mov_b32_e32 v68, v38
	v_mov_b32_e32 v67, v37
	s_branch .LBB134_52
.LBB134_82:
	v_mad_u32_u24 v3, v1, 33, v0
	v_lshrrev_b32_e32 v4, 5, v0
	v_mov_b32_e32 v2, 0
	s_mov_b32 s0, exec_lo
	v_lshl_add_u32 v6, v3, 3, 0
	v_add_nc_u32_e32 v5, v4, v1
	v_mov_b32_e32 v3, v2
	ds_write_b64 v6, v[37:38]
	ds_write_b64 v6, v[2:3] offset:2112
	s_waitcnt lgkmcnt(0)
	s_barrier
	buffer_gl0_inv
	v_cmpx_gt_u32_e32 32, v5
	s_cbranch_execz .LBB134_102
; %bb.83:
	s_load_dwordx2 s[2:3], s[4:5], 0x30
	v_and_b32_e32 v1, 31, v0
	v_cmp_gt_u32_e32 vcc_lo, 8, v1
	v_mul_u32_u24_e32 v6, 33, v1
                                        ; implicit-def: $vgpr1_vgpr2
	s_and_saveexec_b32 s0, vcc_lo
	s_cbranch_execz .LBB134_85
; %bb.84:
	v_lshlrev_b32_e32 v1, 3, v5
	v_lshlrev_b32_e32 v2, 3, v6
	v_add3_u32 v1, 0, v1, v2
	ds_read_b64 v[1:2], v1
.LBB134_85:
	s_or_b32 exec_lo, exec_lo, s0
	v_mbcnt_lo_u32_b32 v9, -1, 0
	s_mov_b32 s7, 0
	s_lshl_b64 s[4:5], s[6:7], 5
	s_waitcnt lgkmcnt(0)
	s_cmp_eq_u64 s[2:3], 0
	v_xor_b32_e32 v3, 4, v9
	s_cselect_b32 s6, -1, 0
	v_cmp_gt_i32_e64 s0, 32, v3
	v_cndmask_b32_e64 v3, v9, v3, s0
	v_lshlrev_b32_e32 v7, 2, v3
	ds_bpermute_b32 v3, v7, v1
	ds_bpermute_b32 v4, v7, v2
	s_waitcnt lgkmcnt(0)
	v_add_f64 v[1:2], v[1:2], v[3:4]
	v_xor_b32_e32 v3, 2, v9
	v_cmp_gt_i32_e64 s0, 32, v3
	v_cndmask_b32_e64 v3, v9, v3, s0
	v_lshlrev_b32_e32 v8, 2, v3
	ds_bpermute_b32 v3, v8, v1
	ds_bpermute_b32 v4, v8, v2
	s_waitcnt lgkmcnt(0)
	v_add_f64 v[1:2], v[1:2], v[3:4]
	v_xor_b32_e32 v3, 1, v9
	v_cmp_gt_i32_e64 s0, 32, v3
	v_cndmask_b32_e64 v3, v9, v3, s0
	v_cmp_ne_u32_e64 s0, 0, v0
	v_lshlrev_b32_e32 v9, 2, v3
	ds_bpermute_b32 v3, v9, v1
	ds_bpermute_b32 v4, v9, v2
	s_waitcnt lgkmcnt(0)
	v_add_f64 v[1:2], v[1:2], v[3:4]
	v_or_b32_e32 v3, s4, v5
	v_mov_b32_e32 v4, s5
	v_cmp_le_i64_e64 s1, s[10:11], v[3:4]
	s_or_b32 s1, s0, s1
	s_nor_b32 s1, s6, s1
	s_and_saveexec_b32 s7, s1
	s_cbranch_execz .LBB134_87
; %bb.86:
	v_lshlrev_b64 v[3:4], 3, v[3:4]
	v_add_co_u32 v3, s1, s2, v3
	v_add_co_ci_u32_e64 v4, null, s3, v4, s1
	global_store_dwordx2 v[3:4], v[1:2], off
.LBB134_87:
	s_or_b32 exec_lo, exec_lo, s7
	v_cmp_gt_u32_e64 s1, 24, v5
	s_and_b32 exec_lo, exec_lo, s1
	s_cbranch_execz .LBB134_102
; %bb.88:
	s_and_saveexec_b32 s1, vcc_lo
	s_cbranch_execz .LBB134_90
; %bb.89:
	v_lshlrev_b32_e32 v0, 3, v5
	v_lshlrev_b32_e32 v1, 3, v6
	v_add3_u32 v0, 0, v0, v1
	ds_read_b64 v[1:2], v0 offset:64
.LBB134_90:
	s_or_b32 exec_lo, exec_lo, s1
	s_waitcnt lgkmcnt(0)
	ds_bpermute_b32 v3, v7, v1
	ds_bpermute_b32 v4, v7, v2
	s_waitcnt lgkmcnt(0)
	v_add_f64 v[0:1], v[1:2], v[3:4]
	v_add_nc_u32_e32 v4, 8, v5
	ds_bpermute_b32 v2, v8, v0
	ds_bpermute_b32 v3, v8, v1
	s_waitcnt lgkmcnt(0)
	v_add_f64 v[0:1], v[0:1], v[2:3]
	ds_bpermute_b32 v2, v9, v0
	ds_bpermute_b32 v3, v9, v1
	s_waitcnt lgkmcnt(0)
	v_add_f64 v[0:1], v[0:1], v[2:3]
	v_add_co_u32 v2, s1, s4, v4
	v_add_co_ci_u32_e64 v3, null, s5, 0, s1
	v_cmp_le_i64_e64 s1, s[10:11], v[2:3]
	s_or_b32 s1, s0, s1
	s_nor_b32 s1, s6, s1
	s_and_saveexec_b32 s7, s1
	s_cbranch_execz .LBB134_92
; %bb.91:
	v_add_co_u32 v2, s1, s4, v5
	v_add_co_ci_u32_e64 v3, null, s5, 0, s1
	v_lshlrev_b64 v[2:3], 3, v[2:3]
	v_add_co_u32 v2, s1, s2, v2
	v_add_co_ci_u32_e64 v3, null, s3, v3, s1
	global_store_dwordx2 v[2:3], v[0:1], off offset:64
.LBB134_92:
	s_or_b32 exec_lo, exec_lo, s7
	v_cmp_gt_u32_e64 s1, 16, v5
	s_and_b32 exec_lo, exec_lo, s1
	s_cbranch_execz .LBB134_102
; %bb.93:
	s_and_saveexec_b32 s1, vcc_lo
	s_cbranch_execz .LBB134_95
; %bb.94:
	v_lshlrev_b32_e32 v0, 3, v5
	v_lshlrev_b32_e32 v1, 3, v6
	v_add3_u32 v0, 0, v0, v1
	ds_read_b64 v[0:1], v0 offset:128
.LBB134_95:
	s_or_b32 exec_lo, exec_lo, s1
	s_waitcnt lgkmcnt(0)
	ds_bpermute_b32 v2, v7, v0
	ds_bpermute_b32 v3, v7, v1
	s_waitcnt lgkmcnt(0)
	v_add_f64 v[0:1], v[0:1], v[2:3]
	ds_bpermute_b32 v2, v8, v0
	ds_bpermute_b32 v3, v8, v1
	s_waitcnt lgkmcnt(0)
	v_add_f64 v[0:1], v[0:1], v[2:3]
	;; [unrolled: 4-line block ×3, first 2 shown]
	v_add_nc_u32_e32 v2, 16, v5
	v_mov_b32_e32 v3, s5
	v_or_b32_e32 v2, s4, v2
	v_cmp_le_i64_e64 s1, s[10:11], v[2:3]
	s_or_b32 s1, s0, s1
	s_nor_b32 s1, s6, s1
	s_and_saveexec_b32 s7, s1
	s_cbranch_execz .LBB134_97
; %bb.96:
	v_add_co_u32 v2, s1, s4, v5
	v_add_co_ci_u32_e64 v3, null, s5, 0, s1
	v_lshlrev_b64 v[2:3], 3, v[2:3]
	v_add_co_u32 v2, s1, s2, v2
	v_add_co_ci_u32_e64 v3, null, s3, v3, s1
	global_store_dwordx2 v[2:3], v[0:1], off offset:128
.LBB134_97:
	s_or_b32 exec_lo, exec_lo, s7
	v_cmp_gt_u32_e64 s1, 8, v5
	s_and_b32 exec_lo, exec_lo, s1
	s_cbranch_execz .LBB134_102
; %bb.98:
	s_and_saveexec_b32 s1, vcc_lo
	s_cbranch_execz .LBB134_100
; %bb.99:
	v_lshlrev_b32_e32 v0, 3, v5
	v_lshlrev_b32_e32 v1, 3, v6
	v_add3_u32 v0, 0, v0, v1
	ds_read_b64 v[0:1], v0 offset:192
.LBB134_100:
	s_or_b32 exec_lo, exec_lo, s1
	s_waitcnt lgkmcnt(0)
	ds_bpermute_b32 v2, v7, v0
	ds_bpermute_b32 v3, v7, v1
	v_add_nc_u32_e32 v4, 24, v5
	v_mov_b32_e32 v7, s5
	v_or_b32_e32 v6, s4, v4
	v_cmp_le_i64_e32 vcc_lo, s[10:11], v[6:7]
	s_or_b32 s0, s0, vcc_lo
	s_nor_b32 s0, s6, s0
	s_waitcnt lgkmcnt(0)
	v_add_f64 v[0:1], v[0:1], v[2:3]
	ds_bpermute_b32 v2, v8, v0
	ds_bpermute_b32 v3, v8, v1
	s_waitcnt lgkmcnt(0)
	v_add_f64 v[0:1], v[0:1], v[2:3]
	ds_bpermute_b32 v2, v9, v0
	ds_bpermute_b32 v3, v9, v1
	s_and_saveexec_b32 s1, s0
	s_xor_b32 s1, exec_lo, s1
	s_cbranch_execz .LBB134_102
; %bb.101:
	s_waitcnt lgkmcnt(0)
	v_add_f64 v[0:1], v[0:1], v[2:3]
	v_add_co_u32 v2, s0, s4, v5
	v_add_co_ci_u32_e64 v3, null, s5, 0, s0
	v_lshlrev_b64 v[2:3], 3, v[2:3]
	v_add_co_u32 v2, vcc_lo, s2, v2
	v_add_co_ci_u32_e64 v3, null, s3, v3, vcc_lo
	global_store_dwordx2 v[2:3], v[0:1], off offset:192
.LBB134_102:
	s_endpgm
	.section	.rodata,"a",@progbits
	.p2align	6, 0x0
	.amdhsa_kernel _ZN2at6native12_GLOBAL__N_135GammaBetaBackwardCUDAKernelTemplateIddLj32ELj8ELj64ELb0ELb0ELb1EEEvllPKT_S5_PKT0_S8_PS3_S9_
		.amdhsa_group_segment_fixed_size 0
		.amdhsa_private_segment_fixed_size 0
		.amdhsa_kernarg_size 320
		.amdhsa_user_sgpr_count 6
		.amdhsa_user_sgpr_private_segment_buffer 1
		.amdhsa_user_sgpr_dispatch_ptr 0
		.amdhsa_user_sgpr_queue_ptr 0
		.amdhsa_user_sgpr_kernarg_segment_ptr 1
		.amdhsa_user_sgpr_dispatch_id 0
		.amdhsa_user_sgpr_flat_scratch_init 0
		.amdhsa_user_sgpr_private_segment_size 0
		.amdhsa_wavefront_size32 1
		.amdhsa_uses_dynamic_stack 0
		.amdhsa_system_sgpr_private_segment_wavefront_offset 0
		.amdhsa_system_sgpr_workgroup_id_x 1
		.amdhsa_system_sgpr_workgroup_id_y 1
		.amdhsa_system_sgpr_workgroup_id_z 0
		.amdhsa_system_sgpr_workgroup_info 0
		.amdhsa_system_vgpr_workitem_id 1
		.amdhsa_next_free_vgpr 106
		.amdhsa_next_free_sgpr 30
		.amdhsa_reserve_vcc 1
		.amdhsa_reserve_flat_scratch 0
		.amdhsa_float_round_mode_32 0
		.amdhsa_float_round_mode_16_64 0
		.amdhsa_float_denorm_mode_32 3
		.amdhsa_float_denorm_mode_16_64 3
		.amdhsa_dx10_clamp 1
		.amdhsa_ieee_mode 1
		.amdhsa_fp16_overflow 0
		.amdhsa_workgroup_processor_mode 1
		.amdhsa_memory_ordered 1
		.amdhsa_forward_progress 1
		.amdhsa_shared_vgpr_count 0
		.amdhsa_exception_fp_ieee_invalid_op 0
		.amdhsa_exception_fp_denorm_src 0
		.amdhsa_exception_fp_ieee_div_zero 0
		.amdhsa_exception_fp_ieee_overflow 0
		.amdhsa_exception_fp_ieee_underflow 0
		.amdhsa_exception_fp_ieee_inexact 0
		.amdhsa_exception_int_div_zero 0
	.end_amdhsa_kernel
	.section	.text._ZN2at6native12_GLOBAL__N_135GammaBetaBackwardCUDAKernelTemplateIddLj32ELj8ELj64ELb0ELb0ELb1EEEvllPKT_S5_PKT0_S8_PS3_S9_,"axG",@progbits,_ZN2at6native12_GLOBAL__N_135GammaBetaBackwardCUDAKernelTemplateIddLj32ELj8ELj64ELb0ELb0ELb1EEEvllPKT_S5_PKT0_S8_PS3_S9_,comdat
.Lfunc_end134:
	.size	_ZN2at6native12_GLOBAL__N_135GammaBetaBackwardCUDAKernelTemplateIddLj32ELj8ELj64ELb0ELb0ELb1EEEvllPKT_S5_PKT0_S8_PS3_S9_, .Lfunc_end134-_ZN2at6native12_GLOBAL__N_135GammaBetaBackwardCUDAKernelTemplateIddLj32ELj8ELj64ELb0ELb0ELb1EEEvllPKT_S5_PKT0_S8_PS3_S9_
                                        ; -- End function
	.set _ZN2at6native12_GLOBAL__N_135GammaBetaBackwardCUDAKernelTemplateIddLj32ELj8ELj64ELb0ELb0ELb1EEEvllPKT_S5_PKT0_S8_PS3_S9_.num_vgpr, 106
	.set _ZN2at6native12_GLOBAL__N_135GammaBetaBackwardCUDAKernelTemplateIddLj32ELj8ELj64ELb0ELb0ELb1EEEvllPKT_S5_PKT0_S8_PS3_S9_.num_agpr, 0
	.set _ZN2at6native12_GLOBAL__N_135GammaBetaBackwardCUDAKernelTemplateIddLj32ELj8ELj64ELb0ELb0ELb1EEEvllPKT_S5_PKT0_S8_PS3_S9_.numbered_sgpr, 30
	.set _ZN2at6native12_GLOBAL__N_135GammaBetaBackwardCUDAKernelTemplateIddLj32ELj8ELj64ELb0ELb0ELb1EEEvllPKT_S5_PKT0_S8_PS3_S9_.num_named_barrier, 0
	.set _ZN2at6native12_GLOBAL__N_135GammaBetaBackwardCUDAKernelTemplateIddLj32ELj8ELj64ELb0ELb0ELb1EEEvllPKT_S5_PKT0_S8_PS3_S9_.private_seg_size, 0
	.set _ZN2at6native12_GLOBAL__N_135GammaBetaBackwardCUDAKernelTemplateIddLj32ELj8ELj64ELb0ELb0ELb1EEEvllPKT_S5_PKT0_S8_PS3_S9_.uses_vcc, 1
	.set _ZN2at6native12_GLOBAL__N_135GammaBetaBackwardCUDAKernelTemplateIddLj32ELj8ELj64ELb0ELb0ELb1EEEvllPKT_S5_PKT0_S8_PS3_S9_.uses_flat_scratch, 0
	.set _ZN2at6native12_GLOBAL__N_135GammaBetaBackwardCUDAKernelTemplateIddLj32ELj8ELj64ELb0ELb0ELb1EEEvllPKT_S5_PKT0_S8_PS3_S9_.has_dyn_sized_stack, 0
	.set _ZN2at6native12_GLOBAL__N_135GammaBetaBackwardCUDAKernelTemplateIddLj32ELj8ELj64ELb0ELb0ELb1EEEvllPKT_S5_PKT0_S8_PS3_S9_.has_recursion, 0
	.set _ZN2at6native12_GLOBAL__N_135GammaBetaBackwardCUDAKernelTemplateIddLj32ELj8ELj64ELb0ELb0ELb1EEEvllPKT_S5_PKT0_S8_PS3_S9_.has_indirect_call, 0
	.section	.AMDGPU.csdata,"",@progbits
; Kernel info:
; codeLenInByte = 9196
; TotalNumSgprs: 32
; NumVgprs: 106
; ScratchSize: 0
; MemoryBound: 1
; FloatMode: 240
; IeeeMode: 1
; LDSByteSize: 0 bytes/workgroup (compile time only)
; SGPRBlocks: 0
; VGPRBlocks: 13
; NumSGPRsForWavesPerEU: 32
; NumVGPRsForWavesPerEU: 106
; Occupancy: 9
; WaveLimiterHint : 0
; COMPUTE_PGM_RSRC2:SCRATCH_EN: 0
; COMPUTE_PGM_RSRC2:USER_SGPR: 6
; COMPUTE_PGM_RSRC2:TRAP_HANDLER: 0
; COMPUTE_PGM_RSRC2:TGID_X_EN: 1
; COMPUTE_PGM_RSRC2:TGID_Y_EN: 1
; COMPUTE_PGM_RSRC2:TGID_Z_EN: 0
; COMPUTE_PGM_RSRC2:TIDIG_COMP_CNT: 1
	.section	.text._ZN2at6native12_GLOBAL__N_135GammaBetaBackwardCUDAKernelTemplateIddLj32ELj16ELj128ELb0ELb1ELb1EEEvllPKT_S5_PKT0_S8_PS3_S9_,"axG",@progbits,_ZN2at6native12_GLOBAL__N_135GammaBetaBackwardCUDAKernelTemplateIddLj32ELj16ELj128ELb0ELb1ELb1EEEvllPKT_S5_PKT0_S8_PS3_S9_,comdat
	.globl	_ZN2at6native12_GLOBAL__N_135GammaBetaBackwardCUDAKernelTemplateIddLj32ELj16ELj128ELb0ELb1ELb1EEEvllPKT_S5_PKT0_S8_PS3_S9_ ; -- Begin function _ZN2at6native12_GLOBAL__N_135GammaBetaBackwardCUDAKernelTemplateIddLj32ELj16ELj128ELb0ELb1ELb1EEEvllPKT_S5_PKT0_S8_PS3_S9_
	.p2align	8
	.type	_ZN2at6native12_GLOBAL__N_135GammaBetaBackwardCUDAKernelTemplateIddLj32ELj16ELj128ELb0ELb1ELb1EEEvllPKT_S5_PKT0_S8_PS3_S9_,@function
_ZN2at6native12_GLOBAL__N_135GammaBetaBackwardCUDAKernelTemplateIddLj32ELj16ELj128ELb0ELb1ELb1EEEvllPKT_S5_PKT0_S8_PS3_S9_: ; @_ZN2at6native12_GLOBAL__N_135GammaBetaBackwardCUDAKernelTemplateIddLj32ELj16ELj128ELb0ELb1ELb1EEEvllPKT_S5_PKT0_S8_PS3_S9_
; %bb.0:
	s_load_dwordx4 s[8:11], s[4:5], 0x0
	s_lshl_b32 s16, s7, 7
	s_mov_b32 s17, 0
	s_waitcnt lgkmcnt(0)
	v_cmp_gt_i64_e64 s0, s[8:9], s[16:17]
	s_and_b32 vcc_lo, exec_lo, s0
	s_cbranch_vccnz .LBB135_2
; %bb.1:
	s_mov_b32 s0, s17
	s_branch .LBB135_3
.LBB135_2:
	s_mov_b32 s0, -1
.LBB135_3:
	s_load_dwordx2 s[2:3], s[4:5], 0x30
	v_mov_b32_e32 v8, 0
	v_mov_b32_e32 v9, 0
	s_andn2_b32 vcc_lo, exec_lo, s0
	s_cbranch_vccnz .LBB135_10
; %bb.4:
	s_clause 0x3
	s_load_dword s0, s[4:5], 0x4c
	s_load_dword s1, s[4:5], 0x44
	s_load_dwordx4 s[12:15], s[4:5], 0x10
	s_load_dwordx2 s[18:19], s[4:5], 0x28
	v_lshlrev_b32_e32 v4, 3, v1
	v_mov_b32_e32 v3, 0
	v_lshl_add_u32 v2, s6, 5, v0
	v_mov_b32_e32 v12, 8
	v_mov_b32_e32 v13, 4
	v_add_co_u32 v4, s4, v4, s16
	v_add_co_ci_u32_e64 v5, null, 0, 0, s4
	v_lshlrev_b64 v[8:9], 3, v[2:3]
	v_mul_lo_u32 v10, s11, v4
	v_mov_b32_e32 v14, 12
	v_mul_lo_u32 v11, s10, v5
	v_mov_b32_e32 v15, 16
	v_mov_b32_e32 v16, 20
	;; [unrolled: 1-line block ×3, first 2 shown]
	s_waitcnt lgkmcnt(0)
	s_and_b32 s0, s0, 0xffff
	s_lshl_b32 s4, s1, 7
	v_mad_u32_u24 v6, v1, s0, v0
	s_mul_i32 s1, s11, s4
	s_mul_hi_u32 s7, s10, s4
	v_mov_b32_e32 v18, 28
	s_mov_b32 s5, 0
	v_and_b32_e32 v21, 31, v6
	v_mad_u64_u32 v[6:7], null, s10, v4, 0
	s_add_i32 s21, s7, s1
	s_mul_i32 s20, s10, s4
	v_add_co_u32 v4, vcc_lo, v4, v21
	v_add_co_ci_u32_e64 v5, null, 0, v5, vcc_lo
	v_add3_u32 v7, v7, v11, v10
	v_cmp_gt_u32_e64 s0, 8, v21
	s_lshl_b64 s[20:21], s[20:21], 3
	v_lshlrev_b64 v[10:11], 3, v[4:5]
	s_lshl_b64 s[10:11], s[10:11], 3
	v_lshlrev_b64 v[19:20], 3, v[6:7]
	v_add_co_u32 v6, vcc_lo, s18, v10
	v_add_co_ci_u32_e64 v7, null, s19, v11, vcc_lo
	v_add_co_u32 v2, vcc_lo, v19, v8
	v_add_co_ci_u32_e64 v19, null, v20, v9, vcc_lo
	v_mov_b32_e32 v8, 0
	v_mov_b32_e32 v9, 0
	s_lshl_b64 s[18:19], s[4:5], 3
	s_branch .LBB135_7
.LBB135_5:                              ;   in Loop: Header=BB135_7 Depth=1
	s_or_b32 exec_lo, exec_lo, s5
.LBB135_6:                              ;   in Loop: Header=BB135_7 Depth=1
	s_or_b32 exec_lo, exec_lo, s1
	v_add_co_u32 v20, vcc_lo, s12, v2
	v_add_co_ci_u32_e64 v21, null, s13, v19, vcc_lo
	v_add_co_u32 v22, vcc_lo, s14, v2
	v_add_co_ci_u32_e64 v23, null, s15, v19, vcc_lo
	global_load_dwordx2 v[24:25], v[20:21], off
	global_load_dwordx2 v[26:27], v[22:23], off
	v_add_co_u32 v20, vcc_lo, v20, s10
	v_add_co_ci_u32_e64 v21, null, s11, v21, vcc_lo
	v_add_co_u32 v22, vcc_lo, v22, s10
	v_add_co_ci_u32_e64 v23, null, s11, v23, vcc_lo
	global_load_dwordx2 v[28:29], v[20:21], off
	global_load_dwordx2 v[30:31], v[22:23], off
	;; [unrolled: 6-line block ×8, first 2 shown]
	s_add_u32 s16, s16, s4
	v_add_co_u32 v6, vcc_lo, v6, s18
	s_addc_u32 s17, s17, 0
	v_add_co_ci_u32_e64 v7, null, s19, v7, vcc_lo
	v_add_co_u32 v4, vcc_lo, v4, s4
	v_cmp_lt_i64_e64 s1, s[16:17], s[8:9]
	v_add_co_ci_u32_e64 v5, null, 0, v5, vcc_lo
	v_add_co_u32 v2, vcc_lo, v2, s20
	v_add_co_ci_u32_e64 v19, null, s21, v19, vcc_lo
	s_and_b32 vcc_lo, exec_lo, s1
	s_waitcnt vmcnt(14)
	v_mul_f64 v[24:25], v[24:25], v[26:27]
	ds_bpermute_b32 v26, v3, v10
	ds_bpermute_b32 v27, v3, v11
	s_waitcnt vmcnt(12)
	v_mul_f64 v[28:29], v[28:29], v[30:31]
	s_waitcnt lgkmcnt(0)
	v_fma_f64 v[8:9], v[24:25], v[26:27], v[8:9]
	ds_bpermute_b32 v24, v13, v10
	ds_bpermute_b32 v25, v13, v11
	s_waitcnt vmcnt(10)
	v_mul_f64 v[26:27], v[32:33], v[34:35]
	s_waitcnt lgkmcnt(0)
	v_fma_f64 v[8:9], v[28:29], v[24:25], v[8:9]
	;; [unrolled: 6-line block ×3, first 2 shown]
	ds_bpermute_b32 v24, v14, v10
	ds_bpermute_b32 v25, v14, v11
	s_waitcnt vmcnt(6)
	v_mul_f64 v[26:27], v[40:41], v[42:43]
	s_waitcnt vmcnt(0)
	v_mul_f64 v[20:21], v[20:21], v[22:23]
	s_waitcnt lgkmcnt(0)
	v_fma_f64 v[8:9], v[28:29], v[24:25], v[8:9]
	ds_bpermute_b32 v24, v15, v10
	ds_bpermute_b32 v25, v15, v11
	v_mul_f64 v[28:29], v[44:45], v[46:47]
	s_waitcnt lgkmcnt(0)
	v_fma_f64 v[8:9], v[26:27], v[24:25], v[8:9]
	ds_bpermute_b32 v24, v16, v10
	ds_bpermute_b32 v25, v16, v11
	;; [unrolled: 5-line block ×3, first 2 shown]
	ds_bpermute_b32 v10, v18, v10
	ds_bpermute_b32 v11, v18, v11
	s_waitcnt lgkmcnt(2)
	v_fma_f64 v[8:9], v[26:27], v[24:25], v[8:9]
	s_waitcnt lgkmcnt(0)
	v_fma_f64 v[8:9], v[20:21], v[10:11], v[8:9]
	s_cbranch_vccz .LBB135_10
.LBB135_7:                              ; =>This Inner Loop Header: Depth=1
	v_mov_b32_e32 v10, 0
	v_mov_b32_e32 v11, 0
	s_and_saveexec_b32 s1, s0
	s_cbranch_execz .LBB135_6
; %bb.8:                                ;   in Loop: Header=BB135_7 Depth=1
	v_mov_b32_e32 v10, 0
	v_mov_b32_e32 v11, 0
	s_mov_b32 s5, exec_lo
	v_cmpx_gt_i64_e64 s[8:9], v[4:5]
	s_cbranch_execz .LBB135_5
; %bb.9:                                ;   in Loop: Header=BB135_7 Depth=1
	global_load_dwordx2 v[10:11], v[6:7], off
	s_branch .LBB135_5
.LBB135_10:
	v_mad_u32_u24 v3, v1, 33, v0
	v_lshrrev_b32_e32 v4, 5, v0
	v_mov_b32_e32 v2, 0
	s_mov_b32 s0, exec_lo
	v_lshl_add_u32 v5, v3, 3, 0
	v_add_nc_u32_e32 v1, v4, v1
	v_mov_b32_e32 v3, v2
	ds_write_b64 v5, v[8:9]
	ds_write_b64 v5, v[2:3] offset:4224
	s_waitcnt lgkmcnt(0)
	s_barrier
	buffer_gl0_inv
	v_cmpx_gt_u32_e32 32, v1
	s_cbranch_execz .LBB135_20
; %bb.11:
	v_and_b32_e32 v2, 31, v0
	v_cmp_gt_u32_e32 vcc_lo, 16, v2
	v_mul_u32_u24_e32 v5, 33, v2
                                        ; implicit-def: $vgpr2_vgpr3
	s_and_saveexec_b32 s0, vcc_lo
	s_cbranch_execz .LBB135_13
; %bb.12:
	v_lshlrev_b32_e32 v2, 3, v1
	v_lshlrev_b32_e32 v3, 3, v5
	v_add3_u32 v2, 0, v2, v3
	ds_read_b64 v[2:3], v2
.LBB135_13:
	s_or_b32 exec_lo, exec_lo, s0
	v_mbcnt_lo_u32_b32 v4, -1, 0
	s_cmp_lg_u64 s[2:3], 0
	s_mov_b32 s7, 0
	s_cselect_b32 s1, -1, 0
	s_lshl_b64 s[6:7], s[6:7], 8
	v_xor_b32_e32 v6, 8, v4
	v_cmp_gt_i32_e64 s0, 32, v6
	v_cndmask_b32_e64 v6, v4, v6, s0
	v_lshlrev_b32_e32 v6, 2, v6
	s_waitcnt lgkmcnt(0)
	ds_bpermute_b32 v7, v6, v2
	ds_bpermute_b32 v8, v6, v3
	s_waitcnt lgkmcnt(0)
	v_add_f64 v[2:3], v[2:3], v[7:8]
	v_xor_b32_e32 v7, 4, v4
	v_cmp_gt_i32_e64 s0, 32, v7
	v_cndmask_b32_e64 v7, v4, v7, s0
	v_lshlrev_b32_e32 v7, 2, v7
	ds_bpermute_b32 v8, v7, v2
	ds_bpermute_b32 v9, v7, v3
	s_waitcnt lgkmcnt(0)
	v_add_f64 v[2:3], v[2:3], v[8:9]
	v_xor_b32_e32 v8, 2, v4
	v_cmp_gt_i32_e64 s0, 32, v8
	v_cndmask_b32_e64 v8, v4, v8, s0
	v_lshlrev_b32_e32 v8, 2, v8
	ds_bpermute_b32 v9, v8, v2
	ds_bpermute_b32 v10, v8, v3
	s_waitcnt lgkmcnt(0)
	v_add_f64 v[2:3], v[2:3], v[9:10]
	v_xor_b32_e32 v9, 1, v4
	v_cmp_gt_i32_e64 s0, 32, v9
	v_cndmask_b32_e64 v4, v4, v9, s0
	v_cmp_eq_u32_e64 s0, 0, v0
	v_lshlrev_b32_e32 v9, 2, v4
	s_and_b32 s4, s0, s1
	s_add_u32 s1, s2, s6
	s_addc_u32 s2, s3, s7
	ds_bpermute_b32 v10, v9, v2
	ds_bpermute_b32 v11, v9, v3
	s_waitcnt lgkmcnt(0)
	v_add_f64 v[3:4], v[2:3], v[10:11]
	s_and_saveexec_b32 s3, s4
	s_cbranch_execz .LBB135_15
; %bb.14:
	v_mov_b32_e32 v2, 0
	v_lshlrev_b64 v[10:11], 3, v[1:2]
	v_add_co_u32 v10, s0, s1, v10
	v_add_co_ci_u32_e64 v11, null, s2, v11, s0
	global_store_dwordx2 v[10:11], v[3:4], off
.LBB135_15:
	s_or_b32 exec_lo, exec_lo, s3
	v_cmp_gt_u32_e64 s0, 16, v1
	s_and_b32 exec_lo, exec_lo, s0
	s_cbranch_execz .LBB135_20
; %bb.16:
	s_and_saveexec_b32 s0, vcc_lo
	s_cbranch_execz .LBB135_18
; %bb.17:
	v_lshlrev_b32_e32 v0, 3, v1
	v_lshlrev_b32_e32 v2, 3, v5
	v_add3_u32 v0, 0, v0, v2
	ds_read_b64 v[3:4], v0 offset:128
.LBB135_18:
	s_or_b32 exec_lo, exec_lo, s0
	s_waitcnt lgkmcnt(0)
	ds_bpermute_b32 v5, v6, v3
	ds_bpermute_b32 v6, v6, v4
	s_waitcnt lgkmcnt(0)
	v_add_f64 v[2:3], v[3:4], v[5:6]
	ds_bpermute_b32 v4, v7, v2
	ds_bpermute_b32 v5, v7, v3
	s_waitcnt lgkmcnt(0)
	v_add_f64 v[2:3], v[2:3], v[4:5]
	;; [unrolled: 4-line block ×3, first 2 shown]
	ds_bpermute_b32 v4, v9, v2
	ds_bpermute_b32 v5, v9, v3
	s_and_saveexec_b32 s0, s4
	s_xor_b32 s0, exec_lo, s0
	s_cbranch_execz .LBB135_20
; %bb.19:
	s_waitcnt lgkmcnt(0)
	v_add_f64 v[3:4], v[2:3], v[4:5]
	v_mov_b32_e32 v2, 0
	v_lshlrev_b64 v[0:1], 3, v[1:2]
	v_add_co_u32 v0, vcc_lo, s1, v0
	v_add_co_ci_u32_e64 v1, null, s2, v1, vcc_lo
	global_store_dwordx2 v[0:1], v[3:4], off offset:128
.LBB135_20:
	s_endpgm
	.section	.rodata,"a",@progbits
	.p2align	6, 0x0
	.amdhsa_kernel _ZN2at6native12_GLOBAL__N_135GammaBetaBackwardCUDAKernelTemplateIddLj32ELj16ELj128ELb0ELb1ELb1EEEvllPKT_S5_PKT0_S8_PS3_S9_
		.amdhsa_group_segment_fixed_size 0
		.amdhsa_private_segment_fixed_size 0
		.amdhsa_kernarg_size 320
		.amdhsa_user_sgpr_count 6
		.amdhsa_user_sgpr_private_segment_buffer 1
		.amdhsa_user_sgpr_dispatch_ptr 0
		.amdhsa_user_sgpr_queue_ptr 0
		.amdhsa_user_sgpr_kernarg_segment_ptr 1
		.amdhsa_user_sgpr_dispatch_id 0
		.amdhsa_user_sgpr_flat_scratch_init 0
		.amdhsa_user_sgpr_private_segment_size 0
		.amdhsa_wavefront_size32 1
		.amdhsa_uses_dynamic_stack 0
		.amdhsa_system_sgpr_private_segment_wavefront_offset 0
		.amdhsa_system_sgpr_workgroup_id_x 1
		.amdhsa_system_sgpr_workgroup_id_y 1
		.amdhsa_system_sgpr_workgroup_id_z 0
		.amdhsa_system_sgpr_workgroup_info 0
		.amdhsa_system_vgpr_workitem_id 1
		.amdhsa_next_free_vgpr 52
		.amdhsa_next_free_sgpr 22
		.amdhsa_reserve_vcc 1
		.amdhsa_reserve_flat_scratch 0
		.amdhsa_float_round_mode_32 0
		.amdhsa_float_round_mode_16_64 0
		.amdhsa_float_denorm_mode_32 3
		.amdhsa_float_denorm_mode_16_64 3
		.amdhsa_dx10_clamp 1
		.amdhsa_ieee_mode 1
		.amdhsa_fp16_overflow 0
		.amdhsa_workgroup_processor_mode 1
		.amdhsa_memory_ordered 1
		.amdhsa_forward_progress 1
		.amdhsa_shared_vgpr_count 0
		.amdhsa_exception_fp_ieee_invalid_op 0
		.amdhsa_exception_fp_denorm_src 0
		.amdhsa_exception_fp_ieee_div_zero 0
		.amdhsa_exception_fp_ieee_overflow 0
		.amdhsa_exception_fp_ieee_underflow 0
		.amdhsa_exception_fp_ieee_inexact 0
		.amdhsa_exception_int_div_zero 0
	.end_amdhsa_kernel
	.section	.text._ZN2at6native12_GLOBAL__N_135GammaBetaBackwardCUDAKernelTemplateIddLj32ELj16ELj128ELb0ELb1ELb1EEEvllPKT_S5_PKT0_S8_PS3_S9_,"axG",@progbits,_ZN2at6native12_GLOBAL__N_135GammaBetaBackwardCUDAKernelTemplateIddLj32ELj16ELj128ELb0ELb1ELb1EEEvllPKT_S5_PKT0_S8_PS3_S9_,comdat
.Lfunc_end135:
	.size	_ZN2at6native12_GLOBAL__N_135GammaBetaBackwardCUDAKernelTemplateIddLj32ELj16ELj128ELb0ELb1ELb1EEEvllPKT_S5_PKT0_S8_PS3_S9_, .Lfunc_end135-_ZN2at6native12_GLOBAL__N_135GammaBetaBackwardCUDAKernelTemplateIddLj32ELj16ELj128ELb0ELb1ELb1EEEvllPKT_S5_PKT0_S8_PS3_S9_
                                        ; -- End function
	.set _ZN2at6native12_GLOBAL__N_135GammaBetaBackwardCUDAKernelTemplateIddLj32ELj16ELj128ELb0ELb1ELb1EEEvllPKT_S5_PKT0_S8_PS3_S9_.num_vgpr, 52
	.set _ZN2at6native12_GLOBAL__N_135GammaBetaBackwardCUDAKernelTemplateIddLj32ELj16ELj128ELb0ELb1ELb1EEEvllPKT_S5_PKT0_S8_PS3_S9_.num_agpr, 0
	.set _ZN2at6native12_GLOBAL__N_135GammaBetaBackwardCUDAKernelTemplateIddLj32ELj16ELj128ELb0ELb1ELb1EEEvllPKT_S5_PKT0_S8_PS3_S9_.numbered_sgpr, 22
	.set _ZN2at6native12_GLOBAL__N_135GammaBetaBackwardCUDAKernelTemplateIddLj32ELj16ELj128ELb0ELb1ELb1EEEvllPKT_S5_PKT0_S8_PS3_S9_.num_named_barrier, 0
	.set _ZN2at6native12_GLOBAL__N_135GammaBetaBackwardCUDAKernelTemplateIddLj32ELj16ELj128ELb0ELb1ELb1EEEvllPKT_S5_PKT0_S8_PS3_S9_.private_seg_size, 0
	.set _ZN2at6native12_GLOBAL__N_135GammaBetaBackwardCUDAKernelTemplateIddLj32ELj16ELj128ELb0ELb1ELb1EEEvllPKT_S5_PKT0_S8_PS3_S9_.uses_vcc, 1
	.set _ZN2at6native12_GLOBAL__N_135GammaBetaBackwardCUDAKernelTemplateIddLj32ELj16ELj128ELb0ELb1ELb1EEEvllPKT_S5_PKT0_S8_PS3_S9_.uses_flat_scratch, 0
	.set _ZN2at6native12_GLOBAL__N_135GammaBetaBackwardCUDAKernelTemplateIddLj32ELj16ELj128ELb0ELb1ELb1EEEvllPKT_S5_PKT0_S8_PS3_S9_.has_dyn_sized_stack, 0
	.set _ZN2at6native12_GLOBAL__N_135GammaBetaBackwardCUDAKernelTemplateIddLj32ELj16ELj128ELb0ELb1ELb1EEEvllPKT_S5_PKT0_S8_PS3_S9_.has_recursion, 0
	.set _ZN2at6native12_GLOBAL__N_135GammaBetaBackwardCUDAKernelTemplateIddLj32ELj16ELj128ELb0ELb1ELb1EEEvllPKT_S5_PKT0_S8_PS3_S9_.has_indirect_call, 0
	.section	.AMDGPU.csdata,"",@progbits
; Kernel info:
; codeLenInByte = 1828
; TotalNumSgprs: 24
; NumVgprs: 52
; ScratchSize: 0
; MemoryBound: 0
; FloatMode: 240
; IeeeMode: 1
; LDSByteSize: 0 bytes/workgroup (compile time only)
; SGPRBlocks: 0
; VGPRBlocks: 6
; NumSGPRsForWavesPerEU: 24
; NumVGPRsForWavesPerEU: 52
; Occupancy: 16
; WaveLimiterHint : 0
; COMPUTE_PGM_RSRC2:SCRATCH_EN: 0
; COMPUTE_PGM_RSRC2:USER_SGPR: 6
; COMPUTE_PGM_RSRC2:TRAP_HANDLER: 0
; COMPUTE_PGM_RSRC2:TGID_X_EN: 1
; COMPUTE_PGM_RSRC2:TGID_Y_EN: 1
; COMPUTE_PGM_RSRC2:TGID_Z_EN: 0
; COMPUTE_PGM_RSRC2:TIDIG_COMP_CNT: 1
	.section	.text._ZN2at6native12_GLOBAL__N_135GammaBetaBackwardCUDAKernelTemplateIddLj32ELj16ELj128ELb0ELb0ELb1EEEvllPKT_S5_PKT0_S8_PS3_S9_,"axG",@progbits,_ZN2at6native12_GLOBAL__N_135GammaBetaBackwardCUDAKernelTemplateIddLj32ELj16ELj128ELb0ELb0ELb1EEEvllPKT_S5_PKT0_S8_PS3_S9_,comdat
	.globl	_ZN2at6native12_GLOBAL__N_135GammaBetaBackwardCUDAKernelTemplateIddLj32ELj16ELj128ELb0ELb0ELb1EEEvllPKT_S5_PKT0_S8_PS3_S9_ ; -- Begin function _ZN2at6native12_GLOBAL__N_135GammaBetaBackwardCUDAKernelTemplateIddLj32ELj16ELj128ELb0ELb0ELb1EEEvllPKT_S5_PKT0_S8_PS3_S9_
	.p2align	8
	.type	_ZN2at6native12_GLOBAL__N_135GammaBetaBackwardCUDAKernelTemplateIddLj32ELj16ELj128ELb0ELb0ELb1EEEvllPKT_S5_PKT0_S8_PS3_S9_,@function
_ZN2at6native12_GLOBAL__N_135GammaBetaBackwardCUDAKernelTemplateIddLj32ELj16ELj128ELb0ELb0ELb1EEEvllPKT_S5_PKT0_S8_PS3_S9_: ; @_ZN2at6native12_GLOBAL__N_135GammaBetaBackwardCUDAKernelTemplateIddLj32ELj16ELj128ELb0ELb0ELb1EEEvllPKT_S5_PKT0_S8_PS3_S9_
; %bb.0:
	s_clause 0x1
	s_load_dwordx8 s[8:15], s[4:5], 0x0
	s_load_dwordx2 s[2:3], s[4:5], 0x28
	s_lshl_b32 s26, s6, 5
	s_mov_b32 s17, 0
	s_or_b32 s16, s26, 31
	s_waitcnt lgkmcnt(0)
	v_cmp_le_i64_e64 s0, s[10:11], s[16:17]
	s_lshl_b32 s16, s7, 7
	v_cmp_gt_i64_e64 s7, s[8:9], s[16:17]
	s_and_b32 vcc_lo, exec_lo, s0
	v_cndmask_b32_e64 v2, 0, 1, s7
	v_cmp_ne_u32_e64 s0, 1, v2
	s_cbranch_vccz .LBB136_48
; %bb.1:
	v_mov_b32_e32 v37, 0
	v_mov_b32_e32 v38, 0
	s_and_b32 vcc_lo, exec_lo, s0
	s_cbranch_vccnz .LBB136_49
; %bb.2:
	v_lshlrev_b32_e32 v43, 3, v1
	v_mov_b32_e32 v2, 0
	v_add_nc_u32_e32 v5, s26, v0
	s_load_dword s1, s[4:5], 0x44
	s_add_u32 s18, s4, 64
	v_add_co_u32 v11, s0, v43, s16
	v_add_co_ci_u32_e64 v12, null, 0, 0, s0
	v_mov_b32_e32 v6, v2
	v_mul_lo_u32 v7, s11, v11
	v_mad_u64_u32 v[3:4], null, s10, v11, 0
	v_mul_lo_u32 v8, s10, v12
	v_cmp_gt_i64_e64 s0, s[10:11], v[5:6]
	v_lshlrev_b64 v[35:36], 3, v[5:6]
	s_addc_u32 s19, s5, 0
	v_mov_b32_e32 v37, 0
	v_mov_b32_e32 v38, 0
	s_mov_b64 s[24:25], s[16:17]
	v_add3_u32 v4, v4, v8, v7
	v_add_co_u32 v7, vcc_lo, v11, 7
	v_add_co_ci_u32_e64 v8, null, 0, v12, vcc_lo
	v_lshlrev_b64 v[5:6], 3, v[3:4]
	v_mul_lo_u32 v13, s11, v7
	s_waitcnt lgkmcnt(0)
	s_lshl_b32 s27, s1, 7
	v_mul_lo_u32 v14, s10, v8
	v_mad_u64_u32 v[7:8], null, s10, v7, 0
	v_add_co_u32 v44, vcc_lo, s12, v5
	v_add_co_ci_u32_e64 v45, null, s13, v6, vcc_lo
	v_add_co_u32 v9, vcc_lo, v11, 6
	v_add_co_ci_u32_e64 v10, null, 0, v12, vcc_lo
	v_add_co_u32 v46, vcc_lo, s14, v5
	v_mul_lo_u32 v15, s11, v9
	v_mul_lo_u32 v16, s10, v10
	v_mad_u64_u32 v[9:10], null, s10, v9, 0
	v_add3_u32 v8, v8, v14, v13
	v_add_co_ci_u32_e64 v47, null, s15, v6, vcc_lo
	v_add_co_u32 v13, vcc_lo, v11, 5
	v_add_co_ci_u32_e64 v14, null, 0, v12, vcc_lo
	v_add3_u32 v10, v10, v16, v15
	v_lshlrev_b64 v[5:6], 3, v[7:8]
	v_mul_lo_u32 v15, s11, v13
	v_mul_lo_u32 v14, s10, v14
	s_mul_i32 s1, s11, s27
	v_lshlrev_b64 v[7:8], 3, v[9:10]
	v_mad_u64_u32 v[9:10], null, s10, v13, 0
	v_add_co_u32 v48, vcc_lo, s12, v5
	v_add_co_ci_u32_e64 v49, null, s13, v6, vcc_lo
	v_add_co_u32 v50, vcc_lo, s14, v5
	v_add_co_ci_u32_e64 v51, null, s15, v6, vcc_lo
	v_add_co_u32 v52, vcc_lo, s12, v7
	v_add3_u32 v10, v10, v14, v15
	s_mul_hi_u32 s20, s10, s27
	v_add_co_ci_u32_e64 v53, null, s13, v8, vcc_lo
	v_add_co_u32 v13, vcc_lo, v11, 4
	s_add_i32 s21, s20, s1
	v_add_co_u32 v54, s1, s14, v7
	v_add_co_ci_u32_e64 v7, null, 0, v12, vcc_lo
	v_lshlrev_b64 v[5:6], 3, v[9:10]
	v_add_co_u32 v9, vcc_lo, v11, 3
	v_add_co_ci_u32_e64 v10, null, 0, v12, vcc_lo
	v_add_co_ci_u32_e64 v55, null, s15, v8, s1
	v_mul_lo_u32 v14, s11, v13
	v_mul_lo_u32 v15, s10, v7
	v_mad_u64_u32 v[7:8], null, s10, v13, 0
	v_mul_lo_u32 v13, s11, v9
	v_mul_lo_u32 v16, s10, v10
	v_mad_u64_u32 v[9:10], null, s10, v9, 0
	v_add_co_u32 v56, vcc_lo, s12, v5
	v_add_co_ci_u32_e64 v57, null, s13, v6, vcc_lo
	v_add3_u32 v8, v8, v15, v14
	v_add_co_u32 v58, vcc_lo, s14, v5
	v_add_co_ci_u32_e64 v59, null, s15, v6, vcc_lo
	v_add_co_u32 v11, vcc_lo, v11, 2
	v_add3_u32 v10, v10, v16, v13
	v_add_co_ci_u32_e64 v12, null, 0, v12, vcc_lo
	v_lshlrev_b64 v[5:6], 3, v[7:8]
	v_mul_lo_u32 v13, s11, v11
	v_lshlrev_b64 v[7:8], 3, v[9:10]
	v_mul_lo_u32 v12, s10, v12
	v_mad_u64_u32 v[9:10], null, s10, v11, 0
	v_add_co_u32 v60, vcc_lo, s12, v5
	v_add_co_ci_u32_e64 v61, null, s13, v6, vcc_lo
	v_add_co_u32 v62, vcc_lo, s14, v5
	v_add_co_ci_u32_e64 v63, null, s15, v6, vcc_lo
	;; [unrolled: 2-line block ×3, first 2 shown]
	v_add3_u32 v10, v10, v12, v13
	v_add_co_u32 v66, vcc_lo, s14, v7
	v_add_co_ci_u32_e64 v67, null, s15, v8, vcc_lo
	v_add_co_u32 v3, vcc_lo, v3, s10
	v_add_co_ci_u32_e64 v4, null, s11, v4, vcc_lo
	v_lshlrev_b64 v[5:6], 3, v[9:10]
	s_mul_i32 s20, s10, s27
	v_lshlrev_b64 v[3:4], 3, v[3:4]
	s_lshl_b64 s[20:21], s[20:21], 3
	s_add_u32 s22, s16, 0x7f
	v_add_co_u32 v68, vcc_lo, s12, v5
	v_add_co_ci_u32_e64 v69, null, s13, v6, vcc_lo
	v_add_co_u32 v70, vcc_lo, s14, v5
	v_add_co_ci_u32_e64 v71, null, s15, v6, vcc_lo
	;; [unrolled: 2-line block ×4, first 2 shown]
	s_addc_u32 s23, 0, 0
	s_branch .LBB136_5
.LBB136_3:                              ;   in Loop: Header=BB136_5 Depth=1
	s_or_b32 exec_lo, exec_lo, s1
	s_waitcnt vmcnt(0)
	v_mul_f64 v[3:4], v[19:20], v[3:4]
	ds_bpermute_b32 v19, v2, v39
	ds_bpermute_b32 v20, v2, v40
	v_mul_f64 v[5:6], v[21:22], v[5:6]
	v_mul_f64 v[7:8], v[23:24], v[7:8]
	;; [unrolled: 1-line block ×3, first 2 shown]
	s_waitcnt lgkmcnt(0)
	v_fma_f64 v[3:4], v[3:4], v[19:20], v[37:38]
	ds_bpermute_b32 v19, v2, v39 offset:4
	ds_bpermute_b32 v20, v2, v40 offset:4
	s_waitcnt lgkmcnt(0)
	v_fma_f64 v[3:4], v[5:6], v[19:20], v[3:4]
	ds_bpermute_b32 v5, v2, v39 offset:8
	ds_bpermute_b32 v6, v2, v40 offset:8
	;; [unrolled: 4-line block ×3, first 2 shown]
	v_mul_f64 v[7:8], v[27:28], v[11:12]
	s_waitcnt lgkmcnt(0)
	v_fma_f64 v[3:4], v[9:10], v[5:6], v[3:4]
	ds_bpermute_b32 v5, v2, v39 offset:16
	ds_bpermute_b32 v6, v2, v40 offset:16
	v_mul_f64 v[9:10], v[29:30], v[13:14]
	s_waitcnt lgkmcnt(0)
	v_fma_f64 v[3:4], v[7:8], v[5:6], v[3:4]
	ds_bpermute_b32 v5, v2, v39 offset:20
	ds_bpermute_b32 v6, v2, v40 offset:20
	;; [unrolled: 1-line block ×4, first 2 shown]
	s_waitcnt lgkmcnt(2)
	v_fma_f64 v[3:4], v[9:10], v[5:6], v[3:4]
	v_mul_f64 v[5:6], v[31:32], v[15:16]
	s_waitcnt lgkmcnt(0)
	v_fma_f64 v[41:42], v[5:6], v[7:8], v[3:4]
	ds_bpermute_b32 v3, v2, v39 offset:28
	ds_bpermute_b32 v4, v2, v40 offset:28
.LBB136_4:                              ;   in Loop: Header=BB136_5 Depth=1
	v_mul_f64 v[5:6], v[17:18], v[33:34]
	v_add_co_u32 v44, vcc_lo, v44, s20
	v_add_co_ci_u32_e64 v45, null, s21, v45, vcc_lo
	v_add_co_u32 v46, vcc_lo, v46, s20
	v_add_co_ci_u32_e64 v47, null, s21, v47, vcc_lo
	;; [unrolled: 2-line block ×7, first 2 shown]
	v_add_co_u32 v58, vcc_lo, v58, s20
	s_waitcnt lgkmcnt(0)
	v_fma_f64 v[37:38], v[5:6], v[3:4], v[41:42]
	v_add_co_ci_u32_e64 v59, null, s21, v59, vcc_lo
	v_add_co_u32 v60, vcc_lo, v60, s20
	v_add_co_ci_u32_e64 v61, null, s21, v61, vcc_lo
	v_add_co_u32 v62, vcc_lo, v62, s20
	;; [unrolled: 2-line block ×5, first 2 shown]
	s_add_u32 s24, s24, s27
	v_add_co_ci_u32_e64 v69, null, s21, v69, vcc_lo
	v_add_co_u32 v70, vcc_lo, v70, s20
	s_addc_u32 s25, s25, 0
	v_add_co_ci_u32_e64 v71, null, s21, v71, vcc_lo
	v_add_co_u32 v72, vcc_lo, v72, s20
	v_cmp_lt_i64_e64 s1, s[24:25], s[8:9]
	v_add_co_ci_u32_e64 v73, null, s21, v73, vcc_lo
	v_add_co_u32 v74, vcc_lo, v74, s20
	v_add_co_ci_u32_e64 v75, null, s21, v75, vcc_lo
	s_add_u32 s22, s22, s27
	s_addc_u32 s23, s23, 0
	s_and_b32 vcc_lo, exec_lo, s1
	s_cbranch_vccz .LBB136_49
.LBB136_5:                              ; =>This Inner Loop Header: Depth=1
	v_cmp_ge_i64_e64 s1, s[22:23], s[8:9]
	v_add_co_u32 v76, s28, v43, s22
	v_add_co_ci_u32_e64 v77, null, 0, s23, s28
                                        ; implicit-def: $vgpr3_vgpr4_vgpr5_vgpr6_vgpr7_vgpr8_vgpr9_vgpr10_vgpr11_vgpr12_vgpr13_vgpr14_vgpr15_vgpr16_vgpr17_vgpr18
                                        ; implicit-def: $vgpr41_vgpr42
                                        ; implicit-def: $vgpr19_vgpr20_vgpr21_vgpr22_vgpr23_vgpr24_vgpr25_vgpr26_vgpr27_vgpr28_vgpr29_vgpr30_vgpr31_vgpr32_vgpr33_vgpr34
                                        ; implicit-def: $vgpr3
	s_and_b32 vcc_lo, exec_lo, s1
	s_mov_b32 s1, -1
	s_cbranch_vccz .LBB136_27
; %bb.6:                                ;   in Loop: Header=BB136_5 Depth=1
	s_load_dword s1, s[18:19], 0xc
	v_mov_b32_e32 v39, 0
	v_mov_b32_e32 v40, 0
	s_waitcnt lgkmcnt(0)
	s_and_b32 s1, s1, 0xffff
	v_mad_u32_u24 v3, v1, s1, v0
	s_mov_b32 s1, exec_lo
	v_and_b32_e32 v3, 31, v3
	v_cmpx_gt_u32_e32 8, v3
	s_cbranch_execz .LBB136_10
; %bb.7:                                ;   in Loop: Header=BB136_5 Depth=1
	v_add_co_u32 v3, vcc_lo, v76, v3
	v_add_co_ci_u32_e64 v4, null, 0, v77, vcc_lo
	v_mov_b32_e32 v39, 0
	v_add_co_u32 v3, vcc_lo, 0xffffff81, v3
	v_add_co_ci_u32_e64 v4, null, -1, v4, vcc_lo
	v_mov_b32_e32 v40, 0
	s_mov_b32 s28, exec_lo
	v_cmpx_gt_i64_e64 s[8:9], v[3:4]
	s_cbranch_execz .LBB136_9
; %bb.8:                                ;   in Loop: Header=BB136_5 Depth=1
	v_lshlrev_b64 v[3:4], 3, v[3:4]
	v_add_co_u32 v3, vcc_lo, s2, v3
	v_add_co_ci_u32_e64 v4, null, s3, v4, vcc_lo
	global_load_dwordx2 v[39:40], v[3:4], off
.LBB136_9:                              ;   in Loop: Header=BB136_5 Depth=1
	s_or_b32 exec_lo, exec_lo, s28
.LBB136_10:                             ;   in Loop: Header=BB136_5 Depth=1
	s_or_b32 exec_lo, exec_lo, s1
	v_add_co_u32 v18, vcc_lo, 0xffffff81, v76
	v_add_co_ci_u32_e64 v19, null, -1, v77, vcc_lo
	v_mov_b32_e32 v17, v2
	v_mov_b32_e32 v3, v2
	v_mov_b32_e32 v4, v2
	v_mov_b32_e32 v5, v2
	v_mov_b32_e32 v6, v2
	v_mov_b32_e32 v7, v2
	v_mov_b32_e32 v8, v2
	v_mov_b32_e32 v9, v2
	v_mov_b32_e32 v10, v2
	v_mov_b32_e32 v11, v2
	v_mov_b32_e32 v12, v2
	v_mov_b32_e32 v13, v2
	v_mov_b32_e32 v14, v2
	v_mov_b32_e32 v15, v2
	v_mov_b32_e32 v16, v2
	v_cmp_gt_i64_e32 vcc_lo, s[8:9], v[18:19]
	v_mov_b32_e32 v34, v17
	v_mov_b32_e32 v31, v14
	;; [unrolled: 1-line block ×32, first 2 shown]
	s_and_b32 s28, s0, vcc_lo
	s_and_saveexec_b32 s1, s28
	s_cbranch_execz .LBB136_12
; %bb.11:                               ;   in Loop: Header=BB136_5 Depth=1
	v_add_co_u32 v3, vcc_lo, v44, v35
	v_add_co_ci_u32_e64 v4, null, v45, v36, vcc_lo
	v_add_co_u32 v5, vcc_lo, v46, v35
	v_add_co_ci_u32_e64 v6, null, v47, v36, vcc_lo
	global_load_dwordx2 v[3:4], v[3:4], off
	global_load_dwordx2 v[19:20], v[5:6], off
	v_mov_b32_e32 v5, v2
	v_mov_b32_e32 v6, v2
	;; [unrolled: 1-line block ×28, first 2 shown]
.LBB136_12:                             ;   in Loop: Header=BB136_5 Depth=1
	s_or_b32 exec_lo, exec_lo, s1
	v_add_co_u32 v41, vcc_lo, 0xffffff82, v76
	v_add_co_ci_u32_e64 v42, null, -1, v77, vcc_lo
	v_cmp_gt_i64_e32 vcc_lo, s[8:9], v[41:42]
	s_and_b32 s28, s0, vcc_lo
	s_and_saveexec_b32 s1, s28
	s_cbranch_execz .LBB136_14
; %bb.13:                               ;   in Loop: Header=BB136_5 Depth=1
	v_add_co_u32 v5, vcc_lo, v72, v35
	v_add_co_ci_u32_e64 v6, null, v73, v36, vcc_lo
	v_add_co_u32 v21, vcc_lo, v74, v35
	v_add_co_ci_u32_e64 v22, null, v75, v36, vcc_lo
	global_load_dwordx2 v[5:6], v[5:6], off
	global_load_dwordx2 v[21:22], v[21:22], off
.LBB136_14:                             ;   in Loop: Header=BB136_5 Depth=1
	s_or_b32 exec_lo, exec_lo, s1
	v_add_co_u32 v41, vcc_lo, 0xffffff83, v76
	v_add_co_ci_u32_e64 v42, null, -1, v77, vcc_lo
	v_cmp_gt_i64_e32 vcc_lo, s[8:9], v[41:42]
	s_and_b32 s28, s0, vcc_lo
	s_and_saveexec_b32 s1, s28
	s_cbranch_execz .LBB136_16
; %bb.15:                               ;   in Loop: Header=BB136_5 Depth=1
	v_add_co_u32 v7, vcc_lo, v68, v35
	v_add_co_ci_u32_e64 v8, null, v69, v36, vcc_lo
	v_add_co_u32 v23, vcc_lo, v70, v35
	v_add_co_ci_u32_e64 v24, null, v71, v36, vcc_lo
	global_load_dwordx2 v[7:8], v[7:8], off
	global_load_dwordx2 v[23:24], v[23:24], off
.LBB136_16:                             ;   in Loop: Header=BB136_5 Depth=1
	;; [unrolled: 15-line block ×7, first 2 shown]
	s_or_b32 exec_lo, exec_lo, s1
	s_waitcnt vmcnt(0)
	v_mul_f64 v[3:4], v[19:20], v[3:4]
	ds_bpermute_b32 v19, v2, v39
	ds_bpermute_b32 v20, v2, v40
	v_mul_f64 v[5:6], v[21:22], v[5:6]
	v_mul_f64 v[7:8], v[23:24], v[7:8]
	v_mul_f64 v[9:10], v[25:26], v[9:10]
	s_mov_b32 s1, 0
	s_waitcnt lgkmcnt(0)
	v_fma_f64 v[3:4], v[3:4], v[19:20], v[37:38]
	ds_bpermute_b32 v19, v2, v39 offset:4
	ds_bpermute_b32 v20, v2, v40 offset:4
	s_waitcnt lgkmcnt(0)
	v_fma_f64 v[3:4], v[5:6], v[19:20], v[3:4]
	ds_bpermute_b32 v5, v2, v39 offset:8
	ds_bpermute_b32 v6, v2, v40 offset:8
	;; [unrolled: 4-line block ×3, first 2 shown]
	v_mul_f64 v[7:8], v[27:28], v[11:12]
	s_waitcnt lgkmcnt(0)
	v_fma_f64 v[3:4], v[9:10], v[5:6], v[3:4]
	ds_bpermute_b32 v5, v2, v39 offset:16
	ds_bpermute_b32 v6, v2, v40 offset:16
	v_mul_f64 v[9:10], v[29:30], v[13:14]
	s_waitcnt lgkmcnt(0)
	v_fma_f64 v[3:4], v[7:8], v[5:6], v[3:4]
	ds_bpermute_b32 v5, v2, v39 offset:20
	ds_bpermute_b32 v6, v2, v40 offset:20
	;; [unrolled: 1-line block ×4, first 2 shown]
	s_waitcnt lgkmcnt(2)
	v_fma_f64 v[3:4], v[9:10], v[5:6], v[3:4]
	v_mul_f64 v[5:6], v[31:32], v[15:16]
	s_waitcnt lgkmcnt(0)
	v_fma_f64 v[41:42], v[5:6], v[7:8], v[3:4]
	ds_bpermute_b32 v3, v2, v39 offset:28
	ds_bpermute_b32 v4, v2, v40 offset:28
.LBB136_27:                             ;   in Loop: Header=BB136_5 Depth=1
	s_and_b32 vcc_lo, exec_lo, s1
	s_cbranch_vccz .LBB136_4
; %bb.28:                               ;   in Loop: Header=BB136_5 Depth=1
	s_load_dword s1, s[18:19], 0x0
	v_mov_b32_e32 v39, 0
	v_mov_b32_e32 v40, 0
	s_waitcnt lgkmcnt(0)
	s_cmp_lt_u32 s6, s1
	s_cselect_b32 s1, 12, 18
	s_add_u32 s28, s18, s1
	s_addc_u32 s29, s19, 0
	s_mov_b32 s1, exec_lo
	global_load_ushort v3, v2, s[28:29]
	s_waitcnt vmcnt(0)
	v_mad_u32_u24 v3, v1, v3, v0
	v_and_b32_e32 v3, 31, v3
	v_cmpx_gt_u32_e32 8, v3
	s_cbranch_execz .LBB136_32
; %bb.29:                               ;   in Loop: Header=BB136_5 Depth=1
	v_add_co_u32 v3, vcc_lo, v76, v3
	v_add_co_ci_u32_e64 v4, null, 0, v77, vcc_lo
	v_mov_b32_e32 v39, 0
	v_add_co_u32 v3, vcc_lo, 0xffffff81, v3
	v_add_co_ci_u32_e64 v4, null, -1, v4, vcc_lo
	v_mov_b32_e32 v40, 0
	s_mov_b32 s28, exec_lo
	v_cmpx_gt_i64_e64 s[8:9], v[3:4]
	s_cbranch_execz .LBB136_31
; %bb.30:                               ;   in Loop: Header=BB136_5 Depth=1
	v_lshlrev_b64 v[3:4], 3, v[3:4]
	v_add_co_u32 v3, vcc_lo, s2, v3
	v_add_co_ci_u32_e64 v4, null, s3, v4, vcc_lo
	global_load_dwordx2 v[39:40], v[3:4], off
.LBB136_31:                             ;   in Loop: Header=BB136_5 Depth=1
	s_or_b32 exec_lo, exec_lo, s28
.LBB136_32:                             ;   in Loop: Header=BB136_5 Depth=1
	s_or_b32 exec_lo, exec_lo, s1
	v_mov_b32_e32 v17, v2
	v_mov_b32_e32 v3, v2
	;; [unrolled: 1-line block ×47, first 2 shown]
	s_and_saveexec_b32 s1, s0
	s_cbranch_execnz .LBB136_40
; %bb.33:                               ;   in Loop: Header=BB136_5 Depth=1
	s_or_b32 exec_lo, exec_lo, s1
	s_and_saveexec_b32 s1, s0
	s_cbranch_execnz .LBB136_41
.LBB136_34:                             ;   in Loop: Header=BB136_5 Depth=1
	s_or_b32 exec_lo, exec_lo, s1
	s_and_saveexec_b32 s1, s0
	s_cbranch_execnz .LBB136_42
.LBB136_35:                             ;   in Loop: Header=BB136_5 Depth=1
	s_or_b32 exec_lo, exec_lo, s1
	s_and_saveexec_b32 s1, s0
	s_cbranch_execnz .LBB136_43
.LBB136_36:                             ;   in Loop: Header=BB136_5 Depth=1
	s_or_b32 exec_lo, exec_lo, s1
	s_and_saveexec_b32 s1, s0
	s_cbranch_execnz .LBB136_44
.LBB136_37:                             ;   in Loop: Header=BB136_5 Depth=1
	s_or_b32 exec_lo, exec_lo, s1
	s_and_saveexec_b32 s1, s0
	s_cbranch_execnz .LBB136_45
.LBB136_38:                             ;   in Loop: Header=BB136_5 Depth=1
	s_or_b32 exec_lo, exec_lo, s1
	s_and_saveexec_b32 s1, s0
	s_cbranch_execnz .LBB136_46
.LBB136_39:                             ;   in Loop: Header=BB136_5 Depth=1
	s_or_b32 exec_lo, exec_lo, s1
	s_and_saveexec_b32 s1, s0
	s_cbranch_execz .LBB136_3
	s_branch .LBB136_47
.LBB136_40:                             ;   in Loop: Header=BB136_5 Depth=1
	v_add_co_u32 v3, vcc_lo, v44, v35
	v_add_co_ci_u32_e64 v4, null, v45, v36, vcc_lo
	v_add_co_u32 v5, vcc_lo, v46, v35
	v_add_co_ci_u32_e64 v6, null, v47, v36, vcc_lo
	global_load_dwordx2 v[3:4], v[3:4], off
	global_load_dwordx2 v[19:20], v[5:6], off
	v_mov_b32_e32 v5, v2
	v_mov_b32_e32 v6, v2
	;; [unrolled: 1-line block ×28, first 2 shown]
	s_or_b32 exec_lo, exec_lo, s1
	s_and_saveexec_b32 s1, s0
	s_cbranch_execz .LBB136_34
.LBB136_41:                             ;   in Loop: Header=BB136_5 Depth=1
	v_add_co_u32 v5, vcc_lo, v72, v35
	v_add_co_ci_u32_e64 v6, null, v73, v36, vcc_lo
	v_add_co_u32 v21, vcc_lo, v74, v35
	v_add_co_ci_u32_e64 v22, null, v75, v36, vcc_lo
	global_load_dwordx2 v[5:6], v[5:6], off
	global_load_dwordx2 v[21:22], v[21:22], off
	s_or_b32 exec_lo, exec_lo, s1
	s_and_saveexec_b32 s1, s0
	s_cbranch_execz .LBB136_35
.LBB136_42:                             ;   in Loop: Header=BB136_5 Depth=1
	v_add_co_u32 v7, vcc_lo, v68, v35
	v_add_co_ci_u32_e64 v8, null, v69, v36, vcc_lo
	v_add_co_u32 v23, vcc_lo, v70, v35
	v_add_co_ci_u32_e64 v24, null, v71, v36, vcc_lo
	global_load_dwordx2 v[7:8], v[7:8], off
	global_load_dwordx2 v[23:24], v[23:24], off
	s_or_b32 exec_lo, exec_lo, s1
	s_and_saveexec_b32 s1, s0
	s_cbranch_execz .LBB136_36
.LBB136_43:                             ;   in Loop: Header=BB136_5 Depth=1
	v_add_co_u32 v9, vcc_lo, v64, v35
	v_add_co_ci_u32_e64 v10, null, v65, v36, vcc_lo
	v_add_co_u32 v25, vcc_lo, v66, v35
	v_add_co_ci_u32_e64 v26, null, v67, v36, vcc_lo
	global_load_dwordx2 v[9:10], v[9:10], off
	global_load_dwordx2 v[25:26], v[25:26], off
	s_or_b32 exec_lo, exec_lo, s1
	s_and_saveexec_b32 s1, s0
	s_cbranch_execz .LBB136_37
.LBB136_44:                             ;   in Loop: Header=BB136_5 Depth=1
	v_add_co_u32 v11, vcc_lo, v60, v35
	v_add_co_ci_u32_e64 v12, null, v61, v36, vcc_lo
	v_add_co_u32 v27, vcc_lo, v62, v35
	v_add_co_ci_u32_e64 v28, null, v63, v36, vcc_lo
	global_load_dwordx2 v[11:12], v[11:12], off
	global_load_dwordx2 v[27:28], v[27:28], off
	s_or_b32 exec_lo, exec_lo, s1
	s_and_saveexec_b32 s1, s0
	s_cbranch_execz .LBB136_38
.LBB136_45:                             ;   in Loop: Header=BB136_5 Depth=1
	v_add_co_u32 v13, vcc_lo, v56, v35
	v_add_co_ci_u32_e64 v14, null, v57, v36, vcc_lo
	v_add_co_u32 v29, vcc_lo, v58, v35
	v_add_co_ci_u32_e64 v30, null, v59, v36, vcc_lo
	global_load_dwordx2 v[13:14], v[13:14], off
	global_load_dwordx2 v[29:30], v[29:30], off
	s_or_b32 exec_lo, exec_lo, s1
	s_and_saveexec_b32 s1, s0
	s_cbranch_execz .LBB136_39
.LBB136_46:                             ;   in Loop: Header=BB136_5 Depth=1
	v_add_co_u32 v15, vcc_lo, v52, v35
	v_add_co_ci_u32_e64 v16, null, v53, v36, vcc_lo
	v_add_co_u32 v31, vcc_lo, v54, v35
	v_add_co_ci_u32_e64 v32, null, v55, v36, vcc_lo
	global_load_dwordx2 v[15:16], v[15:16], off
	global_load_dwordx2 v[31:32], v[31:32], off
	s_or_b32 exec_lo, exec_lo, s1
	s_and_saveexec_b32 s1, s0
	s_cbranch_execz .LBB136_3
.LBB136_47:                             ;   in Loop: Header=BB136_5 Depth=1
	v_add_co_u32 v17, vcc_lo, v48, v35
	v_add_co_ci_u32_e64 v18, null, v49, v36, vcc_lo
	v_add_co_u32 v33, vcc_lo, v50, v35
	v_add_co_ci_u32_e64 v34, null, v51, v36, vcc_lo
	global_load_dwordx2 v[17:18], v[17:18], off
	global_load_dwordx2 v[33:34], v[33:34], off
	s_branch .LBB136_3
.LBB136_48:
                                        ; implicit-def: $vgpr37_vgpr38
	s_branch .LBB136_50
.LBB136_49:
	s_cbranch_execnz .LBB136_82
.LBB136_50:
	v_mov_b32_e32 v37, 0
	v_mov_b32_e32 v38, 0
	s_andn2_b32 vcc_lo, exec_lo, s7
	s_cbranch_vccnz .LBB136_82
; %bb.51:
	s_load_dword s7, s[4:5], 0x44
	v_lshlrev_b32_e32 v69, 3, v1
	v_lshlrev_b32_e32 v6, 6, v1
	v_mov_b32_e32 v67, 0
	v_mov_b32_e32 v68, 0
	v_add_co_u32 v10, s0, v69, s16
	v_add_co_ci_u32_e64 v11, null, 0, 0, s0
	s_add_u32 s0, s4, 64
	v_mul_lo_u32 v4, s11, v10
	v_mad_u64_u32 v[2:3], null, s10, v10, 0
	v_mul_lo_u32 v5, s10, v11
	s_addc_u32 s1, s5, 0
	s_waitcnt lgkmcnt(0)
	s_lshl_b32 s7, s7, 7
	v_add3_u32 v3, v3, v5, v4
	s_mul_i32 s19, s11, s7
	s_mul_hi_u32 s20, s10, s7
	s_mul_i32 s18, s10, s7
	s_add_i32 s19, s20, s19
	v_lshlrev_b64 v[4:5], 3, v[2:3]
	s_lshl_b64 s[18:19], s[18:19], 3
	s_add_u32 s20, s16, 0x7f
	s_addc_u32 s21, 0, 0
	s_lshl_b64 s[22:23], s[16:17], 3
	v_add_co_u32 v6, s22, v6, s22
	v_add_co_ci_u32_e64 v7, null, 0, s23, s22
	v_add_co_u32 v8, vcc_lo, v6, 8
	v_add_co_ci_u32_e64 v9, null, 0, v7, vcc_lo
	v_add_co_u32 v70, vcc_lo, s12, v4
	v_add_co_ci_u32_e64 v71, null, s13, v5, vcc_lo
	v_add_co_u32 v72, vcc_lo, s14, v4
	v_add_co_ci_u32_e64 v73, null, s15, v5, vcc_lo
	v_add_co_u32 v4, vcc_lo, v6, 16
	v_add_co_ci_u32_e64 v5, null, 0, v7, vcc_lo
	v_add_co_u32 v13, vcc_lo, v6, 24
	v_add_co_ci_u32_e64 v14, null, 0, v7, vcc_lo
	v_add_co_u32 v16, vcc_lo, v6, 32
	v_add_co_ci_u32_e64 v18, null, 0, v7, vcc_lo
	v_add_co_u32 v19, vcc_lo, v6, 40
	v_mad_u64_u32 v[39:40], null, s10, v4, s[12:13]
	v_mul_lo_u32 v5, s10, v5
	v_mul_lo_u32 v15, s11, v4
	v_mad_u64_u32 v[53:54], null, s10, v4, s[14:15]
	v_add_co_ci_u32_e64 v20, null, 0, v7, vcc_lo
	v_add_co_u32 v22, vcc_lo, v6, 48
	v_add_co_ci_u32_e64 v24, null, 0, v7, vcc_lo
	v_add_co_u32 v6, vcc_lo, v6, 56
	v_mad_u64_u32 v[35:36], null, s10, v8, s[12:13]
	v_mul_lo_u32 v9, s10, v9
	v_mul_lo_u32 v12, s11, v8
	v_mad_u64_u32 v[51:52], null, s10, v8, s[14:15]
	v_add_co_ci_u32_e64 v7, null, 0, v7, vcc_lo
	v_add_co_u32 v4, vcc_lo, v10, 7
	v_add3_u32 v40, v15, v40, v5
	v_add3_u32 v54, v15, v54, v5
	v_add_co_ci_u32_e64 v5, null, 0, v11, vcc_lo
	v_mul_lo_u32 v26, s10, v7
	v_add_co_u32 v7, vcc_lo, v10, 6
	v_add3_u32 v36, v12, v36, v9
	v_add3_u32 v52, v12, v52, v9
	v_add_co_ci_u32_e64 v12, null, 0, v11, vcc_lo
	v_mul_lo_u32 v8, s11, v4
	v_mul_lo_u32 v9, s10, v5
	v_mad_u64_u32 v[4:5], null, s10, v4, 0
	v_mad_u64_u32 v[41:42], null, s10, v13, s[12:13]
	v_mul_lo_u32 v17, s11, v13
	v_mad_u64_u32 v[49:50], null, s10, v6, s[12:13]
	v_mul_lo_u32 v27, s11, v6
	v_mad_u64_u32 v[55:56], null, s10, v13, s[14:15]
	v_mad_u64_u32 v[63:64], null, s10, v6, s[14:15]
	v_mul_lo_u32 v13, s11, v7
	v_mul_lo_u32 v12, s10, v12
	v_mad_u64_u32 v[6:7], null, s10, v7, 0
	v_add3_u32 v5, v5, v9, v8
	v_add_co_u32 v8, vcc_lo, v10, 5
	v_add_co_ci_u32_e64 v9, null, 0, v11, vcc_lo
	v_lshlrev_b64 v[4:5], 3, v[4:5]
	v_add3_u32 v7, v7, v12, v13
	v_mul_lo_u32 v12, s11, v8
	v_mul_lo_u32 v13, s10, v9
	v_mad_u64_u32 v[8:9], null, s10, v8, 0
	v_lshlrev_b64 v[6:7], 3, v[6:7]
	v_add_co_u32 v74, vcc_lo, s12, v4
	v_add_co_ci_u32_e64 v75, null, s13, v5, vcc_lo
	v_add_co_u32 v76, vcc_lo, s14, v4
	v_add_co_ci_u32_e64 v77, null, s15, v5, vcc_lo
	;; [unrolled: 2-line block ×3, first 2 shown]
	v_add3_u32 v9, v9, v13, v12
	v_add_co_u32 v12, vcc_lo, v10, 4
	v_add_co_ci_u32_e64 v13, null, 0, v11, vcc_lo
	v_add_co_u32 v80, vcc_lo, s14, v6
	v_add_co_ci_u32_e64 v81, null, s15, v7, vcc_lo
	v_lshlrev_b64 v[4:5], 3, v[8:9]
	v_mul_lo_u32 v8, s11, v12
	v_mul_lo_u32 v9, s10, v13
	v_mad_u64_u32 v[6:7], null, s10, v12, 0
	v_mul_lo_u32 v14, s10, v14
	v_add_co_u32 v12, vcc_lo, v10, 3
	v_add_co_ci_u32_e64 v13, null, 0, v11, vcc_lo
	v_add_co_u32 v82, vcc_lo, s12, v4
	v_add_co_ci_u32_e64 v83, null, s13, v5, vcc_lo
	v_add3_u32 v7, v7, v9, v8
	v_add_co_u32 v10, vcc_lo, v10, 2
	v_add3_u32 v42, v17, v42, v14
	v_add3_u32 v56, v17, v56, v14
	v_mul_lo_u32 v14, s11, v12
	v_mul_lo_u32 v13, s10, v13
	v_mad_u64_u32 v[8:9], null, s10, v12, 0
	v_add_co_ci_u32_e64 v11, null, 0, v11, vcc_lo
	v_add_co_u32 v84, vcc_lo, s14, v4
	v_add_co_ci_u32_e64 v85, null, s15, v5, vcc_lo
	v_lshlrev_b64 v[4:5], 3, v[6:7]
	v_mul_lo_u32 v12, s11, v10
	v_mul_lo_u32 v11, s10, v11
	v_mad_u64_u32 v[6:7], null, s10, v10, 0
	v_add3_u32 v9, v9, v13, v14
	v_add_co_u32 v86, vcc_lo, s12, v4
	v_add_co_ci_u32_e64 v87, null, s13, v5, vcc_lo
	v_add_co_u32 v88, vcc_lo, s14, v4
	v_add_co_ci_u32_e64 v89, null, s15, v5, vcc_lo
	v_lshlrev_b64 v[4:5], 3, v[8:9]
	v_add3_u32 v7, v7, v11, v12
	v_add_co_u32 v2, vcc_lo, v2, s10
	v_add_co_ci_u32_e64 v3, null, s11, v3, vcc_lo
	v_lshlrev_b64 v[6:7], 3, v[6:7]
	v_add_co_u32 v90, vcc_lo, s12, v4
	v_add_co_ci_u32_e64 v91, null, s13, v5, vcc_lo
	v_add_co_u32 v92, vcc_lo, s14, v4
	v_lshlrev_b64 v[3:4], 3, v[2:3]
	v_mov_b32_e32 v2, 0
	v_mad_u64_u32 v[43:44], null, s10, v16, s[12:13]
	v_mul_lo_u32 v18, s10, v18
	v_mul_lo_u32 v21, s11, v16
	v_mad_u64_u32 v[45:46], null, s10, v19, s[12:13]
	v_mul_lo_u32 v20, s10, v20
	v_mul_lo_u32 v23, s11, v19
	;; [unrolled: 3-line block ×3, first 2 shown]
	v_mad_u64_u32 v[57:58], null, s10, v16, s[14:15]
	v_mad_u64_u32 v[59:60], null, s10, v19, s[14:15]
	;; [unrolled: 1-line block ×3, first 2 shown]
	v_add_co_ci_u32_e64 v93, null, s15, v5, vcc_lo
	v_add_co_u32 v94, vcc_lo, s12, v6
	v_add_co_ci_u32_e64 v95, null, s13, v7, vcc_lo
	v_add_co_u32 v96, vcc_lo, s14, v6
	v_add_nc_u32_e32 v5, s26, v0
	v_mov_b32_e32 v6, v2
	v_add_co_ci_u32_e64 v97, null, s15, v7, vcc_lo
	v_add_co_u32 v98, vcc_lo, s12, v3
	v_add_co_ci_u32_e64 v99, null, s13, v4, vcc_lo
	v_add_co_u32 v100, vcc_lo, s14, v3
	v_lshlrev_b64 v[65:66], 3, v[5:6]
	v_add3_u32 v44, v21, v44, v18
	v_add3_u32 v46, v23, v46, v20
	;; [unrolled: 1-line block ×8, first 2 shown]
	v_add_co_ci_u32_e64 v101, null, s15, v4, vcc_lo
.LBB136_52:                             ; =>This Inner Loop Header: Depth=1
	v_cmp_ge_i64_e64 s12, s[20:21], s[8:9]
	v_add_co_u32 v102, s13, v69, s20
	v_add_co_ci_u32_e64 v103, null, 0, s21, s13
                                        ; implicit-def: $vgpr37_vgpr38
	s_and_b32 vcc_lo, exec_lo, s12
	s_mov_b32 s12, -1
	s_cbranch_vccz .LBB136_74
; %bb.53:                               ;   in Loop: Header=BB136_52 Depth=1
	s_load_dword s12, s[0:1], 0xc
	v_mov_b32_e32 v37, 0
	v_mov_b32_e32 v38, 0
	s_waitcnt lgkmcnt(0)
	s_and_b32 s12, s12, 0xffff
	v_mad_u32_u24 v3, v1, s12, v0
	s_mov_b32 s12, exec_lo
	v_and_b32_e32 v3, 31, v3
	v_cmpx_gt_u32_e32 8, v3
	s_cbranch_execz .LBB136_57
; %bb.54:                               ;   in Loop: Header=BB136_52 Depth=1
	v_add_co_u32 v3, vcc_lo, v102, v3
	v_add_co_ci_u32_e64 v4, null, 0, v103, vcc_lo
	v_mov_b32_e32 v37, 0
	v_add_co_u32 v3, vcc_lo, 0xffffff81, v3
	v_add_co_ci_u32_e64 v4, null, -1, v4, vcc_lo
	v_mov_b32_e32 v38, 0
	s_mov_b32 s13, exec_lo
	v_cmpx_gt_i64_e64 s[8:9], v[3:4]
	s_cbranch_execz .LBB136_56
; %bb.55:                               ;   in Loop: Header=BB136_52 Depth=1
	v_lshlrev_b64 v[3:4], 3, v[3:4]
	v_add_co_u32 v3, vcc_lo, s2, v3
	v_add_co_ci_u32_e64 v4, null, s3, v4, vcc_lo
	global_load_dwordx2 v[37:38], v[3:4], off
.LBB136_56:                             ;   in Loop: Header=BB136_52 Depth=1
	s_or_b32 exec_lo, exec_lo, s13
.LBB136_57:                             ;   in Loop: Header=BB136_52 Depth=1
	s_or_b32 exec_lo, exec_lo, s12
	v_add_co_u32 v18, vcc_lo, 0xffffff81, v102
	v_add_co_ci_u32_e64 v19, null, -1, v103, vcc_lo
	v_mov_b32_e32 v17, v2
	v_mov_b32_e32 v3, v2
	;; [unrolled: 1-line block ×15, first 2 shown]
	v_cmp_gt_i64_e32 vcc_lo, s[8:9], v[18:19]
	v_mov_b32_e32 v34, v17
	v_mov_b32_e32 v31, v14
	v_mov_b32_e32 v32, v15
	v_mov_b32_e32 v33, v16
	v_mov_b32_e32 v30, v13
	v_mov_b32_e32 v29, v12
	v_mov_b32_e32 v28, v11
	v_mov_b32_e32 v27, v10
	v_mov_b32_e32 v26, v9
	v_mov_b32_e32 v25, v8
	v_mov_b32_e32 v24, v7
	v_mov_b32_e32 v23, v6
	v_mov_b32_e32 v22, v5
	v_mov_b32_e32 v21, v4
	v_mov_b32_e32 v20, v3
	v_mov_b32_e32 v19, v2
	v_mov_b32_e32 v18, v17
	v_mov_b32_e32 v17, v16
	v_mov_b32_e32 v16, v15
	v_mov_b32_e32 v15, v14
	v_mov_b32_e32 v14, v13
	v_mov_b32_e32 v13, v12
	v_mov_b32_e32 v12, v11
	v_mov_b32_e32 v11, v10
	v_mov_b32_e32 v10, v9
	v_mov_b32_e32 v9, v8
	v_mov_b32_e32 v8, v7
	v_mov_b32_e32 v7, v6
	v_mov_b32_e32 v6, v5
	v_mov_b32_e32 v5, v4
	v_mov_b32_e32 v4, v3
	v_mov_b32_e32 v3, v2
	s_and_saveexec_b32 s12, vcc_lo
	s_cbranch_execz .LBB136_59
; %bb.58:                               ;   in Loop: Header=BB136_52 Depth=1
	v_add_co_u32 v3, vcc_lo, v70, v65
	v_add_co_ci_u32_e64 v4, null, v71, v66, vcc_lo
	v_add_co_u32 v5, vcc_lo, v72, v65
	v_add_co_ci_u32_e64 v6, null, v73, v66, vcc_lo
	global_load_dwordx2 v[3:4], v[3:4], off
	global_load_dwordx2 v[19:20], v[5:6], off
	v_mov_b32_e32 v5, v2
	v_mov_b32_e32 v6, v2
	;; [unrolled: 1-line block ×28, first 2 shown]
.LBB136_59:                             ;   in Loop: Header=BB136_52 Depth=1
	s_or_b32 exec_lo, exec_lo, s12
	v_add_co_u32 v104, vcc_lo, 0xffffff82, v102
	v_add_co_ci_u32_e64 v105, null, -1, v103, vcc_lo
	s_mov_b32 s12, exec_lo
	v_cmpx_gt_i64_e64 s[8:9], v[104:105]
	s_cbranch_execz .LBB136_61
; %bb.60:                               ;   in Loop: Header=BB136_52 Depth=1
	v_add_co_u32 v5, vcc_lo, v98, v65
	v_add_co_ci_u32_e64 v6, null, v99, v66, vcc_lo
	v_add_co_u32 v21, vcc_lo, v100, v65
	v_add_co_ci_u32_e64 v22, null, v101, v66, vcc_lo
	global_load_dwordx2 v[5:6], v[5:6], off
	global_load_dwordx2 v[21:22], v[21:22], off
.LBB136_61:                             ;   in Loop: Header=BB136_52 Depth=1
	s_or_b32 exec_lo, exec_lo, s12
	v_add_co_u32 v104, vcc_lo, 0xffffff83, v102
	v_add_co_ci_u32_e64 v105, null, -1, v103, vcc_lo
	s_mov_b32 s12, exec_lo
	v_cmpx_gt_i64_e64 s[8:9], v[104:105]
	s_cbranch_execz .LBB136_63
; %bb.62:                               ;   in Loop: Header=BB136_52 Depth=1
	v_add_co_u32 v7, vcc_lo, v94, v65
	v_add_co_ci_u32_e64 v8, null, v95, v66, vcc_lo
	v_add_co_u32 v23, vcc_lo, v96, v65
	v_add_co_ci_u32_e64 v24, null, v97, v66, vcc_lo
	global_load_dwordx2 v[7:8], v[7:8], off
	global_load_dwordx2 v[23:24], v[23:24], off
.LBB136_63:                             ;   in Loop: Header=BB136_52 Depth=1
	;; [unrolled: 14-line block ×7, first 2 shown]
	s_or_b32 exec_lo, exec_lo, s12
	s_waitcnt vmcnt(0)
	v_mul_f64 v[3:4], v[19:20], v[3:4]
	ds_bpermute_b32 v19, v2, v37
	ds_bpermute_b32 v20, v2, v38
	v_mul_f64 v[5:6], v[21:22], v[5:6]
	v_mul_f64 v[7:8], v[23:24], v[7:8]
	;; [unrolled: 1-line block ×3, first 2 shown]
	s_mov_b32 s12, 0
	s_waitcnt lgkmcnt(0)
	v_fma_f64 v[3:4], v[3:4], v[19:20], v[67:68]
	ds_bpermute_b32 v19, v2, v37 offset:4
	ds_bpermute_b32 v20, v2, v38 offset:4
	s_waitcnt lgkmcnt(0)
	v_fma_f64 v[3:4], v[5:6], v[19:20], v[3:4]
	ds_bpermute_b32 v5, v2, v37 offset:8
	ds_bpermute_b32 v6, v2, v38 offset:8
	;; [unrolled: 4-line block ×3, first 2 shown]
	v_mul_f64 v[7:8], v[27:28], v[11:12]
	s_waitcnt lgkmcnt(0)
	v_fma_f64 v[3:4], v[9:10], v[5:6], v[3:4]
	ds_bpermute_b32 v5, v2, v37 offset:16
	ds_bpermute_b32 v6, v2, v38 offset:16
	v_mul_f64 v[9:10], v[29:30], v[13:14]
	s_waitcnt lgkmcnt(0)
	v_fma_f64 v[3:4], v[7:8], v[5:6], v[3:4]
	ds_bpermute_b32 v5, v2, v37 offset:20
	ds_bpermute_b32 v6, v2, v38 offset:20
	;; [unrolled: 5-line block ×3, first 2 shown]
	s_waitcnt lgkmcnt(0)
	v_fma_f64 v[3:4], v[7:8], v[5:6], v[3:4]
	v_mul_f64 v[5:6], v[33:34], v[17:18]
	ds_bpermute_b32 v7, v2, v37 offset:28
	ds_bpermute_b32 v8, v2, v38 offset:28
	s_waitcnt lgkmcnt(0)
	v_fma_f64 v[37:38], v[5:6], v[7:8], v[3:4]
.LBB136_74:                             ;   in Loop: Header=BB136_52 Depth=1
	s_and_b32 vcc_lo, exec_lo, s12
	s_cbranch_vccz .LBB136_80
; %bb.75:                               ;   in Loop: Header=BB136_52 Depth=1
	s_load_dword s12, s[0:1], 0x0
	s_waitcnt lgkmcnt(0)
	s_cmp_lt_u32 s6, s12
	s_cselect_b32 s12, 12, 18
	s_add_u32 s12, s0, s12
	s_addc_u32 s13, s1, 0
	global_load_ushort v3, v2, s[12:13]
	s_mov_b32 s12, exec_lo
	s_waitcnt vmcnt(0)
	v_mad_u32_u24 v3, v1, v3, v0
	v_and_b32_e32 v5, 31, v3
	v_mov_b32_e32 v3, 0
	v_mov_b32_e32 v4, 0
	v_cmpx_gt_u32_e32 8, v5
	s_cbranch_execz .LBB136_79
; %bb.76:                               ;   in Loop: Header=BB136_52 Depth=1
	v_add_co_u32 v3, vcc_lo, v102, v5
	v_add_co_ci_u32_e64 v4, null, 0, v103, vcc_lo
	s_mov_b32 s13, exec_lo
	v_add_co_u32 v5, vcc_lo, 0xffffff81, v3
	v_add_co_ci_u32_e64 v6, null, -1, v4, vcc_lo
	v_mov_b32_e32 v3, 0
	v_mov_b32_e32 v4, 0
	v_cmpx_gt_i64_e64 s[8:9], v[5:6]
	s_cbranch_execz .LBB136_78
; %bb.77:                               ;   in Loop: Header=BB136_52 Depth=1
	v_lshlrev_b64 v[3:4], 3, v[5:6]
	v_add_co_u32 v3, vcc_lo, s2, v3
	v_add_co_ci_u32_e64 v4, null, s3, v4, vcc_lo
	global_load_dwordx2 v[3:4], v[3:4], off
.LBB136_78:                             ;   in Loop: Header=BB136_52 Depth=1
	s_or_b32 exec_lo, exec_lo, s13
.LBB136_79:                             ;   in Loop: Header=BB136_52 Depth=1
	s_or_b32 exec_lo, exec_lo, s12
	v_add_co_u32 v5, vcc_lo, v70, v65
	v_add_co_ci_u32_e64 v6, null, v71, v66, vcc_lo
	v_add_co_u32 v7, vcc_lo, v72, v65
	v_add_co_ci_u32_e64 v8, null, v73, v66, vcc_lo
	global_load_dwordx2 v[5:6], v[5:6], off
	global_load_dwordx2 v[7:8], v[7:8], off
	v_add_co_u32 v9, vcc_lo, v35, v65
	v_add_co_ci_u32_e64 v10, null, v36, v66, vcc_lo
	v_add_co_u32 v11, vcc_lo, v51, v65
	v_add_co_ci_u32_e64 v12, null, v52, v66, vcc_lo
	global_load_dwordx2 v[9:10], v[9:10], off
	global_load_dwordx2 v[11:12], v[11:12], off
	;; [unrolled: 6-line block ×8, first 2 shown]
	s_waitcnt vmcnt(14)
	v_mul_f64 v[5:6], v[5:6], v[7:8]
	ds_bpermute_b32 v7, v2, v3
	ds_bpermute_b32 v8, v2, v4
	s_waitcnt vmcnt(12)
	v_mul_f64 v[9:10], v[9:10], v[11:12]
	s_waitcnt vmcnt(10)
	v_mul_f64 v[11:12], v[13:14], v[15:16]
	s_waitcnt lgkmcnt(0)
	v_fma_f64 v[5:6], v[5:6], v[7:8], v[67:68]
	ds_bpermute_b32 v7, v2, v3 offset:4
	ds_bpermute_b32 v8, v2, v4 offset:4
	s_waitcnt lgkmcnt(0)
	v_fma_f64 v[5:6], v[9:10], v[7:8], v[5:6]
	ds_bpermute_b32 v7, v2, v3 offset:8
	ds_bpermute_b32 v8, v2, v4 offset:8
	s_waitcnt vmcnt(8)
	v_mul_f64 v[9:10], v[17:18], v[19:20]
	s_waitcnt lgkmcnt(0)
	v_fma_f64 v[5:6], v[11:12], v[7:8], v[5:6]
	ds_bpermute_b32 v7, v2, v3 offset:12
	ds_bpermute_b32 v8, v2, v4 offset:12
	s_waitcnt vmcnt(6)
	v_mul_f64 v[11:12], v[21:22], v[23:24]
	;; [unrolled: 6-line block ×4, first 2 shown]
	s_waitcnt lgkmcnt(0)
	v_fma_f64 v[5:6], v[9:10], v[7:8], v[5:6]
	ds_bpermute_b32 v7, v2, v3 offset:24
	ds_bpermute_b32 v8, v2, v4 offset:24
	ds_bpermute_b32 v3, v2, v3 offset:28
	ds_bpermute_b32 v4, v2, v4 offset:28
	s_waitcnt lgkmcnt(2)
	v_fma_f64 v[5:6], v[11:12], v[7:8], v[5:6]
	s_waitcnt vmcnt(0)
	v_mul_f64 v[7:8], v[33:34], v[37:38]
	s_waitcnt lgkmcnt(0)
	v_fma_f64 v[37:38], v[7:8], v[3:4], v[5:6]
.LBB136_80:                             ;   in Loop: Header=BB136_52 Depth=1
	v_add_co_u32 v70, vcc_lo, v70, s18
	v_add_co_ci_u32_e64 v71, null, s19, v71, vcc_lo
	v_add_co_u32 v72, vcc_lo, v72, s18
	v_add_co_ci_u32_e64 v73, null, s19, v73, vcc_lo
	;; [unrolled: 2-line block ×26, first 2 shown]
	v_add_co_u32 v94, vcc_lo, v94, s18
	s_add_u32 s16, s16, s7
	v_add_co_ci_u32_e64 v95, null, s19, v95, vcc_lo
	v_add_co_u32 v96, vcc_lo, v96, s18
	s_addc_u32 s17, s17, 0
	v_add_co_ci_u32_e64 v97, null, s19, v97, vcc_lo
	v_add_co_u32 v98, vcc_lo, v98, s18
	v_cmp_ge_i64_e64 s12, s[16:17], s[8:9]
	v_add_co_ci_u32_e64 v99, null, s19, v99, vcc_lo
	v_add_co_u32 v100, vcc_lo, v100, s18
	v_add_co_ci_u32_e64 v101, null, s19, v101, vcc_lo
	s_add_u32 s20, s20, s7
	s_addc_u32 s21, s21, 0
	s_and_b32 vcc_lo, exec_lo, s12
	s_cbranch_vccnz .LBB136_82
; %bb.81:                               ;   in Loop: Header=BB136_52 Depth=1
	v_mov_b32_e32 v68, v38
	v_mov_b32_e32 v67, v37
	s_branch .LBB136_52
.LBB136_82:
	v_mad_u32_u24 v3, v1, 33, v0
	v_lshrrev_b32_e32 v4, 5, v0
	v_mov_b32_e32 v2, 0
	s_mov_b32 s0, exec_lo
	v_lshl_add_u32 v6, v3, 3, 0
	v_add_nc_u32_e32 v5, v4, v1
	v_mov_b32_e32 v3, v2
	ds_write_b64 v6, v[37:38]
	ds_write_b64 v6, v[2:3] offset:4224
	s_waitcnt lgkmcnt(0)
	s_barrier
	buffer_gl0_inv
	v_cmpx_gt_u32_e32 32, v5
	s_cbranch_execz .LBB136_92
; %bb.83:
	s_load_dwordx2 s[2:3], s[4:5], 0x30
	v_and_b32_e32 v1, 31, v0
	v_cmp_gt_u32_e32 vcc_lo, 16, v1
	v_mul_u32_u24_e32 v6, 33, v1
                                        ; implicit-def: $vgpr1_vgpr2
	s_and_saveexec_b32 s0, vcc_lo
	s_cbranch_execz .LBB136_85
; %bb.84:
	v_lshlrev_b32_e32 v1, 3, v5
	v_lshlrev_b32_e32 v2, 3, v6
	v_add3_u32 v1, 0, v1, v2
	ds_read_b64 v[1:2], v1
.LBB136_85:
	s_or_b32 exec_lo, exec_lo, s0
	v_mbcnt_lo_u32_b32 v10, -1, 0
	s_mov_b32 s7, 0
	s_lshl_b64 s[4:5], s[6:7], 5
	s_waitcnt lgkmcnt(0)
	s_cmp_eq_u64 s[2:3], 0
	v_xor_b32_e32 v3, 8, v10
	s_cselect_b32 s6, -1, 0
	v_cmp_gt_i32_e64 s0, 32, v3
	v_cndmask_b32_e64 v3, v10, v3, s0
	v_lshlrev_b32_e32 v7, 2, v3
	ds_bpermute_b32 v3, v7, v1
	ds_bpermute_b32 v4, v7, v2
	s_waitcnt lgkmcnt(0)
	v_add_f64 v[1:2], v[1:2], v[3:4]
	v_xor_b32_e32 v3, 4, v10
	v_cmp_gt_i32_e64 s0, 32, v3
	v_cndmask_b32_e64 v3, v10, v3, s0
	v_lshlrev_b32_e32 v8, 2, v3
	ds_bpermute_b32 v3, v8, v1
	ds_bpermute_b32 v4, v8, v2
	s_waitcnt lgkmcnt(0)
	v_add_f64 v[1:2], v[1:2], v[3:4]
	v_xor_b32_e32 v3, 2, v10
	;; [unrolled: 8-line block ×3, first 2 shown]
	v_cmp_gt_i32_e64 s0, 32, v3
	v_cndmask_b32_e64 v3, v10, v3, s0
	v_cmp_ne_u32_e64 s0, 0, v0
	v_lshlrev_b32_e32 v10, 2, v3
	ds_bpermute_b32 v3, v10, v1
	ds_bpermute_b32 v4, v10, v2
	s_waitcnt lgkmcnt(0)
	v_add_f64 v[1:2], v[1:2], v[3:4]
	v_or_b32_e32 v3, s4, v5
	v_mov_b32_e32 v4, s5
	v_cmp_le_i64_e64 s1, s[10:11], v[3:4]
	s_or_b32 s1, s0, s1
	s_nor_b32 s1, s6, s1
	s_and_saveexec_b32 s7, s1
	s_cbranch_execz .LBB136_87
; %bb.86:
	v_lshlrev_b64 v[3:4], 3, v[3:4]
	v_add_co_u32 v3, s1, s2, v3
	v_add_co_ci_u32_e64 v4, null, s3, v4, s1
	global_store_dwordx2 v[3:4], v[1:2], off
.LBB136_87:
	s_or_b32 exec_lo, exec_lo, s7
	v_cmp_gt_u32_e64 s1, 16, v5
	s_and_b32 exec_lo, exec_lo, s1
	s_cbranch_execz .LBB136_92
; %bb.88:
	s_and_saveexec_b32 s1, vcc_lo
	s_cbranch_execz .LBB136_90
; %bb.89:
	v_lshlrev_b32_e32 v0, 3, v5
	v_lshlrev_b32_e32 v1, 3, v6
	v_add3_u32 v0, 0, v0, v1
	ds_read_b64 v[1:2], v0 offset:128
.LBB136_90:
	s_or_b32 exec_lo, exec_lo, s1
	s_waitcnt lgkmcnt(0)
	ds_bpermute_b32 v3, v7, v1
	ds_bpermute_b32 v4, v7, v2
	v_mov_b32_e32 v7, s5
	s_waitcnt lgkmcnt(0)
	v_add_f64 v[0:1], v[1:2], v[3:4]
	v_add_nc_u32_e32 v4, 16, v5
	v_or_b32_e32 v6, s4, v4
	v_cmp_le_i64_e32 vcc_lo, s[10:11], v[6:7]
	s_or_b32 s0, s0, vcc_lo
	s_nor_b32 s0, s6, s0
	ds_bpermute_b32 v2, v8, v0
	ds_bpermute_b32 v3, v8, v1
	s_waitcnt lgkmcnt(0)
	v_add_f64 v[0:1], v[0:1], v[2:3]
	ds_bpermute_b32 v2, v9, v0
	ds_bpermute_b32 v3, v9, v1
	s_waitcnt lgkmcnt(0)
	v_add_f64 v[0:1], v[0:1], v[2:3]
	ds_bpermute_b32 v2, v10, v0
	ds_bpermute_b32 v3, v10, v1
	s_and_saveexec_b32 s1, s0
	s_xor_b32 s1, exec_lo, s1
	s_cbranch_execz .LBB136_92
; %bb.91:
	s_waitcnt lgkmcnt(0)
	v_add_f64 v[0:1], v[0:1], v[2:3]
	v_add_co_u32 v2, s0, s4, v5
	v_add_co_ci_u32_e64 v3, null, s5, 0, s0
	v_lshlrev_b64 v[2:3], 3, v[2:3]
	v_add_co_u32 v2, vcc_lo, s2, v2
	v_add_co_ci_u32_e64 v3, null, s3, v3, vcc_lo
	global_store_dwordx2 v[2:3], v[0:1], off offset:128
.LBB136_92:
	s_endpgm
	.section	.rodata,"a",@progbits
	.p2align	6, 0x0
	.amdhsa_kernel _ZN2at6native12_GLOBAL__N_135GammaBetaBackwardCUDAKernelTemplateIddLj32ELj16ELj128ELb0ELb0ELb1EEEvllPKT_S5_PKT0_S8_PS3_S9_
		.amdhsa_group_segment_fixed_size 0
		.amdhsa_private_segment_fixed_size 0
		.amdhsa_kernarg_size 320
		.amdhsa_user_sgpr_count 6
		.amdhsa_user_sgpr_private_segment_buffer 1
		.amdhsa_user_sgpr_dispatch_ptr 0
		.amdhsa_user_sgpr_queue_ptr 0
		.amdhsa_user_sgpr_kernarg_segment_ptr 1
		.amdhsa_user_sgpr_dispatch_id 0
		.amdhsa_user_sgpr_flat_scratch_init 0
		.amdhsa_user_sgpr_private_segment_size 0
		.amdhsa_wavefront_size32 1
		.amdhsa_uses_dynamic_stack 0
		.amdhsa_system_sgpr_private_segment_wavefront_offset 0
		.amdhsa_system_sgpr_workgroup_id_x 1
		.amdhsa_system_sgpr_workgroup_id_y 1
		.amdhsa_system_sgpr_workgroup_id_z 0
		.amdhsa_system_sgpr_workgroup_info 0
		.amdhsa_system_vgpr_workitem_id 1
		.amdhsa_next_free_vgpr 106
		.amdhsa_next_free_sgpr 30
		.amdhsa_reserve_vcc 1
		.amdhsa_reserve_flat_scratch 0
		.amdhsa_float_round_mode_32 0
		.amdhsa_float_round_mode_16_64 0
		.amdhsa_float_denorm_mode_32 3
		.amdhsa_float_denorm_mode_16_64 3
		.amdhsa_dx10_clamp 1
		.amdhsa_ieee_mode 1
		.amdhsa_fp16_overflow 0
		.amdhsa_workgroup_processor_mode 1
		.amdhsa_memory_ordered 1
		.amdhsa_forward_progress 1
		.amdhsa_shared_vgpr_count 0
		.amdhsa_exception_fp_ieee_invalid_op 0
		.amdhsa_exception_fp_denorm_src 0
		.amdhsa_exception_fp_ieee_div_zero 0
		.amdhsa_exception_fp_ieee_overflow 0
		.amdhsa_exception_fp_ieee_underflow 0
		.amdhsa_exception_fp_ieee_inexact 0
		.amdhsa_exception_int_div_zero 0
	.end_amdhsa_kernel
	.section	.text._ZN2at6native12_GLOBAL__N_135GammaBetaBackwardCUDAKernelTemplateIddLj32ELj16ELj128ELb0ELb0ELb1EEEvllPKT_S5_PKT0_S8_PS3_S9_,"axG",@progbits,_ZN2at6native12_GLOBAL__N_135GammaBetaBackwardCUDAKernelTemplateIddLj32ELj16ELj128ELb0ELb0ELb1EEEvllPKT_S5_PKT0_S8_PS3_S9_,comdat
.Lfunc_end136:
	.size	_ZN2at6native12_GLOBAL__N_135GammaBetaBackwardCUDAKernelTemplateIddLj32ELj16ELj128ELb0ELb0ELb1EEEvllPKT_S5_PKT0_S8_PS3_S9_, .Lfunc_end136-_ZN2at6native12_GLOBAL__N_135GammaBetaBackwardCUDAKernelTemplateIddLj32ELj16ELj128ELb0ELb0ELb1EEEvllPKT_S5_PKT0_S8_PS3_S9_
                                        ; -- End function
	.set _ZN2at6native12_GLOBAL__N_135GammaBetaBackwardCUDAKernelTemplateIddLj32ELj16ELj128ELb0ELb0ELb1EEEvllPKT_S5_PKT0_S8_PS3_S9_.num_vgpr, 106
	.set _ZN2at6native12_GLOBAL__N_135GammaBetaBackwardCUDAKernelTemplateIddLj32ELj16ELj128ELb0ELb0ELb1EEEvllPKT_S5_PKT0_S8_PS3_S9_.num_agpr, 0
	.set _ZN2at6native12_GLOBAL__N_135GammaBetaBackwardCUDAKernelTemplateIddLj32ELj16ELj128ELb0ELb0ELb1EEEvllPKT_S5_PKT0_S8_PS3_S9_.numbered_sgpr, 30
	.set _ZN2at6native12_GLOBAL__N_135GammaBetaBackwardCUDAKernelTemplateIddLj32ELj16ELj128ELb0ELb0ELb1EEEvllPKT_S5_PKT0_S8_PS3_S9_.num_named_barrier, 0
	.set _ZN2at6native12_GLOBAL__N_135GammaBetaBackwardCUDAKernelTemplateIddLj32ELj16ELj128ELb0ELb0ELb1EEEvllPKT_S5_PKT0_S8_PS3_S9_.private_seg_size, 0
	.set _ZN2at6native12_GLOBAL__N_135GammaBetaBackwardCUDAKernelTemplateIddLj32ELj16ELj128ELb0ELb0ELb1EEEvllPKT_S5_PKT0_S8_PS3_S9_.uses_vcc, 1
	.set _ZN2at6native12_GLOBAL__N_135GammaBetaBackwardCUDAKernelTemplateIddLj32ELj16ELj128ELb0ELb0ELb1EEEvllPKT_S5_PKT0_S8_PS3_S9_.uses_flat_scratch, 0
	.set _ZN2at6native12_GLOBAL__N_135GammaBetaBackwardCUDAKernelTemplateIddLj32ELj16ELj128ELb0ELb0ELb1EEEvllPKT_S5_PKT0_S8_PS3_S9_.has_dyn_sized_stack, 0
	.set _ZN2at6native12_GLOBAL__N_135GammaBetaBackwardCUDAKernelTemplateIddLj32ELj16ELj128ELb0ELb0ELb1EEEvllPKT_S5_PKT0_S8_PS3_S9_.has_recursion, 0
	.set _ZN2at6native12_GLOBAL__N_135GammaBetaBackwardCUDAKernelTemplateIddLj32ELj16ELj128ELb0ELb0ELb1EEEvllPKT_S5_PKT0_S8_PS3_S9_.has_indirect_call, 0
	.section	.AMDGPU.csdata,"",@progbits
; Kernel info:
; codeLenInByte = 8820
; TotalNumSgprs: 32
; NumVgprs: 106
; ScratchSize: 0
; MemoryBound: 1
; FloatMode: 240
; IeeeMode: 1
; LDSByteSize: 0 bytes/workgroup (compile time only)
; SGPRBlocks: 0
; VGPRBlocks: 13
; NumSGPRsForWavesPerEU: 32
; NumVGPRsForWavesPerEU: 106
; Occupancy: 9
; WaveLimiterHint : 0
; COMPUTE_PGM_RSRC2:SCRATCH_EN: 0
; COMPUTE_PGM_RSRC2:USER_SGPR: 6
; COMPUTE_PGM_RSRC2:TRAP_HANDLER: 0
; COMPUTE_PGM_RSRC2:TGID_X_EN: 1
; COMPUTE_PGM_RSRC2:TGID_Y_EN: 1
; COMPUTE_PGM_RSRC2:TGID_Z_EN: 0
; COMPUTE_PGM_RSRC2:TIDIG_COMP_CNT: 1
	.section	.text._ZN2at6native12_GLOBAL__N_135GammaBetaBackwardCUDAKernelTemplateIddLj32ELj32ELj256ELb0ELb1ELb1EEEvllPKT_S5_PKT0_S8_PS3_S9_,"axG",@progbits,_ZN2at6native12_GLOBAL__N_135GammaBetaBackwardCUDAKernelTemplateIddLj32ELj32ELj256ELb0ELb1ELb1EEEvllPKT_S5_PKT0_S8_PS3_S9_,comdat
	.globl	_ZN2at6native12_GLOBAL__N_135GammaBetaBackwardCUDAKernelTemplateIddLj32ELj32ELj256ELb0ELb1ELb1EEEvllPKT_S5_PKT0_S8_PS3_S9_ ; -- Begin function _ZN2at6native12_GLOBAL__N_135GammaBetaBackwardCUDAKernelTemplateIddLj32ELj32ELj256ELb0ELb1ELb1EEEvllPKT_S5_PKT0_S8_PS3_S9_
	.p2align	8
	.type	_ZN2at6native12_GLOBAL__N_135GammaBetaBackwardCUDAKernelTemplateIddLj32ELj32ELj256ELb0ELb1ELb1EEEvllPKT_S5_PKT0_S8_PS3_S9_,@function
_ZN2at6native12_GLOBAL__N_135GammaBetaBackwardCUDAKernelTemplateIddLj32ELj32ELj256ELb0ELb1ELb1EEEvllPKT_S5_PKT0_S8_PS3_S9_: ; @_ZN2at6native12_GLOBAL__N_135GammaBetaBackwardCUDAKernelTemplateIddLj32ELj32ELj256ELb0ELb1ELb1EEEvllPKT_S5_PKT0_S8_PS3_S9_
; %bb.0:
	s_load_dwordx4 s[8:11], s[4:5], 0x0
	s_lshl_b32 s16, s7, 8
	s_mov_b32 s17, 0
	s_waitcnt lgkmcnt(0)
	v_cmp_gt_i64_e64 s0, s[8:9], s[16:17]
	s_and_b32 vcc_lo, exec_lo, s0
	s_cbranch_vccnz .LBB137_2
; %bb.1:
	s_mov_b32 s0, s17
	s_branch .LBB137_3
.LBB137_2:
	s_mov_b32 s0, -1
.LBB137_3:
	s_load_dwordx2 s[2:3], s[4:5], 0x30
	v_mov_b32_e32 v8, 0
	v_mov_b32_e32 v9, 0
	s_andn2_b32 vcc_lo, exec_lo, s0
	s_cbranch_vccnz .LBB137_10
; %bb.4:
	s_clause 0x3
	s_load_dword s0, s[4:5], 0x4c
	s_load_dword s1, s[4:5], 0x44
	s_load_dwordx4 s[12:15], s[4:5], 0x10
	s_load_dwordx2 s[18:19], s[4:5], 0x28
	v_lshlrev_b32_e32 v4, 3, v1
	v_mov_b32_e32 v3, 0
	v_lshl_add_u32 v2, s6, 5, v0
	v_mov_b32_e32 v12, 4
	v_mov_b32_e32 v13, 8
	v_add_co_u32 v4, s4, v4, s16
	v_add_co_ci_u32_e64 v5, null, 0, 0, s4
	v_lshlrev_b64 v[8:9], 3, v[2:3]
	v_mul_lo_u32 v10, s11, v4
	v_mov_b32_e32 v14, 12
	v_mul_lo_u32 v11, s10, v5
	v_mov_b32_e32 v15, 16
	v_mov_b32_e32 v16, 20
	;; [unrolled: 1-line block ×3, first 2 shown]
	s_waitcnt lgkmcnt(0)
	s_and_b32 s0, s0, 0xffff
	s_lshl_b32 s4, s1, 8
	v_mad_u32_u24 v6, v1, s0, v0
	s_mul_i32 s1, s11, s4
	s_mul_hi_u32 s7, s10, s4
	v_mov_b32_e32 v18, 28
	s_mov_b32 s5, 0
	v_and_b32_e32 v21, 31, v6
	v_mad_u64_u32 v[6:7], null, s10, v4, 0
	s_add_i32 s21, s7, s1
	s_mul_i32 s20, s10, s4
	v_add_co_u32 v4, vcc_lo, v4, v21
	v_add_co_ci_u32_e64 v5, null, 0, v5, vcc_lo
	v_add3_u32 v7, v7, v11, v10
	v_cmp_gt_u32_e64 s0, 8, v21
	s_lshl_b64 s[20:21], s[20:21], 3
	v_lshlrev_b64 v[10:11], 3, v[4:5]
	s_lshl_b64 s[10:11], s[10:11], 3
	v_lshlrev_b64 v[19:20], 3, v[6:7]
	v_add_co_u32 v6, vcc_lo, s18, v10
	v_add_co_ci_u32_e64 v7, null, s19, v11, vcc_lo
	v_add_co_u32 v2, vcc_lo, v19, v8
	v_add_co_ci_u32_e64 v19, null, v20, v9, vcc_lo
	v_mov_b32_e32 v8, 0
	v_mov_b32_e32 v9, 0
	s_lshl_b64 s[18:19], s[4:5], 3
	s_branch .LBB137_7
.LBB137_5:                              ;   in Loop: Header=BB137_7 Depth=1
	s_or_b32 exec_lo, exec_lo, s5
.LBB137_6:                              ;   in Loop: Header=BB137_7 Depth=1
	s_or_b32 exec_lo, exec_lo, s1
	v_add_co_u32 v20, vcc_lo, s12, v2
	v_add_co_ci_u32_e64 v21, null, s13, v19, vcc_lo
	v_add_co_u32 v22, vcc_lo, s14, v2
	v_add_co_ci_u32_e64 v23, null, s15, v19, vcc_lo
	global_load_dwordx2 v[24:25], v[20:21], off
	global_load_dwordx2 v[26:27], v[22:23], off
	v_add_co_u32 v20, vcc_lo, v20, s10
	v_add_co_ci_u32_e64 v21, null, s11, v21, vcc_lo
	v_add_co_u32 v22, vcc_lo, v22, s10
	v_add_co_ci_u32_e64 v23, null, s11, v23, vcc_lo
	global_load_dwordx2 v[28:29], v[20:21], off
	global_load_dwordx2 v[30:31], v[22:23], off
	v_add_co_u32 v20, vcc_lo, v20, s10
	v_add_co_ci_u32_e64 v21, null, s11, v21, vcc_lo
	v_add_co_u32 v22, vcc_lo, v22, s10
	v_add_co_ci_u32_e64 v23, null, s11, v23, vcc_lo
	global_load_dwordx2 v[32:33], v[20:21], off
	global_load_dwordx2 v[34:35], v[22:23], off
	v_add_co_u32 v20, vcc_lo, v20, s10
	v_add_co_ci_u32_e64 v21, null, s11, v21, vcc_lo
	v_add_co_u32 v22, vcc_lo, v22, s10
	v_add_co_ci_u32_e64 v23, null, s11, v23, vcc_lo
	global_load_dwordx2 v[36:37], v[20:21], off
	global_load_dwordx2 v[38:39], v[22:23], off
	v_add_co_u32 v20, vcc_lo, v20, s10
	v_add_co_ci_u32_e64 v21, null, s11, v21, vcc_lo
	v_add_co_u32 v22, vcc_lo, v22, s10
	v_add_co_ci_u32_e64 v23, null, s11, v23, vcc_lo
	global_load_dwordx2 v[40:41], v[20:21], off
	global_load_dwordx2 v[42:43], v[22:23], off
	v_add_co_u32 v20, vcc_lo, v20, s10
	v_add_co_ci_u32_e64 v21, null, s11, v21, vcc_lo
	v_add_co_u32 v22, vcc_lo, v22, s10
	v_add_co_ci_u32_e64 v23, null, s11, v23, vcc_lo
	global_load_dwordx2 v[44:45], v[20:21], off
	global_load_dwordx2 v[46:47], v[22:23], off
	v_add_co_u32 v20, vcc_lo, v20, s10
	v_add_co_ci_u32_e64 v21, null, s11, v21, vcc_lo
	v_add_co_u32 v22, vcc_lo, v22, s10
	v_add_co_ci_u32_e64 v23, null, s11, v23, vcc_lo
	global_load_dwordx2 v[48:49], v[20:21], off
	global_load_dwordx2 v[50:51], v[22:23], off
	v_add_co_u32 v20, vcc_lo, v20, s10
	v_add_co_ci_u32_e64 v21, null, s11, v21, vcc_lo
	v_add_co_u32 v22, vcc_lo, v22, s10
	v_add_co_ci_u32_e64 v23, null, s11, v23, vcc_lo
	global_load_dwordx2 v[20:21], v[20:21], off
	global_load_dwordx2 v[22:23], v[22:23], off
	s_add_u32 s16, s16, s4
	v_add_co_u32 v6, vcc_lo, v6, s18
	s_addc_u32 s17, s17, 0
	v_add_co_ci_u32_e64 v7, null, s19, v7, vcc_lo
	v_add_co_u32 v4, vcc_lo, v4, s4
	v_cmp_lt_i64_e64 s1, s[16:17], s[8:9]
	v_add_co_ci_u32_e64 v5, null, 0, v5, vcc_lo
	v_add_co_u32 v2, vcc_lo, v2, s20
	v_add_co_ci_u32_e64 v19, null, s21, v19, vcc_lo
	s_and_b32 vcc_lo, exec_lo, s1
	s_waitcnt vmcnt(14)
	v_mul_f64 v[24:25], v[24:25], v[26:27]
	ds_bpermute_b32 v26, v3, v10
	ds_bpermute_b32 v27, v3, v11
	s_waitcnt vmcnt(12)
	v_mul_f64 v[28:29], v[28:29], v[30:31]
	s_waitcnt lgkmcnt(0)
	v_fma_f64 v[8:9], v[24:25], v[26:27], v[8:9]
	ds_bpermute_b32 v24, v12, v10
	ds_bpermute_b32 v25, v12, v11
	s_waitcnt vmcnt(10)
	v_mul_f64 v[26:27], v[32:33], v[34:35]
	s_waitcnt lgkmcnt(0)
	v_fma_f64 v[8:9], v[28:29], v[24:25], v[8:9]
	;; [unrolled: 6-line block ×3, first 2 shown]
	ds_bpermute_b32 v24, v14, v10
	ds_bpermute_b32 v25, v14, v11
	s_waitcnt vmcnt(6)
	v_mul_f64 v[26:27], v[40:41], v[42:43]
	s_waitcnt vmcnt(0)
	v_mul_f64 v[20:21], v[20:21], v[22:23]
	s_waitcnt lgkmcnt(0)
	v_fma_f64 v[8:9], v[28:29], v[24:25], v[8:9]
	ds_bpermute_b32 v24, v15, v10
	ds_bpermute_b32 v25, v15, v11
	v_mul_f64 v[28:29], v[44:45], v[46:47]
	s_waitcnt lgkmcnt(0)
	v_fma_f64 v[8:9], v[26:27], v[24:25], v[8:9]
	ds_bpermute_b32 v24, v16, v10
	ds_bpermute_b32 v25, v16, v11
	;; [unrolled: 5-line block ×3, first 2 shown]
	ds_bpermute_b32 v10, v18, v10
	ds_bpermute_b32 v11, v18, v11
	s_waitcnt lgkmcnt(2)
	v_fma_f64 v[8:9], v[26:27], v[24:25], v[8:9]
	s_waitcnt lgkmcnt(0)
	v_fma_f64 v[8:9], v[20:21], v[10:11], v[8:9]
	s_cbranch_vccz .LBB137_10
.LBB137_7:                              ; =>This Inner Loop Header: Depth=1
	v_mov_b32_e32 v10, 0
	v_mov_b32_e32 v11, 0
	s_and_saveexec_b32 s1, s0
	s_cbranch_execz .LBB137_6
; %bb.8:                                ;   in Loop: Header=BB137_7 Depth=1
	v_mov_b32_e32 v10, 0
	v_mov_b32_e32 v11, 0
	s_mov_b32 s5, exec_lo
	v_cmpx_gt_i64_e64 s[8:9], v[4:5]
	s_cbranch_execz .LBB137_5
; %bb.9:                                ;   in Loop: Header=BB137_7 Depth=1
	global_load_dwordx2 v[10:11], v[6:7], off
	s_branch .LBB137_5
.LBB137_10:
	v_mad_u32_u24 v3, v1, 33, v0
	v_lshrrev_b32_e32 v4, 5, v0
	v_mov_b32_e32 v2, 0
	s_mov_b32 s0, exec_lo
	v_lshl_add_u32 v5, v3, 3, 0
	v_add_nc_u32_e32 v1, v4, v1
	v_mov_b32_e32 v3, v2
	ds_write_b64 v5, v[8:9]
	ds_write_b64 v5, v[2:3] offset:8448
	s_waitcnt lgkmcnt(0)
	s_barrier
	buffer_gl0_inv
	v_cmpx_gt_u32_e32 32, v1
	s_cbranch_execz .LBB137_13
; %bb.11:
	v_and_b32_e32 v2, 31, v0
	v_lshlrev_b32_e32 v3, 3, v1
	v_mbcnt_lo_u32_b32 v6, -1, 0
	s_cmp_lg_u64 s[2:3], 0
	s_cselect_b32 s0, -1, 0
	v_mul_u32_u24_e32 v2, 0x108, v2
	v_xor_b32_e32 v4, 16, v6
	v_add3_u32 v2, 0, v3, v2
	v_cmp_gt_i32_e32 vcc_lo, 32, v4
	ds_read_b64 v[2:3], v2
	v_cndmask_b32_e32 v4, v6, v4, vcc_lo
	v_lshlrev_b32_e32 v5, 2, v4
	s_waitcnt lgkmcnt(0)
	ds_bpermute_b32 v4, v5, v2
	ds_bpermute_b32 v5, v5, v3
	s_waitcnt lgkmcnt(0)
	v_add_f64 v[2:3], v[2:3], v[4:5]
	v_xor_b32_e32 v4, 8, v6
	v_cmp_gt_i32_e32 vcc_lo, 32, v4
	v_cndmask_b32_e32 v4, v6, v4, vcc_lo
	v_lshlrev_b32_e32 v5, 2, v4
	ds_bpermute_b32 v4, v5, v2
	ds_bpermute_b32 v5, v5, v3
	s_waitcnt lgkmcnt(0)
	v_add_f64 v[2:3], v[2:3], v[4:5]
	v_xor_b32_e32 v4, 4, v6
	v_cmp_gt_i32_e32 vcc_lo, 32, v4
	v_cndmask_b32_e32 v4, v6, v4, vcc_lo
	v_lshlrev_b32_e32 v5, 2, v4
	;; [unrolled: 8-line block ×3, first 2 shown]
	ds_bpermute_b32 v4, v5, v2
	ds_bpermute_b32 v5, v5, v3
	s_waitcnt lgkmcnt(0)
	v_add_f64 v[2:3], v[2:3], v[4:5]
	v_xor_b32_e32 v4, 1, v6
	v_cmp_gt_i32_e32 vcc_lo, 32, v4
	v_cndmask_b32_e32 v4, v6, v4, vcc_lo
	v_cmp_eq_u32_e32 vcc_lo, 0, v0
	v_lshlrev_b32_e32 v5, 2, v4
	s_and_b32 s0, vcc_lo, s0
	ds_bpermute_b32 v4, v5, v2
	ds_bpermute_b32 v5, v5, v3
	s_and_b32 exec_lo, exec_lo, s0
	s_cbranch_execz .LBB137_13
; %bb.12:
	s_waitcnt lgkmcnt(0)
	v_add_f64 v[3:4], v[2:3], v[4:5]
	v_mov_b32_e32 v2, 0
	s_mov_b32 s7, 0
	s_lshl_b64 s[0:1], s[6:7], 8
	v_lshlrev_b64 v[0:1], 3, v[1:2]
	s_add_u32 s0, s2, s0
	s_addc_u32 s1, s3, s1
	v_add_co_u32 v0, vcc_lo, s0, v0
	v_add_co_ci_u32_e64 v1, null, s1, v1, vcc_lo
	global_store_dwordx2 v[0:1], v[3:4], off
.LBB137_13:
	s_endpgm
	.section	.rodata,"a",@progbits
	.p2align	6, 0x0
	.amdhsa_kernel _ZN2at6native12_GLOBAL__N_135GammaBetaBackwardCUDAKernelTemplateIddLj32ELj32ELj256ELb0ELb1ELb1EEEvllPKT_S5_PKT0_S8_PS3_S9_
		.amdhsa_group_segment_fixed_size 0
		.amdhsa_private_segment_fixed_size 0
		.amdhsa_kernarg_size 320
		.amdhsa_user_sgpr_count 6
		.amdhsa_user_sgpr_private_segment_buffer 1
		.amdhsa_user_sgpr_dispatch_ptr 0
		.amdhsa_user_sgpr_queue_ptr 0
		.amdhsa_user_sgpr_kernarg_segment_ptr 1
		.amdhsa_user_sgpr_dispatch_id 0
		.amdhsa_user_sgpr_flat_scratch_init 0
		.amdhsa_user_sgpr_private_segment_size 0
		.amdhsa_wavefront_size32 1
		.amdhsa_uses_dynamic_stack 0
		.amdhsa_system_sgpr_private_segment_wavefront_offset 0
		.amdhsa_system_sgpr_workgroup_id_x 1
		.amdhsa_system_sgpr_workgroup_id_y 1
		.amdhsa_system_sgpr_workgroup_id_z 0
		.amdhsa_system_sgpr_workgroup_info 0
		.amdhsa_system_vgpr_workitem_id 1
		.amdhsa_next_free_vgpr 52
		.amdhsa_next_free_sgpr 22
		.amdhsa_reserve_vcc 1
		.amdhsa_reserve_flat_scratch 0
		.amdhsa_float_round_mode_32 0
		.amdhsa_float_round_mode_16_64 0
		.amdhsa_float_denorm_mode_32 3
		.amdhsa_float_denorm_mode_16_64 3
		.amdhsa_dx10_clamp 1
		.amdhsa_ieee_mode 1
		.amdhsa_fp16_overflow 0
		.amdhsa_workgroup_processor_mode 1
		.amdhsa_memory_ordered 1
		.amdhsa_forward_progress 1
		.amdhsa_shared_vgpr_count 0
		.amdhsa_exception_fp_ieee_invalid_op 0
		.amdhsa_exception_fp_denorm_src 0
		.amdhsa_exception_fp_ieee_div_zero 0
		.amdhsa_exception_fp_ieee_overflow 0
		.amdhsa_exception_fp_ieee_underflow 0
		.amdhsa_exception_fp_ieee_inexact 0
		.amdhsa_exception_int_div_zero 0
	.end_amdhsa_kernel
	.section	.text._ZN2at6native12_GLOBAL__N_135GammaBetaBackwardCUDAKernelTemplateIddLj32ELj32ELj256ELb0ELb1ELb1EEEvllPKT_S5_PKT0_S8_PS3_S9_,"axG",@progbits,_ZN2at6native12_GLOBAL__N_135GammaBetaBackwardCUDAKernelTemplateIddLj32ELj32ELj256ELb0ELb1ELb1EEEvllPKT_S5_PKT0_S8_PS3_S9_,comdat
.Lfunc_end137:
	.size	_ZN2at6native12_GLOBAL__N_135GammaBetaBackwardCUDAKernelTemplateIddLj32ELj32ELj256ELb0ELb1ELb1EEEvllPKT_S5_PKT0_S8_PS3_S9_, .Lfunc_end137-_ZN2at6native12_GLOBAL__N_135GammaBetaBackwardCUDAKernelTemplateIddLj32ELj32ELj256ELb0ELb1ELb1EEEvllPKT_S5_PKT0_S8_PS3_S9_
                                        ; -- End function
	.set _ZN2at6native12_GLOBAL__N_135GammaBetaBackwardCUDAKernelTemplateIddLj32ELj32ELj256ELb0ELb1ELb1EEEvllPKT_S5_PKT0_S8_PS3_S9_.num_vgpr, 52
	.set _ZN2at6native12_GLOBAL__N_135GammaBetaBackwardCUDAKernelTemplateIddLj32ELj32ELj256ELb0ELb1ELb1EEEvllPKT_S5_PKT0_S8_PS3_S9_.num_agpr, 0
	.set _ZN2at6native12_GLOBAL__N_135GammaBetaBackwardCUDAKernelTemplateIddLj32ELj32ELj256ELb0ELb1ELb1EEEvllPKT_S5_PKT0_S8_PS3_S9_.numbered_sgpr, 22
	.set _ZN2at6native12_GLOBAL__N_135GammaBetaBackwardCUDAKernelTemplateIddLj32ELj32ELj256ELb0ELb1ELb1EEEvllPKT_S5_PKT0_S8_PS3_S9_.num_named_barrier, 0
	.set _ZN2at6native12_GLOBAL__N_135GammaBetaBackwardCUDAKernelTemplateIddLj32ELj32ELj256ELb0ELb1ELb1EEEvllPKT_S5_PKT0_S8_PS3_S9_.private_seg_size, 0
	.set _ZN2at6native12_GLOBAL__N_135GammaBetaBackwardCUDAKernelTemplateIddLj32ELj32ELj256ELb0ELb1ELb1EEEvllPKT_S5_PKT0_S8_PS3_S9_.uses_vcc, 1
	.set _ZN2at6native12_GLOBAL__N_135GammaBetaBackwardCUDAKernelTemplateIddLj32ELj32ELj256ELb0ELb1ELb1EEEvllPKT_S5_PKT0_S8_PS3_S9_.uses_flat_scratch, 0
	.set _ZN2at6native12_GLOBAL__N_135GammaBetaBackwardCUDAKernelTemplateIddLj32ELj32ELj256ELb0ELb1ELb1EEEvllPKT_S5_PKT0_S8_PS3_S9_.has_dyn_sized_stack, 0
	.set _ZN2at6native12_GLOBAL__N_135GammaBetaBackwardCUDAKernelTemplateIddLj32ELj32ELj256ELb0ELb1ELb1EEEvllPKT_S5_PKT0_S8_PS3_S9_.has_recursion, 0
	.set _ZN2at6native12_GLOBAL__N_135GammaBetaBackwardCUDAKernelTemplateIddLj32ELj32ELj256ELb0ELb1ELb1EEEvllPKT_S5_PKT0_S8_PS3_S9_.has_indirect_call, 0
	.section	.AMDGPU.csdata,"",@progbits
; Kernel info:
; codeLenInByte = 1600
; TotalNumSgprs: 24
; NumVgprs: 52
; ScratchSize: 0
; MemoryBound: 0
; FloatMode: 240
; IeeeMode: 1
; LDSByteSize: 0 bytes/workgroup (compile time only)
; SGPRBlocks: 0
; VGPRBlocks: 6
; NumSGPRsForWavesPerEU: 24
; NumVGPRsForWavesPerEU: 52
; Occupancy: 16
; WaveLimiterHint : 0
; COMPUTE_PGM_RSRC2:SCRATCH_EN: 0
; COMPUTE_PGM_RSRC2:USER_SGPR: 6
; COMPUTE_PGM_RSRC2:TRAP_HANDLER: 0
; COMPUTE_PGM_RSRC2:TGID_X_EN: 1
; COMPUTE_PGM_RSRC2:TGID_Y_EN: 1
; COMPUTE_PGM_RSRC2:TGID_Z_EN: 0
; COMPUTE_PGM_RSRC2:TIDIG_COMP_CNT: 1
	.section	.text._ZN2at6native12_GLOBAL__N_135GammaBetaBackwardCUDAKernelTemplateIddLj32ELj32ELj256ELb0ELb0ELb1EEEvllPKT_S5_PKT0_S8_PS3_S9_,"axG",@progbits,_ZN2at6native12_GLOBAL__N_135GammaBetaBackwardCUDAKernelTemplateIddLj32ELj32ELj256ELb0ELb0ELb1EEEvllPKT_S5_PKT0_S8_PS3_S9_,comdat
	.globl	_ZN2at6native12_GLOBAL__N_135GammaBetaBackwardCUDAKernelTemplateIddLj32ELj32ELj256ELb0ELb0ELb1EEEvllPKT_S5_PKT0_S8_PS3_S9_ ; -- Begin function _ZN2at6native12_GLOBAL__N_135GammaBetaBackwardCUDAKernelTemplateIddLj32ELj32ELj256ELb0ELb0ELb1EEEvllPKT_S5_PKT0_S8_PS3_S9_
	.p2align	8
	.type	_ZN2at6native12_GLOBAL__N_135GammaBetaBackwardCUDAKernelTemplateIddLj32ELj32ELj256ELb0ELb0ELb1EEEvllPKT_S5_PKT0_S8_PS3_S9_,@function
_ZN2at6native12_GLOBAL__N_135GammaBetaBackwardCUDAKernelTemplateIddLj32ELj32ELj256ELb0ELb0ELb1EEEvllPKT_S5_PKT0_S8_PS3_S9_: ; @_ZN2at6native12_GLOBAL__N_135GammaBetaBackwardCUDAKernelTemplateIddLj32ELj32ELj256ELb0ELb0ELb1EEEvllPKT_S5_PKT0_S8_PS3_S9_
; %bb.0:
	s_clause 0x1
	s_load_dwordx8 s[8:15], s[4:5], 0x0
	s_load_dwordx2 s[2:3], s[4:5], 0x28
	s_lshl_b32 s26, s6, 5
	s_mov_b32 s17, 0
	s_or_b32 s16, s26, 31
	s_waitcnt lgkmcnt(0)
	v_cmp_le_i64_e64 s0, s[10:11], s[16:17]
	s_lshl_b32 s16, s7, 8
	v_cmp_gt_i64_e64 s7, s[8:9], s[16:17]
	s_and_b32 vcc_lo, exec_lo, s0
	v_cndmask_b32_e64 v2, 0, 1, s7
	v_cmp_ne_u32_e64 s0, 1, v2
	s_cbranch_vccz .LBB138_48
; %bb.1:
	v_mov_b32_e32 v37, 0
	v_mov_b32_e32 v38, 0
	s_and_b32 vcc_lo, exec_lo, s0
	s_cbranch_vccnz .LBB138_49
; %bb.2:
	v_lshlrev_b32_e32 v43, 3, v1
	v_mov_b32_e32 v2, 0
	v_add_nc_u32_e32 v5, s26, v0
	s_load_dword s1, s[4:5], 0x44
	s_add_u32 s18, s4, 64
	v_add_co_u32 v11, s0, v43, s16
	v_add_co_ci_u32_e64 v12, null, 0, 0, s0
	v_mov_b32_e32 v6, v2
	v_mul_lo_u32 v7, s11, v11
	v_mad_u64_u32 v[3:4], null, s10, v11, 0
	v_mul_lo_u32 v8, s10, v12
	v_cmp_gt_i64_e64 s0, s[10:11], v[5:6]
	v_lshlrev_b64 v[35:36], 3, v[5:6]
	s_addc_u32 s19, s5, 0
	v_mov_b32_e32 v37, 0
	v_mov_b32_e32 v38, 0
	s_mov_b64 s[24:25], s[16:17]
	v_add3_u32 v4, v4, v8, v7
	v_add_co_u32 v7, vcc_lo, v11, 7
	v_add_co_ci_u32_e64 v8, null, 0, v12, vcc_lo
	v_lshlrev_b64 v[5:6], 3, v[3:4]
	v_mul_lo_u32 v13, s11, v7
	s_waitcnt lgkmcnt(0)
	s_lshl_b32 s27, s1, 8
	v_mul_lo_u32 v14, s10, v8
	v_mad_u64_u32 v[7:8], null, s10, v7, 0
	v_add_co_u32 v44, vcc_lo, s12, v5
	v_add_co_ci_u32_e64 v45, null, s13, v6, vcc_lo
	v_add_co_u32 v9, vcc_lo, v11, 6
	v_add_co_ci_u32_e64 v10, null, 0, v12, vcc_lo
	v_add_co_u32 v46, vcc_lo, s14, v5
	v_mul_lo_u32 v15, s11, v9
	v_mul_lo_u32 v16, s10, v10
	v_mad_u64_u32 v[9:10], null, s10, v9, 0
	v_add3_u32 v8, v8, v14, v13
	v_add_co_ci_u32_e64 v47, null, s15, v6, vcc_lo
	v_add_co_u32 v13, vcc_lo, v11, 5
	v_add_co_ci_u32_e64 v14, null, 0, v12, vcc_lo
	v_add3_u32 v10, v10, v16, v15
	v_lshlrev_b64 v[5:6], 3, v[7:8]
	v_mul_lo_u32 v15, s11, v13
	v_mul_lo_u32 v14, s10, v14
	s_mul_i32 s1, s11, s27
	v_lshlrev_b64 v[7:8], 3, v[9:10]
	v_mad_u64_u32 v[9:10], null, s10, v13, 0
	v_add_co_u32 v48, vcc_lo, s12, v5
	v_add_co_ci_u32_e64 v49, null, s13, v6, vcc_lo
	v_add_co_u32 v50, vcc_lo, s14, v5
	v_add_co_ci_u32_e64 v51, null, s15, v6, vcc_lo
	v_add_co_u32 v52, vcc_lo, s12, v7
	v_add3_u32 v10, v10, v14, v15
	s_mul_hi_u32 s20, s10, s27
	v_add_co_ci_u32_e64 v53, null, s13, v8, vcc_lo
	v_add_co_u32 v13, vcc_lo, v11, 4
	s_add_i32 s21, s20, s1
	v_add_co_u32 v54, s1, s14, v7
	v_add_co_ci_u32_e64 v7, null, 0, v12, vcc_lo
	v_lshlrev_b64 v[5:6], 3, v[9:10]
	v_add_co_u32 v9, vcc_lo, v11, 3
	v_add_co_ci_u32_e64 v10, null, 0, v12, vcc_lo
	v_add_co_ci_u32_e64 v55, null, s15, v8, s1
	v_mul_lo_u32 v14, s11, v13
	v_mul_lo_u32 v15, s10, v7
	v_mad_u64_u32 v[7:8], null, s10, v13, 0
	v_mul_lo_u32 v13, s11, v9
	v_mul_lo_u32 v16, s10, v10
	v_mad_u64_u32 v[9:10], null, s10, v9, 0
	v_add_co_u32 v56, vcc_lo, s12, v5
	v_add_co_ci_u32_e64 v57, null, s13, v6, vcc_lo
	v_add3_u32 v8, v8, v15, v14
	v_add_co_u32 v58, vcc_lo, s14, v5
	v_add_co_ci_u32_e64 v59, null, s15, v6, vcc_lo
	v_add_co_u32 v11, vcc_lo, v11, 2
	v_add3_u32 v10, v10, v16, v13
	v_add_co_ci_u32_e64 v12, null, 0, v12, vcc_lo
	v_lshlrev_b64 v[5:6], 3, v[7:8]
	v_mul_lo_u32 v13, s11, v11
	v_lshlrev_b64 v[7:8], 3, v[9:10]
	v_mul_lo_u32 v12, s10, v12
	v_mad_u64_u32 v[9:10], null, s10, v11, 0
	v_add_co_u32 v60, vcc_lo, s12, v5
	v_add_co_ci_u32_e64 v61, null, s13, v6, vcc_lo
	v_add_co_u32 v62, vcc_lo, s14, v5
	v_add_co_ci_u32_e64 v63, null, s15, v6, vcc_lo
	;; [unrolled: 2-line block ×3, first 2 shown]
	v_add3_u32 v10, v10, v12, v13
	v_add_co_u32 v66, vcc_lo, s14, v7
	v_add_co_ci_u32_e64 v67, null, s15, v8, vcc_lo
	v_add_co_u32 v3, vcc_lo, v3, s10
	v_add_co_ci_u32_e64 v4, null, s11, v4, vcc_lo
	v_lshlrev_b64 v[5:6], 3, v[9:10]
	s_mul_i32 s20, s10, s27
	v_lshlrev_b64 v[3:4], 3, v[3:4]
	s_lshl_b64 s[20:21], s[20:21], 3
	s_add_u32 s22, s16, 0xff
	v_add_co_u32 v68, vcc_lo, s12, v5
	v_add_co_ci_u32_e64 v69, null, s13, v6, vcc_lo
	v_add_co_u32 v70, vcc_lo, s14, v5
	v_add_co_ci_u32_e64 v71, null, s15, v6, vcc_lo
	v_add_co_u32 v72, vcc_lo, s12, v3
	v_add_co_ci_u32_e64 v73, null, s13, v4, vcc_lo
	v_add_co_u32 v74, vcc_lo, s14, v3
	v_add_co_ci_u32_e64 v75, null, s15, v4, vcc_lo
	s_addc_u32 s23, 0, 0
	s_branch .LBB138_5
.LBB138_3:                              ;   in Loop: Header=BB138_5 Depth=1
	s_or_b32 exec_lo, exec_lo, s1
	s_waitcnt vmcnt(0)
	v_mul_f64 v[3:4], v[19:20], v[3:4]
	ds_bpermute_b32 v19, v2, v39
	ds_bpermute_b32 v20, v2, v40
	v_mul_f64 v[5:6], v[21:22], v[5:6]
	v_mul_f64 v[7:8], v[23:24], v[7:8]
	;; [unrolled: 1-line block ×3, first 2 shown]
	s_waitcnt lgkmcnt(0)
	v_fma_f64 v[3:4], v[3:4], v[19:20], v[37:38]
	ds_bpermute_b32 v19, v2, v39 offset:4
	ds_bpermute_b32 v20, v2, v40 offset:4
	s_waitcnt lgkmcnt(0)
	v_fma_f64 v[3:4], v[5:6], v[19:20], v[3:4]
	ds_bpermute_b32 v5, v2, v39 offset:8
	ds_bpermute_b32 v6, v2, v40 offset:8
	;; [unrolled: 4-line block ×3, first 2 shown]
	v_mul_f64 v[7:8], v[27:28], v[11:12]
	s_waitcnt lgkmcnt(0)
	v_fma_f64 v[3:4], v[9:10], v[5:6], v[3:4]
	ds_bpermute_b32 v5, v2, v39 offset:16
	ds_bpermute_b32 v6, v2, v40 offset:16
	v_mul_f64 v[9:10], v[29:30], v[13:14]
	s_waitcnt lgkmcnt(0)
	v_fma_f64 v[3:4], v[7:8], v[5:6], v[3:4]
	ds_bpermute_b32 v5, v2, v39 offset:20
	ds_bpermute_b32 v6, v2, v40 offset:20
	;; [unrolled: 1-line block ×4, first 2 shown]
	s_waitcnt lgkmcnt(2)
	v_fma_f64 v[3:4], v[9:10], v[5:6], v[3:4]
	v_mul_f64 v[5:6], v[31:32], v[15:16]
	s_waitcnt lgkmcnt(0)
	v_fma_f64 v[41:42], v[5:6], v[7:8], v[3:4]
	ds_bpermute_b32 v3, v2, v39 offset:28
	ds_bpermute_b32 v4, v2, v40 offset:28
.LBB138_4:                              ;   in Loop: Header=BB138_5 Depth=1
	v_mul_f64 v[5:6], v[17:18], v[33:34]
	v_add_co_u32 v44, vcc_lo, v44, s20
	v_add_co_ci_u32_e64 v45, null, s21, v45, vcc_lo
	v_add_co_u32 v46, vcc_lo, v46, s20
	v_add_co_ci_u32_e64 v47, null, s21, v47, vcc_lo
	;; [unrolled: 2-line block ×7, first 2 shown]
	v_add_co_u32 v58, vcc_lo, v58, s20
	s_waitcnt lgkmcnt(0)
	v_fma_f64 v[37:38], v[5:6], v[3:4], v[41:42]
	v_add_co_ci_u32_e64 v59, null, s21, v59, vcc_lo
	v_add_co_u32 v60, vcc_lo, v60, s20
	v_add_co_ci_u32_e64 v61, null, s21, v61, vcc_lo
	v_add_co_u32 v62, vcc_lo, v62, s20
	;; [unrolled: 2-line block ×5, first 2 shown]
	s_add_u32 s24, s24, s27
	v_add_co_ci_u32_e64 v69, null, s21, v69, vcc_lo
	v_add_co_u32 v70, vcc_lo, v70, s20
	s_addc_u32 s25, s25, 0
	v_add_co_ci_u32_e64 v71, null, s21, v71, vcc_lo
	v_add_co_u32 v72, vcc_lo, v72, s20
	v_cmp_lt_i64_e64 s1, s[24:25], s[8:9]
	v_add_co_ci_u32_e64 v73, null, s21, v73, vcc_lo
	v_add_co_u32 v74, vcc_lo, v74, s20
	v_add_co_ci_u32_e64 v75, null, s21, v75, vcc_lo
	s_add_u32 s22, s22, s27
	s_addc_u32 s23, s23, 0
	s_and_b32 vcc_lo, exec_lo, s1
	s_cbranch_vccz .LBB138_49
.LBB138_5:                              ; =>This Inner Loop Header: Depth=1
	v_cmp_ge_i64_e64 s1, s[22:23], s[8:9]
	v_add_co_u32 v76, s28, v43, s22
	v_add_co_ci_u32_e64 v77, null, 0, s23, s28
                                        ; implicit-def: $vgpr3_vgpr4_vgpr5_vgpr6_vgpr7_vgpr8_vgpr9_vgpr10_vgpr11_vgpr12_vgpr13_vgpr14_vgpr15_vgpr16_vgpr17_vgpr18
                                        ; implicit-def: $vgpr41_vgpr42
                                        ; implicit-def: $vgpr19_vgpr20_vgpr21_vgpr22_vgpr23_vgpr24_vgpr25_vgpr26_vgpr27_vgpr28_vgpr29_vgpr30_vgpr31_vgpr32_vgpr33_vgpr34
                                        ; implicit-def: $vgpr3
	s_and_b32 vcc_lo, exec_lo, s1
	s_mov_b32 s1, -1
	s_cbranch_vccz .LBB138_27
; %bb.6:                                ;   in Loop: Header=BB138_5 Depth=1
	s_load_dword s1, s[18:19], 0xc
	v_mov_b32_e32 v39, 0
	v_mov_b32_e32 v40, 0
	s_waitcnt lgkmcnt(0)
	s_and_b32 s1, s1, 0xffff
	v_mad_u32_u24 v3, v1, s1, v0
	s_mov_b32 s1, exec_lo
	v_and_b32_e32 v3, 31, v3
	v_cmpx_gt_u32_e32 8, v3
	s_cbranch_execz .LBB138_10
; %bb.7:                                ;   in Loop: Header=BB138_5 Depth=1
	v_add_co_u32 v3, vcc_lo, v76, v3
	v_add_co_ci_u32_e64 v4, null, 0, v77, vcc_lo
	v_mov_b32_e32 v39, 0
	v_add_co_u32 v3, vcc_lo, 0xffffff01, v3
	v_add_co_ci_u32_e64 v4, null, -1, v4, vcc_lo
	v_mov_b32_e32 v40, 0
	s_mov_b32 s28, exec_lo
	v_cmpx_gt_i64_e64 s[8:9], v[3:4]
	s_cbranch_execz .LBB138_9
; %bb.8:                                ;   in Loop: Header=BB138_5 Depth=1
	v_lshlrev_b64 v[3:4], 3, v[3:4]
	v_add_co_u32 v3, vcc_lo, s2, v3
	v_add_co_ci_u32_e64 v4, null, s3, v4, vcc_lo
	global_load_dwordx2 v[39:40], v[3:4], off
.LBB138_9:                              ;   in Loop: Header=BB138_5 Depth=1
	s_or_b32 exec_lo, exec_lo, s28
.LBB138_10:                             ;   in Loop: Header=BB138_5 Depth=1
	s_or_b32 exec_lo, exec_lo, s1
	v_add_co_u32 v18, vcc_lo, 0xffffff01, v76
	v_add_co_ci_u32_e64 v19, null, -1, v77, vcc_lo
	v_mov_b32_e32 v17, v2
	v_mov_b32_e32 v3, v2
	;; [unrolled: 1-line block ×15, first 2 shown]
	v_cmp_gt_i64_e32 vcc_lo, s[8:9], v[18:19]
	v_mov_b32_e32 v34, v17
	v_mov_b32_e32 v31, v14
	;; [unrolled: 1-line block ×32, first 2 shown]
	s_and_b32 s28, s0, vcc_lo
	s_and_saveexec_b32 s1, s28
	s_cbranch_execz .LBB138_12
; %bb.11:                               ;   in Loop: Header=BB138_5 Depth=1
	v_add_co_u32 v3, vcc_lo, v44, v35
	v_add_co_ci_u32_e64 v4, null, v45, v36, vcc_lo
	v_add_co_u32 v5, vcc_lo, v46, v35
	v_add_co_ci_u32_e64 v6, null, v47, v36, vcc_lo
	global_load_dwordx2 v[3:4], v[3:4], off
	global_load_dwordx2 v[19:20], v[5:6], off
	v_mov_b32_e32 v5, v2
	v_mov_b32_e32 v6, v2
	;; [unrolled: 1-line block ×28, first 2 shown]
.LBB138_12:                             ;   in Loop: Header=BB138_5 Depth=1
	s_or_b32 exec_lo, exec_lo, s1
	v_add_co_u32 v41, vcc_lo, 0xffffff02, v76
	v_add_co_ci_u32_e64 v42, null, -1, v77, vcc_lo
	v_cmp_gt_i64_e32 vcc_lo, s[8:9], v[41:42]
	s_and_b32 s28, s0, vcc_lo
	s_and_saveexec_b32 s1, s28
	s_cbranch_execz .LBB138_14
; %bb.13:                               ;   in Loop: Header=BB138_5 Depth=1
	v_add_co_u32 v5, vcc_lo, v72, v35
	v_add_co_ci_u32_e64 v6, null, v73, v36, vcc_lo
	v_add_co_u32 v21, vcc_lo, v74, v35
	v_add_co_ci_u32_e64 v22, null, v75, v36, vcc_lo
	global_load_dwordx2 v[5:6], v[5:6], off
	global_load_dwordx2 v[21:22], v[21:22], off
.LBB138_14:                             ;   in Loop: Header=BB138_5 Depth=1
	s_or_b32 exec_lo, exec_lo, s1
	v_add_co_u32 v41, vcc_lo, 0xffffff03, v76
	v_add_co_ci_u32_e64 v42, null, -1, v77, vcc_lo
	v_cmp_gt_i64_e32 vcc_lo, s[8:9], v[41:42]
	s_and_b32 s28, s0, vcc_lo
	s_and_saveexec_b32 s1, s28
	s_cbranch_execz .LBB138_16
; %bb.15:                               ;   in Loop: Header=BB138_5 Depth=1
	v_add_co_u32 v7, vcc_lo, v68, v35
	v_add_co_ci_u32_e64 v8, null, v69, v36, vcc_lo
	v_add_co_u32 v23, vcc_lo, v70, v35
	v_add_co_ci_u32_e64 v24, null, v71, v36, vcc_lo
	global_load_dwordx2 v[7:8], v[7:8], off
	global_load_dwordx2 v[23:24], v[23:24], off
.LBB138_16:                             ;   in Loop: Header=BB138_5 Depth=1
	;; [unrolled: 15-line block ×7, first 2 shown]
	s_or_b32 exec_lo, exec_lo, s1
	s_waitcnt vmcnt(0)
	v_mul_f64 v[3:4], v[19:20], v[3:4]
	ds_bpermute_b32 v19, v2, v39
	ds_bpermute_b32 v20, v2, v40
	v_mul_f64 v[5:6], v[21:22], v[5:6]
	v_mul_f64 v[7:8], v[23:24], v[7:8]
	;; [unrolled: 1-line block ×3, first 2 shown]
	s_mov_b32 s1, 0
	s_waitcnt lgkmcnt(0)
	v_fma_f64 v[3:4], v[3:4], v[19:20], v[37:38]
	ds_bpermute_b32 v19, v2, v39 offset:4
	ds_bpermute_b32 v20, v2, v40 offset:4
	s_waitcnt lgkmcnt(0)
	v_fma_f64 v[3:4], v[5:6], v[19:20], v[3:4]
	ds_bpermute_b32 v5, v2, v39 offset:8
	ds_bpermute_b32 v6, v2, v40 offset:8
	;; [unrolled: 4-line block ×3, first 2 shown]
	v_mul_f64 v[7:8], v[27:28], v[11:12]
	s_waitcnt lgkmcnt(0)
	v_fma_f64 v[3:4], v[9:10], v[5:6], v[3:4]
	ds_bpermute_b32 v5, v2, v39 offset:16
	ds_bpermute_b32 v6, v2, v40 offset:16
	v_mul_f64 v[9:10], v[29:30], v[13:14]
	s_waitcnt lgkmcnt(0)
	v_fma_f64 v[3:4], v[7:8], v[5:6], v[3:4]
	ds_bpermute_b32 v5, v2, v39 offset:20
	ds_bpermute_b32 v6, v2, v40 offset:20
	;; [unrolled: 1-line block ×4, first 2 shown]
	s_waitcnt lgkmcnt(2)
	v_fma_f64 v[3:4], v[9:10], v[5:6], v[3:4]
	v_mul_f64 v[5:6], v[31:32], v[15:16]
	s_waitcnt lgkmcnt(0)
	v_fma_f64 v[41:42], v[5:6], v[7:8], v[3:4]
	ds_bpermute_b32 v3, v2, v39 offset:28
	ds_bpermute_b32 v4, v2, v40 offset:28
.LBB138_27:                             ;   in Loop: Header=BB138_5 Depth=1
	s_and_b32 vcc_lo, exec_lo, s1
	s_cbranch_vccz .LBB138_4
; %bb.28:                               ;   in Loop: Header=BB138_5 Depth=1
	s_load_dword s1, s[18:19], 0x0
	v_mov_b32_e32 v39, 0
	v_mov_b32_e32 v40, 0
	s_waitcnt lgkmcnt(0)
	s_cmp_lt_u32 s6, s1
	s_cselect_b32 s1, 12, 18
	s_add_u32 s28, s18, s1
	s_addc_u32 s29, s19, 0
	s_mov_b32 s1, exec_lo
	global_load_ushort v3, v2, s[28:29]
	s_waitcnt vmcnt(0)
	v_mad_u32_u24 v3, v1, v3, v0
	v_and_b32_e32 v3, 31, v3
	v_cmpx_gt_u32_e32 8, v3
	s_cbranch_execz .LBB138_32
; %bb.29:                               ;   in Loop: Header=BB138_5 Depth=1
	v_add_co_u32 v3, vcc_lo, v76, v3
	v_add_co_ci_u32_e64 v4, null, 0, v77, vcc_lo
	v_mov_b32_e32 v39, 0
	v_add_co_u32 v3, vcc_lo, 0xffffff01, v3
	v_add_co_ci_u32_e64 v4, null, -1, v4, vcc_lo
	v_mov_b32_e32 v40, 0
	s_mov_b32 s28, exec_lo
	v_cmpx_gt_i64_e64 s[8:9], v[3:4]
	s_cbranch_execz .LBB138_31
; %bb.30:                               ;   in Loop: Header=BB138_5 Depth=1
	v_lshlrev_b64 v[3:4], 3, v[3:4]
	v_add_co_u32 v3, vcc_lo, s2, v3
	v_add_co_ci_u32_e64 v4, null, s3, v4, vcc_lo
	global_load_dwordx2 v[39:40], v[3:4], off
.LBB138_31:                             ;   in Loop: Header=BB138_5 Depth=1
	s_or_b32 exec_lo, exec_lo, s28
.LBB138_32:                             ;   in Loop: Header=BB138_5 Depth=1
	s_or_b32 exec_lo, exec_lo, s1
	v_mov_b32_e32 v17, v2
	v_mov_b32_e32 v3, v2
	;; [unrolled: 1-line block ×47, first 2 shown]
	s_and_saveexec_b32 s1, s0
	s_cbranch_execnz .LBB138_40
; %bb.33:                               ;   in Loop: Header=BB138_5 Depth=1
	s_or_b32 exec_lo, exec_lo, s1
	s_and_saveexec_b32 s1, s0
	s_cbranch_execnz .LBB138_41
.LBB138_34:                             ;   in Loop: Header=BB138_5 Depth=1
	s_or_b32 exec_lo, exec_lo, s1
	s_and_saveexec_b32 s1, s0
	s_cbranch_execnz .LBB138_42
.LBB138_35:                             ;   in Loop: Header=BB138_5 Depth=1
	s_or_b32 exec_lo, exec_lo, s1
	s_and_saveexec_b32 s1, s0
	s_cbranch_execnz .LBB138_43
.LBB138_36:                             ;   in Loop: Header=BB138_5 Depth=1
	s_or_b32 exec_lo, exec_lo, s1
	s_and_saveexec_b32 s1, s0
	s_cbranch_execnz .LBB138_44
.LBB138_37:                             ;   in Loop: Header=BB138_5 Depth=1
	s_or_b32 exec_lo, exec_lo, s1
	s_and_saveexec_b32 s1, s0
	s_cbranch_execnz .LBB138_45
.LBB138_38:                             ;   in Loop: Header=BB138_5 Depth=1
	s_or_b32 exec_lo, exec_lo, s1
	s_and_saveexec_b32 s1, s0
	s_cbranch_execnz .LBB138_46
.LBB138_39:                             ;   in Loop: Header=BB138_5 Depth=1
	s_or_b32 exec_lo, exec_lo, s1
	s_and_saveexec_b32 s1, s0
	s_cbranch_execz .LBB138_3
	s_branch .LBB138_47
.LBB138_40:                             ;   in Loop: Header=BB138_5 Depth=1
	v_add_co_u32 v3, vcc_lo, v44, v35
	v_add_co_ci_u32_e64 v4, null, v45, v36, vcc_lo
	v_add_co_u32 v5, vcc_lo, v46, v35
	v_add_co_ci_u32_e64 v6, null, v47, v36, vcc_lo
	global_load_dwordx2 v[3:4], v[3:4], off
	global_load_dwordx2 v[19:20], v[5:6], off
	v_mov_b32_e32 v5, v2
	v_mov_b32_e32 v6, v2
	;; [unrolled: 1-line block ×28, first 2 shown]
	s_or_b32 exec_lo, exec_lo, s1
	s_and_saveexec_b32 s1, s0
	s_cbranch_execz .LBB138_34
.LBB138_41:                             ;   in Loop: Header=BB138_5 Depth=1
	v_add_co_u32 v5, vcc_lo, v72, v35
	v_add_co_ci_u32_e64 v6, null, v73, v36, vcc_lo
	v_add_co_u32 v21, vcc_lo, v74, v35
	v_add_co_ci_u32_e64 v22, null, v75, v36, vcc_lo
	global_load_dwordx2 v[5:6], v[5:6], off
	global_load_dwordx2 v[21:22], v[21:22], off
	s_or_b32 exec_lo, exec_lo, s1
	s_and_saveexec_b32 s1, s0
	s_cbranch_execz .LBB138_35
.LBB138_42:                             ;   in Loop: Header=BB138_5 Depth=1
	v_add_co_u32 v7, vcc_lo, v68, v35
	v_add_co_ci_u32_e64 v8, null, v69, v36, vcc_lo
	v_add_co_u32 v23, vcc_lo, v70, v35
	v_add_co_ci_u32_e64 v24, null, v71, v36, vcc_lo
	global_load_dwordx2 v[7:8], v[7:8], off
	global_load_dwordx2 v[23:24], v[23:24], off
	s_or_b32 exec_lo, exec_lo, s1
	s_and_saveexec_b32 s1, s0
	s_cbranch_execz .LBB138_36
.LBB138_43:                             ;   in Loop: Header=BB138_5 Depth=1
	v_add_co_u32 v9, vcc_lo, v64, v35
	v_add_co_ci_u32_e64 v10, null, v65, v36, vcc_lo
	v_add_co_u32 v25, vcc_lo, v66, v35
	v_add_co_ci_u32_e64 v26, null, v67, v36, vcc_lo
	global_load_dwordx2 v[9:10], v[9:10], off
	global_load_dwordx2 v[25:26], v[25:26], off
	s_or_b32 exec_lo, exec_lo, s1
	s_and_saveexec_b32 s1, s0
	s_cbranch_execz .LBB138_37
.LBB138_44:                             ;   in Loop: Header=BB138_5 Depth=1
	v_add_co_u32 v11, vcc_lo, v60, v35
	v_add_co_ci_u32_e64 v12, null, v61, v36, vcc_lo
	v_add_co_u32 v27, vcc_lo, v62, v35
	v_add_co_ci_u32_e64 v28, null, v63, v36, vcc_lo
	global_load_dwordx2 v[11:12], v[11:12], off
	global_load_dwordx2 v[27:28], v[27:28], off
	s_or_b32 exec_lo, exec_lo, s1
	s_and_saveexec_b32 s1, s0
	s_cbranch_execz .LBB138_38
.LBB138_45:                             ;   in Loop: Header=BB138_5 Depth=1
	v_add_co_u32 v13, vcc_lo, v56, v35
	v_add_co_ci_u32_e64 v14, null, v57, v36, vcc_lo
	v_add_co_u32 v29, vcc_lo, v58, v35
	v_add_co_ci_u32_e64 v30, null, v59, v36, vcc_lo
	global_load_dwordx2 v[13:14], v[13:14], off
	global_load_dwordx2 v[29:30], v[29:30], off
	s_or_b32 exec_lo, exec_lo, s1
	s_and_saveexec_b32 s1, s0
	s_cbranch_execz .LBB138_39
.LBB138_46:                             ;   in Loop: Header=BB138_5 Depth=1
	v_add_co_u32 v15, vcc_lo, v52, v35
	v_add_co_ci_u32_e64 v16, null, v53, v36, vcc_lo
	v_add_co_u32 v31, vcc_lo, v54, v35
	v_add_co_ci_u32_e64 v32, null, v55, v36, vcc_lo
	global_load_dwordx2 v[15:16], v[15:16], off
	global_load_dwordx2 v[31:32], v[31:32], off
	s_or_b32 exec_lo, exec_lo, s1
	s_and_saveexec_b32 s1, s0
	s_cbranch_execz .LBB138_3
.LBB138_47:                             ;   in Loop: Header=BB138_5 Depth=1
	v_add_co_u32 v17, vcc_lo, v48, v35
	v_add_co_ci_u32_e64 v18, null, v49, v36, vcc_lo
	v_add_co_u32 v33, vcc_lo, v50, v35
	v_add_co_ci_u32_e64 v34, null, v51, v36, vcc_lo
	global_load_dwordx2 v[17:18], v[17:18], off
	global_load_dwordx2 v[33:34], v[33:34], off
	s_branch .LBB138_3
.LBB138_48:
                                        ; implicit-def: $vgpr37_vgpr38
	s_branch .LBB138_50
.LBB138_49:
	s_cbranch_execnz .LBB138_82
.LBB138_50:
	v_mov_b32_e32 v37, 0
	v_mov_b32_e32 v38, 0
	s_andn2_b32 vcc_lo, exec_lo, s7
	s_cbranch_vccnz .LBB138_82
; %bb.51:
	s_load_dword s7, s[4:5], 0x44
	v_lshlrev_b32_e32 v69, 3, v1
	v_lshlrev_b32_e32 v8, 6, v1
	v_mov_b32_e32 v67, 0
	v_mov_b32_e32 v68, 0
	v_add_co_u32 v4, s0, v69, s16
	v_add_co_ci_u32_e64 v5, null, 0, 0, s0
	s_add_u32 s0, s4, 64
	v_mul_lo_u32 v6, s11, v4
	v_mad_u64_u32 v[2:3], null, s10, v4, 0
	v_mul_lo_u32 v7, s10, v5
	s_addc_u32 s1, s5, 0
	s_waitcnt lgkmcnt(0)
	s_lshl_b32 s7, s7, 8
	v_add3_u32 v3, v3, v7, v6
	s_mul_i32 s19, s11, s7
	s_mul_hi_u32 s20, s10, s7
	s_mul_i32 s18, s10, s7
	s_add_i32 s19, s20, s19
	v_lshlrev_b64 v[6:7], 3, v[2:3]
	s_lshl_b64 s[18:19], s[18:19], 3
	s_add_u32 s20, s16, 0xff
	s_addc_u32 s21, 0, 0
	s_lshl_b64 s[22:23], s[16:17], 3
	v_add_co_u32 v8, s22, v8, s22
	v_add_co_ci_u32_e64 v9, null, 0, s23, s22
	v_add_co_u32 v10, vcc_lo, v8, 8
	v_add_co_ci_u32_e64 v11, null, 0, v9, vcc_lo
	v_add_co_u32 v70, vcc_lo, s12, v6
	v_add_co_ci_u32_e64 v71, null, s13, v7, vcc_lo
	;; [unrolled: 2-line block ×6, first 2 shown]
	v_add_co_u32 v19, vcc_lo, v8, 40
	v_mad_u64_u32 v[39:40], null, s10, v6, s[12:13]
	v_mul_lo_u32 v7, s10, v7
	v_mul_lo_u32 v15, s11, v6
	v_mad_u64_u32 v[53:54], null, s10, v6, s[14:15]
	v_add_co_ci_u32_e64 v20, null, 0, v9, vcc_lo
	v_add_co_u32 v22, vcc_lo, v8, 48
	v_add_co_ci_u32_e64 v24, null, 0, v9, vcc_lo
	v_add_co_u32 v8, vcc_lo, v8, 56
	v_mad_u64_u32 v[35:36], null, s10, v10, s[12:13]
	v_mul_lo_u32 v11, s10, v11
	v_mul_lo_u32 v12, s11, v10
	v_mad_u64_u32 v[51:52], null, s10, v10, s[14:15]
	v_add_co_ci_u32_e64 v9, null, 0, v9, vcc_lo
	v_add_co_u32 v6, vcc_lo, v4, 7
	v_add3_u32 v40, v15, v40, v7
	v_add3_u32 v54, v15, v54, v7
	v_add_co_ci_u32_e64 v7, null, 0, v5, vcc_lo
	v_mul_lo_u32 v26, s10, v9
	v_add_co_u32 v9, vcc_lo, v4, 6
	v_add3_u32 v36, v12, v36, v11
	v_add3_u32 v52, v12, v52, v11
	v_add_co_ci_u32_e64 v12, null, 0, v5, vcc_lo
	v_mul_lo_u32 v10, s11, v6
	v_mul_lo_u32 v11, s10, v7
	v_mad_u64_u32 v[6:7], null, s10, v6, 0
	v_mad_u64_u32 v[41:42], null, s10, v13, s[12:13]
	v_mul_lo_u32 v17, s11, v13
	v_mad_u64_u32 v[49:50], null, s10, v8, s[12:13]
	v_mul_lo_u32 v27, s11, v8
	v_mad_u64_u32 v[55:56], null, s10, v13, s[14:15]
	v_mad_u64_u32 v[63:64], null, s10, v8, s[14:15]
	v_mul_lo_u32 v13, s11, v9
	v_mul_lo_u32 v12, s10, v12
	v_mad_u64_u32 v[8:9], null, s10, v9, 0
	v_add3_u32 v7, v7, v11, v10
	v_add_co_u32 v10, vcc_lo, v4, 5
	v_add_co_ci_u32_e64 v11, null, 0, v5, vcc_lo
	v_lshlrev_b64 v[6:7], 3, v[6:7]
	v_add3_u32 v9, v9, v12, v13
	v_mul_lo_u32 v12, s11, v10
	v_mul_lo_u32 v13, s10, v11
	v_mad_u64_u32 v[10:11], null, s10, v10, 0
	v_lshlrev_b64 v[8:9], 3, v[8:9]
	v_add_co_u32 v74, vcc_lo, s12, v6
	v_add_co_ci_u32_e64 v75, null, s13, v7, vcc_lo
	v_add_co_u32 v76, vcc_lo, s14, v6
	v_add_co_ci_u32_e64 v77, null, s15, v7, vcc_lo
	;; [unrolled: 2-line block ×3, first 2 shown]
	v_add3_u32 v11, v11, v13, v12
	v_add_co_u32 v12, vcc_lo, v4, 4
	v_add_co_ci_u32_e64 v13, null, 0, v5, vcc_lo
	v_add_co_u32 v80, vcc_lo, s14, v8
	v_mul_lo_u32 v14, s10, v14
	v_add_co_ci_u32_e64 v81, null, s15, v9, vcc_lo
	v_lshlrev_b64 v[6:7], 3, v[10:11]
	v_mul_lo_u32 v10, s11, v12
	v_mul_lo_u32 v11, s10, v13
	v_mad_u64_u32 v[8:9], null, s10, v12, 0
	v_add_co_u32 v12, vcc_lo, v4, 3
	v_add_co_ci_u32_e64 v13, null, 0, v5, vcc_lo
	v_add_co_u32 v82, vcc_lo, s12, v6
	v_add3_u32 v42, v17, v42, v14
	v_add3_u32 v56, v17, v56, v14
	v_add_co_ci_u32_e64 v83, null, s13, v7, vcc_lo
	v_add3_u32 v9, v9, v11, v10
	v_mul_lo_u32 v14, s11, v12
	v_mad_u64_u32 v[10:11], null, s10, v12, 0
	v_add_co_u32 v12, vcc_lo, v4, 2
	v_mul_lo_u32 v13, s10, v13
	v_add_co_ci_u32_e64 v15, null, 0, v5, vcc_lo
	v_add_co_u32 v84, vcc_lo, s14, v6
	v_lshlrev_b64 v[4:5], 3, v[8:9]
	v_add_co_ci_u32_e64 v85, null, s15, v7, vcc_lo
	v_mul_lo_u32 v8, s11, v12
	v_mul_lo_u32 v9, s10, v15
	v_mad_u64_u32 v[6:7], null, s10, v12, 0
	v_add3_u32 v11, v11, v13, v14
	v_add_co_u32 v86, vcc_lo, s12, v4
	v_add_co_ci_u32_e64 v87, null, s13, v5, vcc_lo
	v_add_co_u32 v88, vcc_lo, s14, v4
	v_add_co_ci_u32_e64 v89, null, s15, v5, vcc_lo
	v_lshlrev_b64 v[4:5], 3, v[10:11]
	v_add3_u32 v7, v7, v9, v8
	v_add_co_u32 v2, vcc_lo, v2, s10
	v_add_co_ci_u32_e64 v3, null, s11, v3, vcc_lo
	v_lshlrev_b64 v[6:7], 3, v[6:7]
	v_add_co_u32 v90, vcc_lo, s12, v4
	v_add_co_ci_u32_e64 v91, null, s13, v5, vcc_lo
	v_add_co_u32 v92, vcc_lo, s14, v4
	v_lshlrev_b64 v[3:4], 3, v[2:3]
	v_mov_b32_e32 v2, 0
	v_mad_u64_u32 v[43:44], null, s10, v16, s[12:13]
	v_mul_lo_u32 v18, s10, v18
	v_mul_lo_u32 v21, s11, v16
	v_mad_u64_u32 v[45:46], null, s10, v19, s[12:13]
	v_mul_lo_u32 v20, s10, v20
	v_mul_lo_u32 v23, s11, v19
	;; [unrolled: 3-line block ×3, first 2 shown]
	v_mad_u64_u32 v[57:58], null, s10, v16, s[14:15]
	v_mad_u64_u32 v[59:60], null, s10, v19, s[14:15]
	;; [unrolled: 1-line block ×3, first 2 shown]
	v_add_co_ci_u32_e64 v93, null, s15, v5, vcc_lo
	v_add_co_u32 v94, vcc_lo, s12, v6
	v_add_co_ci_u32_e64 v95, null, s13, v7, vcc_lo
	v_add_co_u32 v96, vcc_lo, s14, v6
	v_add_nc_u32_e32 v5, s26, v0
	v_mov_b32_e32 v6, v2
	v_add_co_ci_u32_e64 v97, null, s15, v7, vcc_lo
	v_add_co_u32 v98, vcc_lo, s12, v3
	v_add_co_ci_u32_e64 v99, null, s13, v4, vcc_lo
	v_add_co_u32 v100, vcc_lo, s14, v3
	v_lshlrev_b64 v[65:66], 3, v[5:6]
	v_add3_u32 v44, v21, v44, v18
	v_add3_u32 v46, v23, v46, v20
	v_add3_u32 v48, v25, v48, v24
	v_add3_u32 v50, v27, v50, v26
	v_add3_u32 v58, v21, v58, v18
	v_add3_u32 v60, v23, v60, v20
	v_add3_u32 v62, v25, v62, v24
	v_add3_u32 v64, v27, v64, v26
	v_add_co_ci_u32_e64 v101, null, s15, v4, vcc_lo
.LBB138_52:                             ; =>This Inner Loop Header: Depth=1
	v_cmp_ge_i64_e64 s12, s[20:21], s[8:9]
	v_add_co_u32 v102, s13, v69, s20
	v_add_co_ci_u32_e64 v103, null, 0, s21, s13
                                        ; implicit-def: $vgpr37_vgpr38
	s_and_b32 vcc_lo, exec_lo, s12
	s_mov_b32 s12, -1
	s_cbranch_vccz .LBB138_74
; %bb.53:                               ;   in Loop: Header=BB138_52 Depth=1
	s_load_dword s12, s[0:1], 0xc
	v_mov_b32_e32 v37, 0
	v_mov_b32_e32 v38, 0
	s_waitcnt lgkmcnt(0)
	s_and_b32 s12, s12, 0xffff
	v_mad_u32_u24 v3, v1, s12, v0
	s_mov_b32 s12, exec_lo
	v_and_b32_e32 v3, 31, v3
	v_cmpx_gt_u32_e32 8, v3
	s_cbranch_execz .LBB138_57
; %bb.54:                               ;   in Loop: Header=BB138_52 Depth=1
	v_add_co_u32 v3, vcc_lo, v102, v3
	v_add_co_ci_u32_e64 v4, null, 0, v103, vcc_lo
	v_mov_b32_e32 v37, 0
	v_add_co_u32 v3, vcc_lo, 0xffffff01, v3
	v_add_co_ci_u32_e64 v4, null, -1, v4, vcc_lo
	v_mov_b32_e32 v38, 0
	s_mov_b32 s13, exec_lo
	v_cmpx_gt_i64_e64 s[8:9], v[3:4]
	s_cbranch_execz .LBB138_56
; %bb.55:                               ;   in Loop: Header=BB138_52 Depth=1
	v_lshlrev_b64 v[3:4], 3, v[3:4]
	v_add_co_u32 v3, vcc_lo, s2, v3
	v_add_co_ci_u32_e64 v4, null, s3, v4, vcc_lo
	global_load_dwordx2 v[37:38], v[3:4], off
.LBB138_56:                             ;   in Loop: Header=BB138_52 Depth=1
	s_or_b32 exec_lo, exec_lo, s13
.LBB138_57:                             ;   in Loop: Header=BB138_52 Depth=1
	s_or_b32 exec_lo, exec_lo, s12
	v_add_co_u32 v18, vcc_lo, 0xffffff01, v102
	v_add_co_ci_u32_e64 v19, null, -1, v103, vcc_lo
	v_mov_b32_e32 v17, v2
	v_mov_b32_e32 v3, v2
	;; [unrolled: 1-line block ×15, first 2 shown]
	v_cmp_gt_i64_e32 vcc_lo, s[8:9], v[18:19]
	v_mov_b32_e32 v34, v17
	v_mov_b32_e32 v31, v14
	;; [unrolled: 1-line block ×32, first 2 shown]
	s_and_saveexec_b32 s12, vcc_lo
	s_cbranch_execz .LBB138_59
; %bb.58:                               ;   in Loop: Header=BB138_52 Depth=1
	v_add_co_u32 v3, vcc_lo, v70, v65
	v_add_co_ci_u32_e64 v4, null, v71, v66, vcc_lo
	v_add_co_u32 v5, vcc_lo, v72, v65
	v_add_co_ci_u32_e64 v6, null, v73, v66, vcc_lo
	global_load_dwordx2 v[3:4], v[3:4], off
	global_load_dwordx2 v[19:20], v[5:6], off
	v_mov_b32_e32 v5, v2
	v_mov_b32_e32 v6, v2
	;; [unrolled: 1-line block ×28, first 2 shown]
.LBB138_59:                             ;   in Loop: Header=BB138_52 Depth=1
	s_or_b32 exec_lo, exec_lo, s12
	v_add_co_u32 v104, vcc_lo, 0xffffff02, v102
	v_add_co_ci_u32_e64 v105, null, -1, v103, vcc_lo
	s_mov_b32 s12, exec_lo
	v_cmpx_gt_i64_e64 s[8:9], v[104:105]
	s_cbranch_execz .LBB138_61
; %bb.60:                               ;   in Loop: Header=BB138_52 Depth=1
	v_add_co_u32 v5, vcc_lo, v98, v65
	v_add_co_ci_u32_e64 v6, null, v99, v66, vcc_lo
	v_add_co_u32 v21, vcc_lo, v100, v65
	v_add_co_ci_u32_e64 v22, null, v101, v66, vcc_lo
	global_load_dwordx2 v[5:6], v[5:6], off
	global_load_dwordx2 v[21:22], v[21:22], off
.LBB138_61:                             ;   in Loop: Header=BB138_52 Depth=1
	s_or_b32 exec_lo, exec_lo, s12
	v_add_co_u32 v104, vcc_lo, 0xffffff03, v102
	v_add_co_ci_u32_e64 v105, null, -1, v103, vcc_lo
	s_mov_b32 s12, exec_lo
	v_cmpx_gt_i64_e64 s[8:9], v[104:105]
	s_cbranch_execz .LBB138_63
; %bb.62:                               ;   in Loop: Header=BB138_52 Depth=1
	v_add_co_u32 v7, vcc_lo, v94, v65
	v_add_co_ci_u32_e64 v8, null, v95, v66, vcc_lo
	v_add_co_u32 v23, vcc_lo, v96, v65
	v_add_co_ci_u32_e64 v24, null, v97, v66, vcc_lo
	global_load_dwordx2 v[7:8], v[7:8], off
	global_load_dwordx2 v[23:24], v[23:24], off
.LBB138_63:                             ;   in Loop: Header=BB138_52 Depth=1
	;; [unrolled: 14-line block ×7, first 2 shown]
	s_or_b32 exec_lo, exec_lo, s12
	s_waitcnt vmcnt(0)
	v_mul_f64 v[3:4], v[19:20], v[3:4]
	ds_bpermute_b32 v19, v2, v37
	ds_bpermute_b32 v20, v2, v38
	v_mul_f64 v[5:6], v[21:22], v[5:6]
	v_mul_f64 v[7:8], v[23:24], v[7:8]
	;; [unrolled: 1-line block ×3, first 2 shown]
	s_mov_b32 s12, 0
	s_waitcnt lgkmcnt(0)
	v_fma_f64 v[3:4], v[3:4], v[19:20], v[67:68]
	ds_bpermute_b32 v19, v2, v37 offset:4
	ds_bpermute_b32 v20, v2, v38 offset:4
	s_waitcnt lgkmcnt(0)
	v_fma_f64 v[3:4], v[5:6], v[19:20], v[3:4]
	ds_bpermute_b32 v5, v2, v37 offset:8
	ds_bpermute_b32 v6, v2, v38 offset:8
	;; [unrolled: 4-line block ×3, first 2 shown]
	v_mul_f64 v[7:8], v[27:28], v[11:12]
	s_waitcnt lgkmcnt(0)
	v_fma_f64 v[3:4], v[9:10], v[5:6], v[3:4]
	ds_bpermute_b32 v5, v2, v37 offset:16
	ds_bpermute_b32 v6, v2, v38 offset:16
	v_mul_f64 v[9:10], v[29:30], v[13:14]
	s_waitcnt lgkmcnt(0)
	v_fma_f64 v[3:4], v[7:8], v[5:6], v[3:4]
	ds_bpermute_b32 v5, v2, v37 offset:20
	ds_bpermute_b32 v6, v2, v38 offset:20
	;; [unrolled: 5-line block ×3, first 2 shown]
	s_waitcnt lgkmcnt(0)
	v_fma_f64 v[3:4], v[7:8], v[5:6], v[3:4]
	v_mul_f64 v[5:6], v[33:34], v[17:18]
	ds_bpermute_b32 v7, v2, v37 offset:28
	ds_bpermute_b32 v8, v2, v38 offset:28
	s_waitcnt lgkmcnt(0)
	v_fma_f64 v[37:38], v[5:6], v[7:8], v[3:4]
.LBB138_74:                             ;   in Loop: Header=BB138_52 Depth=1
	s_and_b32 vcc_lo, exec_lo, s12
	s_cbranch_vccz .LBB138_80
; %bb.75:                               ;   in Loop: Header=BB138_52 Depth=1
	s_load_dword s12, s[0:1], 0x0
	s_waitcnt lgkmcnt(0)
	s_cmp_lt_u32 s6, s12
	s_cselect_b32 s12, 12, 18
	s_add_u32 s12, s0, s12
	s_addc_u32 s13, s1, 0
	global_load_ushort v3, v2, s[12:13]
	s_mov_b32 s12, exec_lo
	s_waitcnt vmcnt(0)
	v_mad_u32_u24 v3, v1, v3, v0
	v_and_b32_e32 v5, 31, v3
	v_mov_b32_e32 v3, 0
	v_mov_b32_e32 v4, 0
	v_cmpx_gt_u32_e32 8, v5
	s_cbranch_execz .LBB138_79
; %bb.76:                               ;   in Loop: Header=BB138_52 Depth=1
	v_add_co_u32 v3, vcc_lo, v102, v5
	v_add_co_ci_u32_e64 v4, null, 0, v103, vcc_lo
	s_mov_b32 s13, exec_lo
	v_add_co_u32 v5, vcc_lo, 0xffffff01, v3
	v_add_co_ci_u32_e64 v6, null, -1, v4, vcc_lo
	v_mov_b32_e32 v3, 0
	v_mov_b32_e32 v4, 0
	v_cmpx_gt_i64_e64 s[8:9], v[5:6]
	s_cbranch_execz .LBB138_78
; %bb.77:                               ;   in Loop: Header=BB138_52 Depth=1
	v_lshlrev_b64 v[3:4], 3, v[5:6]
	v_add_co_u32 v3, vcc_lo, s2, v3
	v_add_co_ci_u32_e64 v4, null, s3, v4, vcc_lo
	global_load_dwordx2 v[3:4], v[3:4], off
.LBB138_78:                             ;   in Loop: Header=BB138_52 Depth=1
	s_or_b32 exec_lo, exec_lo, s13
.LBB138_79:                             ;   in Loop: Header=BB138_52 Depth=1
	s_or_b32 exec_lo, exec_lo, s12
	v_add_co_u32 v5, vcc_lo, v70, v65
	v_add_co_ci_u32_e64 v6, null, v71, v66, vcc_lo
	v_add_co_u32 v7, vcc_lo, v72, v65
	v_add_co_ci_u32_e64 v8, null, v73, v66, vcc_lo
	global_load_dwordx2 v[5:6], v[5:6], off
	global_load_dwordx2 v[7:8], v[7:8], off
	v_add_co_u32 v9, vcc_lo, v35, v65
	v_add_co_ci_u32_e64 v10, null, v36, v66, vcc_lo
	v_add_co_u32 v11, vcc_lo, v51, v65
	v_add_co_ci_u32_e64 v12, null, v52, v66, vcc_lo
	global_load_dwordx2 v[9:10], v[9:10], off
	global_load_dwordx2 v[11:12], v[11:12], off
	;; [unrolled: 6-line block ×8, first 2 shown]
	s_waitcnt vmcnt(14)
	v_mul_f64 v[5:6], v[5:6], v[7:8]
	ds_bpermute_b32 v7, v2, v3
	ds_bpermute_b32 v8, v2, v4
	s_waitcnt vmcnt(12)
	v_mul_f64 v[9:10], v[9:10], v[11:12]
	s_waitcnt vmcnt(10)
	v_mul_f64 v[11:12], v[13:14], v[15:16]
	s_waitcnt lgkmcnt(0)
	v_fma_f64 v[5:6], v[5:6], v[7:8], v[67:68]
	ds_bpermute_b32 v7, v2, v3 offset:4
	ds_bpermute_b32 v8, v2, v4 offset:4
	s_waitcnt lgkmcnt(0)
	v_fma_f64 v[5:6], v[9:10], v[7:8], v[5:6]
	ds_bpermute_b32 v7, v2, v3 offset:8
	ds_bpermute_b32 v8, v2, v4 offset:8
	s_waitcnt vmcnt(8)
	v_mul_f64 v[9:10], v[17:18], v[19:20]
	s_waitcnt lgkmcnt(0)
	v_fma_f64 v[5:6], v[11:12], v[7:8], v[5:6]
	ds_bpermute_b32 v7, v2, v3 offset:12
	ds_bpermute_b32 v8, v2, v4 offset:12
	s_waitcnt vmcnt(6)
	v_mul_f64 v[11:12], v[21:22], v[23:24]
	;; [unrolled: 6-line block ×4, first 2 shown]
	s_waitcnt lgkmcnt(0)
	v_fma_f64 v[5:6], v[9:10], v[7:8], v[5:6]
	ds_bpermute_b32 v7, v2, v3 offset:24
	ds_bpermute_b32 v8, v2, v4 offset:24
	;; [unrolled: 1-line block ×4, first 2 shown]
	s_waitcnt lgkmcnt(2)
	v_fma_f64 v[5:6], v[11:12], v[7:8], v[5:6]
	s_waitcnt vmcnt(0)
	v_mul_f64 v[7:8], v[33:34], v[37:38]
	s_waitcnt lgkmcnt(0)
	v_fma_f64 v[37:38], v[7:8], v[3:4], v[5:6]
.LBB138_80:                             ;   in Loop: Header=BB138_52 Depth=1
	v_add_co_u32 v70, vcc_lo, v70, s18
	v_add_co_ci_u32_e64 v71, null, s19, v71, vcc_lo
	v_add_co_u32 v72, vcc_lo, v72, s18
	v_add_co_ci_u32_e64 v73, null, s19, v73, vcc_lo
	v_add_co_u32 v35, vcc_lo, v35, s18
	v_add_co_ci_u32_e64 v36, null, s19, v36, vcc_lo
	v_add_co_u32 v39, vcc_lo, v39, s18
	v_add_co_ci_u32_e64 v40, null, s19, v40, vcc_lo
	v_add_co_u32 v41, vcc_lo, v41, s18
	v_add_co_ci_u32_e64 v42, null, s19, v42, vcc_lo
	v_add_co_u32 v43, vcc_lo, v43, s18
	v_add_co_ci_u32_e64 v44, null, s19, v44, vcc_lo
	v_add_co_u32 v45, vcc_lo, v45, s18
	v_add_co_ci_u32_e64 v46, null, s19, v46, vcc_lo
	v_add_co_u32 v47, vcc_lo, v47, s18
	v_add_co_ci_u32_e64 v48, null, s19, v48, vcc_lo
	v_add_co_u32 v49, vcc_lo, v49, s18
	v_add_co_ci_u32_e64 v50, null, s19, v50, vcc_lo
	v_add_co_u32 v51, vcc_lo, v51, s18
	v_add_co_ci_u32_e64 v52, null, s19, v52, vcc_lo
	v_add_co_u32 v53, vcc_lo, v53, s18
	v_add_co_ci_u32_e64 v54, null, s19, v54, vcc_lo
	v_add_co_u32 v55, vcc_lo, v55, s18
	v_add_co_ci_u32_e64 v56, null, s19, v56, vcc_lo
	v_add_co_u32 v57, vcc_lo, v57, s18
	v_add_co_ci_u32_e64 v58, null, s19, v58, vcc_lo
	v_add_co_u32 v59, vcc_lo, v59, s18
	v_add_co_ci_u32_e64 v60, null, s19, v60, vcc_lo
	v_add_co_u32 v61, vcc_lo, v61, s18
	v_add_co_ci_u32_e64 v62, null, s19, v62, vcc_lo
	v_add_co_u32 v63, vcc_lo, v63, s18
	v_add_co_ci_u32_e64 v64, null, s19, v64, vcc_lo
	v_add_co_u32 v74, vcc_lo, v74, s18
	v_add_co_ci_u32_e64 v75, null, s19, v75, vcc_lo
	v_add_co_u32 v76, vcc_lo, v76, s18
	v_add_co_ci_u32_e64 v77, null, s19, v77, vcc_lo
	v_add_co_u32 v78, vcc_lo, v78, s18
	v_add_co_ci_u32_e64 v79, null, s19, v79, vcc_lo
	v_add_co_u32 v80, vcc_lo, v80, s18
	v_add_co_ci_u32_e64 v81, null, s19, v81, vcc_lo
	v_add_co_u32 v82, vcc_lo, v82, s18
	v_add_co_ci_u32_e64 v83, null, s19, v83, vcc_lo
	v_add_co_u32 v84, vcc_lo, v84, s18
	v_add_co_ci_u32_e64 v85, null, s19, v85, vcc_lo
	v_add_co_u32 v86, vcc_lo, v86, s18
	v_add_co_ci_u32_e64 v87, null, s19, v87, vcc_lo
	v_add_co_u32 v88, vcc_lo, v88, s18
	v_add_co_ci_u32_e64 v89, null, s19, v89, vcc_lo
	v_add_co_u32 v90, vcc_lo, v90, s18
	v_add_co_ci_u32_e64 v91, null, s19, v91, vcc_lo
	v_add_co_u32 v92, vcc_lo, v92, s18
	v_add_co_ci_u32_e64 v93, null, s19, v93, vcc_lo
	v_add_co_u32 v94, vcc_lo, v94, s18
	s_add_u32 s16, s16, s7
	v_add_co_ci_u32_e64 v95, null, s19, v95, vcc_lo
	v_add_co_u32 v96, vcc_lo, v96, s18
	s_addc_u32 s17, s17, 0
	v_add_co_ci_u32_e64 v97, null, s19, v97, vcc_lo
	v_add_co_u32 v98, vcc_lo, v98, s18
	v_cmp_ge_i64_e64 s12, s[16:17], s[8:9]
	v_add_co_ci_u32_e64 v99, null, s19, v99, vcc_lo
	v_add_co_u32 v100, vcc_lo, v100, s18
	v_add_co_ci_u32_e64 v101, null, s19, v101, vcc_lo
	s_add_u32 s20, s20, s7
	s_addc_u32 s21, s21, 0
	s_and_b32 vcc_lo, exec_lo, s12
	s_cbranch_vccnz .LBB138_82
; %bb.81:                               ;   in Loop: Header=BB138_52 Depth=1
	v_mov_b32_e32 v68, v38
	v_mov_b32_e32 v67, v37
	s_branch .LBB138_52
.LBB138_82:
	v_mad_u32_u24 v3, v1, 33, v0
	v_lshrrev_b32_e32 v4, 5, v0
	v_mov_b32_e32 v2, 0
	s_mov_b32 s7, 0
	s_mov_b32 s0, exec_lo
	v_lshl_add_u32 v6, v3, 3, 0
	v_add_nc_u32_e32 v5, v4, v1
	v_mov_b32_e32 v3, v2
	ds_write_b64 v6, v[37:38]
	ds_write_b64 v6, v[2:3] offset:8448
	s_waitcnt lgkmcnt(0)
	s_barrier
	buffer_gl0_inv
	v_cmpx_gt_u32_e32 32, v5
	s_cbranch_execz .LBB138_85
; %bb.83:
	v_and_b32_e32 v1, 31, v0
	v_lshlrev_b32_e32 v2, 3, v5
	v_mbcnt_lo_u32_b32 v6, -1, 0
	s_load_dwordx2 s[2:3], s[4:5], 0x30
	s_lshl_b64 s[0:1], s[6:7], 5
	v_mul_u32_u24_e32 v1, 0x108, v1
	v_or_b32_e32 v5, s0, v5
	v_xor_b32_e32 v3, 16, v6
	v_cmp_eq_u32_e64 s0, 0, v0
	v_add3_u32 v1, 0, v2, v1
	v_cmp_gt_i32_e32 vcc_lo, 32, v3
	ds_read_b64 v[1:2], v1
	v_cndmask_b32_e32 v3, v6, v3, vcc_lo
	v_lshlrev_b32_e32 v4, 2, v3
	s_waitcnt lgkmcnt(0)
	s_cmp_lg_u64 s[2:3], 0
	ds_bpermute_b32 v3, v4, v1
	ds_bpermute_b32 v4, v4, v2
	s_waitcnt lgkmcnt(0)
	v_add_f64 v[1:2], v[1:2], v[3:4]
	v_xor_b32_e32 v3, 8, v6
	v_cmp_gt_i32_e32 vcc_lo, 32, v3
	v_cndmask_b32_e32 v3, v6, v3, vcc_lo
	v_lshlrev_b32_e32 v4, 2, v3
	ds_bpermute_b32 v3, v4, v1
	ds_bpermute_b32 v4, v4, v2
	s_waitcnt lgkmcnt(0)
	v_add_f64 v[1:2], v[1:2], v[3:4]
	v_xor_b32_e32 v3, 4, v6
	v_cmp_gt_i32_e32 vcc_lo, 32, v3
	v_cndmask_b32_e32 v3, v6, v3, vcc_lo
	v_lshlrev_b32_e32 v4, 2, v3
	ds_bpermute_b32 v3, v4, v1
	ds_bpermute_b32 v4, v4, v2
	s_waitcnt lgkmcnt(0)
	v_add_f64 v[1:2], v[1:2], v[3:4]
	v_xor_b32_e32 v3, 2, v6
	v_cmp_gt_i32_e32 vcc_lo, 32, v3
	v_cndmask_b32_e32 v3, v6, v3, vcc_lo
	v_lshlrev_b32_e32 v4, 2, v3
	ds_bpermute_b32 v3, v4, v1
	ds_bpermute_b32 v4, v4, v2
	s_waitcnt lgkmcnt(0)
	v_add_f64 v[1:2], v[1:2], v[3:4]
	v_xor_b32_e32 v3, 1, v6
	v_cmp_gt_i32_e32 vcc_lo, 32, v3
	v_cndmask_b32_e32 v3, v6, v3, vcc_lo
	v_mov_b32_e32 v6, s1
	s_cselect_b32 s1, -1, 0
	v_lshlrev_b32_e32 v4, 2, v3
	v_cmp_gt_i64_e32 vcc_lo, s[10:11], v[5:6]
	ds_bpermute_b32 v3, v4, v1
	ds_bpermute_b32 v4, v4, v2
	s_and_b32 s0, s0, vcc_lo
	s_and_b32 s0, s1, s0
	s_and_b32 exec_lo, exec_lo, s0
	s_cbranch_execz .LBB138_85
; %bb.84:
	s_waitcnt lgkmcnt(0)
	v_add_f64 v[0:1], v[1:2], v[3:4]
	v_lshlrev_b64 v[2:3], 3, v[5:6]
	v_add_co_u32 v2, vcc_lo, s2, v2
	v_add_co_ci_u32_e64 v3, null, s3, v3, vcc_lo
	global_store_dwordx2 v[2:3], v[0:1], off
.LBB138_85:
	s_endpgm
	.section	.rodata,"a",@progbits
	.p2align	6, 0x0
	.amdhsa_kernel _ZN2at6native12_GLOBAL__N_135GammaBetaBackwardCUDAKernelTemplateIddLj32ELj32ELj256ELb0ELb0ELb1EEEvllPKT_S5_PKT0_S8_PS3_S9_
		.amdhsa_group_segment_fixed_size 0
		.amdhsa_private_segment_fixed_size 0
		.amdhsa_kernarg_size 320
		.amdhsa_user_sgpr_count 6
		.amdhsa_user_sgpr_private_segment_buffer 1
		.amdhsa_user_sgpr_dispatch_ptr 0
		.amdhsa_user_sgpr_queue_ptr 0
		.amdhsa_user_sgpr_kernarg_segment_ptr 1
		.amdhsa_user_sgpr_dispatch_id 0
		.amdhsa_user_sgpr_flat_scratch_init 0
		.amdhsa_user_sgpr_private_segment_size 0
		.amdhsa_wavefront_size32 1
		.amdhsa_uses_dynamic_stack 0
		.amdhsa_system_sgpr_private_segment_wavefront_offset 0
		.amdhsa_system_sgpr_workgroup_id_x 1
		.amdhsa_system_sgpr_workgroup_id_y 1
		.amdhsa_system_sgpr_workgroup_id_z 0
		.amdhsa_system_sgpr_workgroup_info 0
		.amdhsa_system_vgpr_workitem_id 1
		.amdhsa_next_free_vgpr 106
		.amdhsa_next_free_sgpr 30
		.amdhsa_reserve_vcc 1
		.amdhsa_reserve_flat_scratch 0
		.amdhsa_float_round_mode_32 0
		.amdhsa_float_round_mode_16_64 0
		.amdhsa_float_denorm_mode_32 3
		.amdhsa_float_denorm_mode_16_64 3
		.amdhsa_dx10_clamp 1
		.amdhsa_ieee_mode 1
		.amdhsa_fp16_overflow 0
		.amdhsa_workgroup_processor_mode 1
		.amdhsa_memory_ordered 1
		.amdhsa_forward_progress 1
		.amdhsa_shared_vgpr_count 0
		.amdhsa_exception_fp_ieee_invalid_op 0
		.amdhsa_exception_fp_denorm_src 0
		.amdhsa_exception_fp_ieee_div_zero 0
		.amdhsa_exception_fp_ieee_overflow 0
		.amdhsa_exception_fp_ieee_underflow 0
		.amdhsa_exception_fp_ieee_inexact 0
		.amdhsa_exception_int_div_zero 0
	.end_amdhsa_kernel
	.section	.text._ZN2at6native12_GLOBAL__N_135GammaBetaBackwardCUDAKernelTemplateIddLj32ELj32ELj256ELb0ELb0ELb1EEEvllPKT_S5_PKT0_S8_PS3_S9_,"axG",@progbits,_ZN2at6native12_GLOBAL__N_135GammaBetaBackwardCUDAKernelTemplateIddLj32ELj32ELj256ELb0ELb0ELb1EEEvllPKT_S5_PKT0_S8_PS3_S9_,comdat
.Lfunc_end138:
	.size	_ZN2at6native12_GLOBAL__N_135GammaBetaBackwardCUDAKernelTemplateIddLj32ELj32ELj256ELb0ELb0ELb1EEEvllPKT_S5_PKT0_S8_PS3_S9_, .Lfunc_end138-_ZN2at6native12_GLOBAL__N_135GammaBetaBackwardCUDAKernelTemplateIddLj32ELj32ELj256ELb0ELb0ELb1EEEvllPKT_S5_PKT0_S8_PS3_S9_
                                        ; -- End function
	.set _ZN2at6native12_GLOBAL__N_135GammaBetaBackwardCUDAKernelTemplateIddLj32ELj32ELj256ELb0ELb0ELb1EEEvllPKT_S5_PKT0_S8_PS3_S9_.num_vgpr, 106
	.set _ZN2at6native12_GLOBAL__N_135GammaBetaBackwardCUDAKernelTemplateIddLj32ELj32ELj256ELb0ELb0ELb1EEEvllPKT_S5_PKT0_S8_PS3_S9_.num_agpr, 0
	.set _ZN2at6native12_GLOBAL__N_135GammaBetaBackwardCUDAKernelTemplateIddLj32ELj32ELj256ELb0ELb0ELb1EEEvllPKT_S5_PKT0_S8_PS3_S9_.numbered_sgpr, 30
	.set _ZN2at6native12_GLOBAL__N_135GammaBetaBackwardCUDAKernelTemplateIddLj32ELj32ELj256ELb0ELb0ELb1EEEvllPKT_S5_PKT0_S8_PS3_S9_.num_named_barrier, 0
	.set _ZN2at6native12_GLOBAL__N_135GammaBetaBackwardCUDAKernelTemplateIddLj32ELj32ELj256ELb0ELb0ELb1EEEvllPKT_S5_PKT0_S8_PS3_S9_.private_seg_size, 0
	.set _ZN2at6native12_GLOBAL__N_135GammaBetaBackwardCUDAKernelTemplateIddLj32ELj32ELj256ELb0ELb0ELb1EEEvllPKT_S5_PKT0_S8_PS3_S9_.uses_vcc, 1
	.set _ZN2at6native12_GLOBAL__N_135GammaBetaBackwardCUDAKernelTemplateIddLj32ELj32ELj256ELb0ELb0ELb1EEEvllPKT_S5_PKT0_S8_PS3_S9_.uses_flat_scratch, 0
	.set _ZN2at6native12_GLOBAL__N_135GammaBetaBackwardCUDAKernelTemplateIddLj32ELj32ELj256ELb0ELb0ELb1EEEvllPKT_S5_PKT0_S8_PS3_S9_.has_dyn_sized_stack, 0
	.set _ZN2at6native12_GLOBAL__N_135GammaBetaBackwardCUDAKernelTemplateIddLj32ELj32ELj256ELb0ELb0ELb1EEEvllPKT_S5_PKT0_S8_PS3_S9_.has_recursion, 0
	.set _ZN2at6native12_GLOBAL__N_135GammaBetaBackwardCUDAKernelTemplateIddLj32ELj32ELj256ELb0ELb0ELb1EEEvllPKT_S5_PKT0_S8_PS3_S9_.has_indirect_call, 0
	.section	.AMDGPU.csdata,"",@progbits
; Kernel info:
; codeLenInByte = 8556
; TotalNumSgprs: 32
; NumVgprs: 106
; ScratchSize: 0
; MemoryBound: 1
; FloatMode: 240
; IeeeMode: 1
; LDSByteSize: 0 bytes/workgroup (compile time only)
; SGPRBlocks: 0
; VGPRBlocks: 13
; NumSGPRsForWavesPerEU: 32
; NumVGPRsForWavesPerEU: 106
; Occupancy: 9
; WaveLimiterHint : 0
; COMPUTE_PGM_RSRC2:SCRATCH_EN: 0
; COMPUTE_PGM_RSRC2:USER_SGPR: 6
; COMPUTE_PGM_RSRC2:TRAP_HANDLER: 0
; COMPUTE_PGM_RSRC2:TGID_X_EN: 1
; COMPUTE_PGM_RSRC2:TGID_Y_EN: 1
; COMPUTE_PGM_RSRC2:TGID_Z_EN: 0
; COMPUTE_PGM_RSRC2:TIDIG_COMP_CNT: 1
	.section	.text._ZN2at6native12_GLOBAL__N_118cuComputeGradInputIffLb1EEEvPKT_S5_llPKT0_S8_S5_PS3_,"axG",@progbits,_ZN2at6native12_GLOBAL__N_118cuComputeGradInputIffLb1EEEvPKT_S5_llPKT0_S8_S5_PS3_,comdat
	.globl	_ZN2at6native12_GLOBAL__N_118cuComputeGradInputIffLb1EEEvPKT_S5_llPKT0_S8_S5_PS3_ ; -- Begin function _ZN2at6native12_GLOBAL__N_118cuComputeGradInputIffLb1EEEvPKT_S5_llPKT0_S8_S5_PS3_
	.p2align	8
	.type	_ZN2at6native12_GLOBAL__N_118cuComputeGradInputIffLb1EEEvPKT_S5_llPKT0_S8_S5_PS3_,@function
_ZN2at6native12_GLOBAL__N_118cuComputeGradInputIffLb1EEEvPKT_S5_llPKT0_S8_S5_PS3_: ; @_ZN2at6native12_GLOBAL__N_118cuComputeGradInputIffLb1EEEvPKT_S5_llPKT0_S8_S5_PS3_
; %bb.0:
	s_load_dwordx4 s[8:11], s[4:5], 0x10
	s_mov_b32 s6, s7
	s_ashr_i32 s7, s7, 31
	s_waitcnt lgkmcnt(0)
	v_cmp_le_i64_e64 s0, s[8:9], s[6:7]
	s_and_b32 vcc_lo, exec_lo, s0
	s_cbranch_vccnz .LBB139_47
; %bb.1:
	s_clause 0x2
	s_load_dword s0, s[4:5], 0x4c
	s_load_dwordx4 s[12:15], s[4:5], 0x30
	s_load_dword s24, s[4:5], 0x44
	s_flbit_i32 s1, s11
	s_clause 0x1
	s_load_dwordx4 s[16:19], s[4:5], 0x0
	s_load_dwordx2 s[20:21], s[4:5], 0x28
	v_mov_b32_e32 v3, 0
	v_cmp_gt_i64_e64 s30, s[10:11], 0
	v_lshlrev_b32_e32 v7, 3, v0
	v_mbcnt_lo_u32_b32 v12, -1, 0
	v_cndmask_b32_e64 v11, 0, 1, s30
	v_add_nc_u32_e32 v15, 0, v7
	s_waitcnt lgkmcnt(0)
	s_lshr_b32 s25, s0, 16
	s_and_b32 s26, s0, 0xffff
	s_cmp_lg_u64 s[12:13], 0
	s_mul_i32 s31, s25, s26
	s_cselect_b32 s27, -1, 0
	s_cmp_gt_u32 s26, 1
	s_cselect_b32 s28, -1, 0
	s_cmp_gt_u32 s25, 1
	s_cselect_b32 s29, -1, 0
	s_xor_b32 s0, s10, s11
	s_add_i32 s1, s1, -1
	s_ashr_i32 s0, s0, 31
	s_ashr_i32 s33, s31, 31
	s_add_i32 s0, s0, 32
	s_min_u32 s2, s1, s0
	s_lshl_b64 s[0:1], s[10:11], s2
	s_min_u32 s0, s0, 1
	s_or_b32 s0, s1, s0
	v_cmp_ne_u32_e64 s1, 0, v1
	v_cvt_f32_i32_e32 v2, s0
	s_sub_i32 s0, 32, s2
	v_ldexp_f32 v10, v2, s0
	v_cmp_eq_u32_e64 s0, 0, v1
	v_div_scale_f32 v4, null, v10, v10, 1.0
	v_div_scale_f32 v6, vcc_lo, 1.0, v10, 1.0
	v_rcp_f32_e32 v5, v4
	v_fma_f32 v2, -v4, v5, 1.0
	v_fmac_f32_e32 v5, v2, v5
	v_mad_u32_u24 v2, v1, s26, v0
	v_mul_f32_e32 v8, v6, v5
	v_lshlrev_b32_e32 v13, 3, v2
	v_cmp_gt_i64_e64 s2, s[10:11], v[2:3]
	v_fma_f32 v9, -v4, v8, v6
	v_add_nc_u32_e32 v13, 0, v13
	v_fmac_f32_e32 v8, v9, v5
	v_add_nc_u32_e32 v9, s31, v2
	v_fma_f32 v4, -v4, v8, v6
	v_ashrrev_i32_e32 v6, 31, v9
	v_div_fmas_f32 v8, v4, v5, v8
	v_sub_co_u32 v4, vcc_lo, v9, s31
	v_subrev_co_ci_u32_e64 v5, null, s33, v6, vcc_lo
	v_div_fixup_f32 v14, v8, v10, 1.0
	s_branch .LBB139_4
.LBB139_2:                              ;   in Loop: Header=BB139_4 Depth=1
	s_inst_prefetch 0x2
	s_or_b32 exec_lo, exec_lo, s22
.LBB139_3:                              ;   in Loop: Header=BB139_4 Depth=1
	s_add_i32 s6, s24, s6
	s_waitcnt_vscnt null, 0x0
	s_ashr_i32 s7, s6, 31
	s_barrier
	v_cmp_le_i64_e64 s3, s[8:9], s[6:7]
	buffer_gl0_inv
	s_and_b32 vcc_lo, exec_lo, s3
	s_cbranch_vccnz .LBB139_47
.LBB139_4:                              ; =>This Loop Header: Depth=1
                                        ;     Child Loop BB139_8 Depth 2
                                        ;     Child Loop BB139_19 Depth 2
	;; [unrolled: 1-line block ×6, first 2 shown]
	s_mul_i32 s3, s6, s11
	s_mul_hi_u32 s4, s6, s10
	s_mul_i32 s22, s7, s10
	s_add_i32 s3, s4, s3
	s_lshl_b64 s[4:5], s[6:7], 2
	s_add_i32 s23, s3, s22
	s_add_u32 s4, s20, s4
	s_addc_u32 s5, s21, s5
	s_mul_i32 s22, s6, s10
	s_load_dword s7, s[4:5], 0x0
	s_lshl_b64 s[22:23], s[22:23], 2
	v_cmp_ne_u32_e64 s3, 1, v11
	s_add_u32 s34, s18, s22
	s_addc_u32 s35, s19, s23
	s_add_u32 s36, s16, s22
	s_addc_u32 s37, s17, s23
	s_andn2_b32 vcc_lo, exec_lo, s27
	s_mov_b32 s4, -1
                                        ; implicit-def: $vgpr16
	s_cbranch_vccnz .LBB139_15
; %bb.5:                                ;   in Loop: Header=BB139_4 Depth=1
	v_mov_b32_e32 v16, 0
	s_and_b32 vcc_lo, exec_lo, s3
	s_cbranch_vccnz .LBB139_14
; %bb.6:                                ;   in Loop: Header=BB139_4 Depth=1
	s_mov_b32 s4, 0
	s_inst_prefetch 0x1
	s_branch .LBB139_8
	.p2align	6
.LBB139_7:                              ;   in Loop: Header=BB139_8 Depth=2
	s_or_b32 exec_lo, exec_lo, s3
	s_waitcnt vmcnt(0)
	v_mul_f32_e32 v6, v8, v17
	s_add_i32 s4, s4, s31
	s_ashr_i32 s5, s4, 31
	v_cmp_le_i64_e64 s3, s[10:11], s[4:5]
	v_mul_f32_e32 v6, v9, v6
	s_waitcnt lgkmcnt(0)
	v_fmac_f32_e32 v16, s7, v6
	s_and_b32 vcc_lo, exec_lo, s3
	s_cbranch_vccnz .LBB139_14
.LBB139_8:                              ;   Parent Loop BB139_4 Depth=1
                                        ; =>  This Inner Loop Header: Depth=2
	v_add_nc_u32_e32 v6, s4, v2
	v_mov_b32_e32 v8, 0
	v_ashrrev_i32_e32 v7, 31, v6
	v_cmp_gt_i64_e32 vcc_lo, s[10:11], v[6:7]
	v_lshlrev_b64 v[6:7], 2, v[6:7]
	s_and_saveexec_b32 s5, vcc_lo
	s_cbranch_execz .LBB139_10
; %bb.9:                                ;   in Loop: Header=BB139_8 Depth=2
	v_add_co_u32 v8, s3, s12, v6
	v_add_co_ci_u32_e64 v9, null, s13, v7, s3
	global_load_dword v8, v[8:9], off
.LBB139_10:                             ;   in Loop: Header=BB139_8 Depth=2
	s_or_b32 exec_lo, exec_lo, s5
	v_mov_b32_e32 v17, 0
	v_mov_b32_e32 v9, 0
	s_and_saveexec_b32 s5, vcc_lo
	s_cbranch_execz .LBB139_12
; %bb.11:                               ;   in Loop: Header=BB139_8 Depth=2
	v_add_co_u32 v18, s3, s34, v6
	v_add_co_ci_u32_e64 v19, null, s35, v7, s3
	global_load_dword v9, v[18:19], off
.LBB139_12:                             ;   in Loop: Header=BB139_8 Depth=2
	s_or_b32 exec_lo, exec_lo, s5
	s_and_saveexec_b32 s3, vcc_lo
	s_cbranch_execz .LBB139_7
; %bb.13:                               ;   in Loop: Header=BB139_8 Depth=2
	v_add_co_u32 v6, vcc_lo, s36, v6
	v_add_co_ci_u32_e64 v7, null, s37, v7, vcc_lo
	global_load_dword v17, v[6:7], off
	s_branch .LBB139_7
.LBB139_14:                             ;   in Loop: Header=BB139_4 Depth=1
	s_inst_prefetch 0x2
	s_mov_b32 s4, 0
.LBB139_15:                             ;   in Loop: Header=BB139_4 Depth=1
	s_andn2_b32 vcc_lo, exec_lo, s4
	s_cbranch_vccnz .LBB139_23
; %bb.16:                               ;   in Loop: Header=BB139_4 Depth=1
	v_mov_b32_e32 v16, 0
	s_andn2_b32 vcc_lo, exec_lo, s30
	s_cbranch_vccnz .LBB139_23
; %bb.17:                               ;   in Loop: Header=BB139_4 Depth=1
	s_mov_b32 s4, 0
	s_inst_prefetch 0x1
	s_branch .LBB139_19
	.p2align	6
.LBB139_18:                             ;   in Loop: Header=BB139_19 Depth=2
	s_or_b32 exec_lo, exec_lo, s3
	s_add_i32 s4, s4, s31
	s_waitcnt vmcnt(0)
	v_mul_f32_e32 v6, v8, v9
	s_ashr_i32 s5, s4, 31
	v_cmp_le_i64_e64 s3, s[10:11], s[4:5]
	s_waitcnt lgkmcnt(0)
	v_fmac_f32_e32 v16, s7, v6
	s_and_b32 vcc_lo, exec_lo, s3
	s_cbranch_vccnz .LBB139_23
.LBB139_19:                             ;   Parent Loop BB139_4 Depth=1
                                        ; =>  This Inner Loop Header: Depth=2
	v_add_nc_u32_e32 v6, s4, v2
	v_mov_b32_e32 v8, 0
	v_ashrrev_i32_e32 v7, 31, v6
	v_cmp_gt_i64_e32 vcc_lo, s[10:11], v[6:7]
	v_lshlrev_b64 v[6:7], 2, v[6:7]
	s_and_saveexec_b32 s5, vcc_lo
	s_cbranch_execz .LBB139_21
; %bb.20:                               ;   in Loop: Header=BB139_19 Depth=2
	v_add_co_u32 v8, s3, s34, v6
	v_add_co_ci_u32_e64 v9, null, s35, v7, s3
	global_load_dword v8, v[8:9], off
.LBB139_21:                             ;   in Loop: Header=BB139_19 Depth=2
	s_or_b32 exec_lo, exec_lo, s5
	v_mov_b32_e32 v9, 0
	s_and_saveexec_b32 s3, vcc_lo
	s_cbranch_execz .LBB139_18
; %bb.22:                               ;   in Loop: Header=BB139_19 Depth=2
	v_add_co_u32 v6, vcc_lo, s36, v6
	v_add_co_ci_u32_e64 v7, null, s37, v7, vcc_lo
	global_load_dword v9, v[6:7], off
	s_branch .LBB139_18
.LBB139_23:                             ;   in Loop: Header=BB139_4 Depth=1
	s_inst_prefetch 0x2
	s_andn2_b32 vcc_lo, exec_lo, s28
	s_cbranch_vccnz .LBB139_26
; %bb.24:                               ;   in Loop: Header=BB139_4 Depth=1
	s_mov_b32 s3, s26
.LBB139_25:                             ;   Parent Loop BB139_4 Depth=1
                                        ; =>  This Inner Loop Header: Depth=2
	s_lshr_b32 s4, s3, 1
	s_cmp_lt_u32 s3, 4
	v_xor_b32_e32 v6, s4, v12
	s_mov_b32 s3, s4
	v_cmp_gt_i32_e32 vcc_lo, 32, v6
	v_cndmask_b32_e32 v6, v12, v6, vcc_lo
	v_lshlrev_b32_e32 v6, 2, v6
	ds_bpermute_b32 v6, v6, v16
	s_waitcnt lgkmcnt(0)
	v_add_f32_e32 v16, v16, v6
	s_cbranch_scc0 .LBB139_25
.LBB139_26:                             ;   in Loop: Header=BB139_4 Depth=1
	s_andn2_b32 vcc_lo, exec_lo, s29
	s_mov_b32 s5, s25
	s_cbranch_vccnz .LBB139_38
	.p2align	6
.LBB139_27:                             ;   Parent Loop BB139_4 Depth=1
                                        ; =>  This Inner Loop Header: Depth=2
	s_lshr_b32 s38, s5, 1
	s_and_b32 s4, s5, 0xfffe
	v_cmp_le_u32_e64 s3, s38, v1
	v_cmp_gt_u32_e64 s4, s4, v1
	v_cmp_gt_u32_e32 vcc_lo, s38, v1
	s_and_b32 s4, s3, s4
	s_and_saveexec_b32 s3, s4
	s_cbranch_execz .LBB139_29
; %bb.28:                               ;   in Loop: Header=BB139_27 Depth=2
	v_subrev_nc_u32_e32 v6, s38, v1
	v_mad_u32_u24 v6, v6, s26, v0
	v_lshl_add_u32 v6, v6, 3, 0
	ds_write_b32 v6, v16 offset:4
.LBB139_29:                             ;   in Loop: Header=BB139_27 Depth=2
	s_or_b32 exec_lo, exec_lo, s3
	s_waitcnt lgkmcnt(0)
	s_barrier
	buffer_gl0_inv
	s_and_saveexec_b32 s3, vcc_lo
	s_cbranch_execz .LBB139_31
; %bb.30:                               ;   in Loop: Header=BB139_27 Depth=2
	ds_read_b32 v6, v13 offset:4
	s_waitcnt lgkmcnt(0)
	v_add_f32_e32 v16, v16, v6
.LBB139_31:                             ;   in Loop: Header=BB139_27 Depth=2
	s_or_b32 exec_lo, exec_lo, s3
	s_cmp_lt_u32 s5, 4
	s_barrier
	buffer_gl0_inv
	s_cbranch_scc1 .LBB139_33
; %bb.32:                               ;   in Loop: Header=BB139_27 Depth=2
	s_mov_b32 s5, s38
	s_branch .LBB139_27
.LBB139_33:                             ;   in Loop: Header=BB139_4 Depth=1
	s_and_saveexec_b32 s3, s0
; %bb.34:                               ;   in Loop: Header=BB139_4 Depth=1
	ds_write_b32 v15, v16 offset:4
; %bb.35:                               ;   in Loop: Header=BB139_4 Depth=1
	s_or_b32 exec_lo, exec_lo, s3
	s_waitcnt lgkmcnt(0)
	s_barrier
	buffer_gl0_inv
	s_and_saveexec_b32 s3, s1
; %bb.36:                               ;   in Loop: Header=BB139_4 Depth=1
	ds_read_b32 v16, v15 offset:4
; %bb.37:                               ;   in Loop: Header=BB139_4 Depth=1
	s_or_b32 exec_lo, exec_lo, s3
.LBB139_38:                             ;   in Loop: Header=BB139_4 Depth=1
	s_waitcnt lgkmcnt(0)
	v_mul_f32_e32 v17, s7, v14
	s_add_u32 s4, s14, s22
	s_addc_u32 s5, s15, s23
	s_andn2_b32 vcc_lo, exec_lo, s27
	s_cbranch_vccnz .LBB139_43
; %bb.39:                               ;   in Loop: Header=BB139_4 Depth=1
	s_and_saveexec_b32 s22, s2
	s_cbranch_execz .LBB139_42
; %bb.40:                               ;   in Loop: Header=BB139_4 Depth=1
	v_mov_b32_e32 v7, v5
	v_mov_b32_e32 v9, v3
	;; [unrolled: 1-line block ×4, first 2 shown]
	s_mov_b32 s23, 0
	s_inst_prefetch 0x1
	.p2align	6
.LBB139_41:                             ;   Parent Loop BB139_4 Depth=1
                                        ; =>  This Inner Loop Header: Depth=2
	v_lshlrev_b64 v[18:19], 2, v[8:9]
	v_add_co_u32 v8, vcc_lo, s34, v18
	v_add_co_ci_u32_e64 v9, null, s35, v19, vcc_lo
	v_add_co_u32 v20, vcc_lo, s36, v18
	v_add_co_ci_u32_e64 v21, null, s37, v19, vcc_lo
	v_add_co_u32 v22, vcc_lo, s12, v18
	v_add_co_ci_u32_e64 v23, null, s13, v19, vcc_lo
	global_load_dword v8, v[8:9], off
	global_load_dword v9, v[20:21], off
	;; [unrolled: 1-line block ×3, first 2 shown]
	v_add_co_u32 v6, vcc_lo, v6, s31
	v_add_co_ci_u32_e64 v7, null, s33, v7, vcc_lo
	v_add_co_u32 v18, s3, s4, v18
	v_add_co_ci_u32_e64 v19, null, s5, v19, s3
	v_cmp_le_i64_e32 vcc_lo, s[10:11], v[6:7]
	s_or_b32 s23, vcc_lo, s23
	s_waitcnt vmcnt(2)
	v_mul_f32_e32 v8, s7, v8
	s_waitcnt vmcnt(1)
	v_mul_f32_e32 v21, v9, v10
	v_ashrrev_i32_e32 v9, 31, v6
	v_mul_f32_e32 v8, v16, v8
	s_waitcnt vmcnt(0)
	v_fma_f32 v8, v21, v20, -v8
	v_mul_f32_e32 v20, v17, v8
	v_mov_b32_e32 v8, v6
	global_store_dword v[18:19], v20, off
	s_andn2_b32 exec_lo, exec_lo, s23
	s_cbranch_execnz .LBB139_41
.LBB139_42:                             ;   in Loop: Header=BB139_4 Depth=1
	s_inst_prefetch 0x2
	s_or_b32 exec_lo, exec_lo, s22
	s_cbranch_execnz .LBB139_3
	s_branch .LBB139_44
.LBB139_43:                             ;   in Loop: Header=BB139_4 Depth=1
.LBB139_44:                             ;   in Loop: Header=BB139_4 Depth=1
	s_and_saveexec_b32 s22, s2
	s_cbranch_execz .LBB139_2
; %bb.45:                               ;   in Loop: Header=BB139_4 Depth=1
	v_mov_b32_e32 v7, v5
	v_mov_b32_e32 v9, v3
	;; [unrolled: 1-line block ×4, first 2 shown]
	s_mov_b32 s23, 0
	s_inst_prefetch 0x1
	.p2align	6
.LBB139_46:                             ;   Parent Loop BB139_4 Depth=1
                                        ; =>  This Inner Loop Header: Depth=2
	v_lshlrev_b64 v[18:19], 2, v[8:9]
	v_add_co_u32 v8, vcc_lo, s34, v18
	v_add_co_ci_u32_e64 v9, null, s35, v19, vcc_lo
	global_load_dword v20, v[8:9], off
	v_add_co_u32 v8, vcc_lo, s36, v18
	v_add_co_ci_u32_e64 v9, null, s37, v19, vcc_lo
	v_add_co_u32 v6, vcc_lo, v6, s31
	v_add_co_ci_u32_e64 v7, null, s33, v7, vcc_lo
	global_load_dword v8, v[8:9], off
	v_add_co_u32 v18, s3, s4, v18
	v_cmp_le_i64_e32 vcc_lo, s[10:11], v[6:7]
	v_add_co_ci_u32_e64 v19, null, s5, v19, s3
	s_or_b32 s23, vcc_lo, s23
	s_waitcnt vmcnt(1)
	v_mul_f32_e32 v9, s7, v20
	v_mul_f32_e32 v20, v16, v9
	v_ashrrev_i32_e32 v9, 31, v6
	s_waitcnt vmcnt(0)
	v_fma_f32 v8, v8, v10, -v20
	v_mul_f32_e32 v20, v17, v8
	v_mov_b32_e32 v8, v6
	global_store_dword v[18:19], v20, off
	s_andn2_b32 exec_lo, exec_lo, s23
	s_cbranch_execnz .LBB139_46
	s_branch .LBB139_2
.LBB139_47:
	s_endpgm
	.section	.rodata,"a",@progbits
	.p2align	6, 0x0
	.amdhsa_kernel _ZN2at6native12_GLOBAL__N_118cuComputeGradInputIffLb1EEEvPKT_S5_llPKT0_S8_S5_PS3_
		.amdhsa_group_segment_fixed_size 0
		.amdhsa_private_segment_fixed_size 0
		.amdhsa_kernarg_size 320
		.amdhsa_user_sgpr_count 6
		.amdhsa_user_sgpr_private_segment_buffer 1
		.amdhsa_user_sgpr_dispatch_ptr 0
		.amdhsa_user_sgpr_queue_ptr 0
		.amdhsa_user_sgpr_kernarg_segment_ptr 1
		.amdhsa_user_sgpr_dispatch_id 0
		.amdhsa_user_sgpr_flat_scratch_init 0
		.amdhsa_user_sgpr_private_segment_size 0
		.amdhsa_wavefront_size32 1
		.amdhsa_uses_dynamic_stack 0
		.amdhsa_system_sgpr_private_segment_wavefront_offset 0
		.amdhsa_system_sgpr_workgroup_id_x 1
		.amdhsa_system_sgpr_workgroup_id_y 1
		.amdhsa_system_sgpr_workgroup_id_z 0
		.amdhsa_system_sgpr_workgroup_info 0
		.amdhsa_system_vgpr_workitem_id 1
		.amdhsa_next_free_vgpr 24
		.amdhsa_next_free_sgpr 39
		.amdhsa_reserve_vcc 1
		.amdhsa_reserve_flat_scratch 0
		.amdhsa_float_round_mode_32 0
		.amdhsa_float_round_mode_16_64 0
		.amdhsa_float_denorm_mode_32 3
		.amdhsa_float_denorm_mode_16_64 3
		.amdhsa_dx10_clamp 1
		.amdhsa_ieee_mode 1
		.amdhsa_fp16_overflow 0
		.amdhsa_workgroup_processor_mode 1
		.amdhsa_memory_ordered 1
		.amdhsa_forward_progress 1
		.amdhsa_shared_vgpr_count 0
		.amdhsa_exception_fp_ieee_invalid_op 0
		.amdhsa_exception_fp_denorm_src 0
		.amdhsa_exception_fp_ieee_div_zero 0
		.amdhsa_exception_fp_ieee_overflow 0
		.amdhsa_exception_fp_ieee_underflow 0
		.amdhsa_exception_fp_ieee_inexact 0
		.amdhsa_exception_int_div_zero 0
	.end_amdhsa_kernel
	.section	.text._ZN2at6native12_GLOBAL__N_118cuComputeGradInputIffLb1EEEvPKT_S5_llPKT0_S8_S5_PS3_,"axG",@progbits,_ZN2at6native12_GLOBAL__N_118cuComputeGradInputIffLb1EEEvPKT_S5_llPKT0_S8_S5_PS3_,comdat
.Lfunc_end139:
	.size	_ZN2at6native12_GLOBAL__N_118cuComputeGradInputIffLb1EEEvPKT_S5_llPKT0_S8_S5_PS3_, .Lfunc_end139-_ZN2at6native12_GLOBAL__N_118cuComputeGradInputIffLb1EEEvPKT_S5_llPKT0_S8_S5_PS3_
                                        ; -- End function
	.set _ZN2at6native12_GLOBAL__N_118cuComputeGradInputIffLb1EEEvPKT_S5_llPKT0_S8_S5_PS3_.num_vgpr, 24
	.set _ZN2at6native12_GLOBAL__N_118cuComputeGradInputIffLb1EEEvPKT_S5_llPKT0_S8_S5_PS3_.num_agpr, 0
	.set _ZN2at6native12_GLOBAL__N_118cuComputeGradInputIffLb1EEEvPKT_S5_llPKT0_S8_S5_PS3_.numbered_sgpr, 39
	.set _ZN2at6native12_GLOBAL__N_118cuComputeGradInputIffLb1EEEvPKT_S5_llPKT0_S8_S5_PS3_.num_named_barrier, 0
	.set _ZN2at6native12_GLOBAL__N_118cuComputeGradInputIffLb1EEEvPKT_S5_llPKT0_S8_S5_PS3_.private_seg_size, 0
	.set _ZN2at6native12_GLOBAL__N_118cuComputeGradInputIffLb1EEEvPKT_S5_llPKT0_S8_S5_PS3_.uses_vcc, 1
	.set _ZN2at6native12_GLOBAL__N_118cuComputeGradInputIffLb1EEEvPKT_S5_llPKT0_S8_S5_PS3_.uses_flat_scratch, 0
	.set _ZN2at6native12_GLOBAL__N_118cuComputeGradInputIffLb1EEEvPKT_S5_llPKT0_S8_S5_PS3_.has_dyn_sized_stack, 0
	.set _ZN2at6native12_GLOBAL__N_118cuComputeGradInputIffLb1EEEvPKT_S5_llPKT0_S8_S5_PS3_.has_recursion, 0
	.set _ZN2at6native12_GLOBAL__N_118cuComputeGradInputIffLb1EEEvPKT_S5_llPKT0_S8_S5_PS3_.has_indirect_call, 0
	.section	.AMDGPU.csdata,"",@progbits
; Kernel info:
; codeLenInByte = 1756
; TotalNumSgprs: 41
; NumVgprs: 24
; ScratchSize: 0
; MemoryBound: 0
; FloatMode: 240
; IeeeMode: 1
; LDSByteSize: 0 bytes/workgroup (compile time only)
; SGPRBlocks: 0
; VGPRBlocks: 2
; NumSGPRsForWavesPerEU: 41
; NumVGPRsForWavesPerEU: 24
; Occupancy: 16
; WaveLimiterHint : 0
; COMPUTE_PGM_RSRC2:SCRATCH_EN: 0
; COMPUTE_PGM_RSRC2:USER_SGPR: 6
; COMPUTE_PGM_RSRC2:TRAP_HANDLER: 0
; COMPUTE_PGM_RSRC2:TGID_X_EN: 1
; COMPUTE_PGM_RSRC2:TGID_Y_EN: 1
; COMPUTE_PGM_RSRC2:TGID_Z_EN: 0
; COMPUTE_PGM_RSRC2:TIDIG_COMP_CNT: 1
	.section	.text._ZN2at6native12_GLOBAL__N_128layer_norm_grad_input_kernelIffLb1EEEvPKT_S5_PKT0_S8_S5_PS3_i,"axG",@progbits,_ZN2at6native12_GLOBAL__N_128layer_norm_grad_input_kernelIffLb1EEEvPKT_S5_PKT0_S8_S5_PS3_i,comdat
	.globl	_ZN2at6native12_GLOBAL__N_128layer_norm_grad_input_kernelIffLb1EEEvPKT_S5_PKT0_S8_S5_PS3_i ; -- Begin function _ZN2at6native12_GLOBAL__N_128layer_norm_grad_input_kernelIffLb1EEEvPKT_S5_PKT0_S8_S5_PS3_i
	.p2align	8
	.type	_ZN2at6native12_GLOBAL__N_128layer_norm_grad_input_kernelIffLb1EEEvPKT_S5_PKT0_S8_S5_PS3_i,@function
_ZN2at6native12_GLOBAL__N_128layer_norm_grad_input_kernelIffLb1EEEvPKT_S5_PKT0_S8_S5_PS3_i: ; @_ZN2at6native12_GLOBAL__N_128layer_norm_grad_input_kernelIffLb1EEEvPKT_S5_PKT0_S8_S5_PS3_i
; %bb.0:
	s_clause 0x2
	s_load_dword s14, s[4:5], 0x30
	s_load_dwordx4 s[0:3], s[4:5], 0x18
	s_load_dwordx4 s[8:11], s[4:5], 0x0
	s_mov_b32 s7, 0
	v_lshlrev_b32_e32 v1, 2, v0
	v_mov_b32_e32 v9, 0
	v_or_b32_e32 v2, 3, v1
	s_waitcnt lgkmcnt(0)
	s_ashr_i32 s12, s14, 31
	s_mul_hi_u32 s15, s14, s6
	s_mul_i32 s16, s12, s6
	s_lshl_b64 s[12:13], s[6:7], 2
	s_add_i32 s17, s15, s16
	s_add_u32 s0, s0, s12
	s_addc_u32 s1, s1, s13
	s_mul_i32 s16, s14, s6
	s_load_dword s1, s[0:1], 0x0
	s_lshl_b64 s[12:13], s[16:17], 2
	s_mov_b32 s0, exec_lo
	s_add_u32 s6, s10, s12
	s_addc_u32 s15, s11, s13
	s_add_u32 s16, s8, s12
	s_addc_u32 s17, s9, s13
	v_cmpx_gt_u32_e64 s14, v2
	s_cbranch_execz .LBB140_12
; %bb.1:
	s_load_dword s19, s[4:5], 0x44
	s_cmp_lg_u64 s[2:3], 0
	v_mov_b32_e32 v2, 0
	v_mov_b32_e32 v9, 0
	s_cselect_b32 s18, -1, 0
	s_waitcnt lgkmcnt(0)
	s_and_b32 s19, s19, 0xffff
	s_lshl_b32 s19, s19, 2
	s_branch .LBB140_3
.LBB140_2:                              ;   in Loop: Header=BB140_3 Depth=1
	global_load_dword v5, v[5:6], off offset:12
	global_load_dword v3, v[3:4], off offset:12
	s_waitcnt vmcnt(6)
	v_mul_f32_e32 v4, v11, v13
	s_waitcnt vmcnt(4)
	v_mul_f32_e32 v6, v10, v16
	v_add_nc_u32_e32 v1, s19, v1
	v_mul_f32_e32 v4, v12, v4
	v_fmac_f32_e32 v9, s1, v4
	v_mul_f32_e32 v4, v15, v6
	s_waitcnt vmcnt(2)
	v_mul_f32_e32 v6, v18, v19
	v_fmac_f32_e32 v9, s1, v4
	v_mul_f32_e32 v4, v17, v6
	v_add_nc_u32_e32 v6, 3, v1
	v_fmac_f32_e32 v9, s1, v4
	v_cmp_le_u32_e32 vcc_lo, s14, v6
	s_or_b32 s7, vcc_lo, s7
	s_waitcnt vmcnt(1)
	v_mul_f32_e32 v5, v14, v5
	s_waitcnt vmcnt(0)
	v_mul_f32_e32 v3, v3, v5
	v_fmac_f32_e32 v9, s1, v3
	s_andn2_b32 exec_lo, exec_lo, s7
	s_cbranch_execz .LBB140_11
.LBB140_3:                              ; =>This Inner Loop Header: Depth=1
	v_lshlrev_b64 v[7:8], 2, v[1:2]
	v_mov_b32_e32 v10, 1.0
	v_mov_b32_e32 v11, 1.0
	s_and_b32 vcc_lo, exec_lo, s18
	s_cbranch_vccz .LBB140_5
; %bb.4:                                ;   in Loop: Header=BB140_3 Depth=1
	v_add_co_u32 v3, vcc_lo, s2, v7
	v_add_co_ci_u32_e64 v4, null, s3, v8, vcc_lo
	global_load_dword v11, v[3:4], off
.LBB140_5:                              ;   in Loop: Header=BB140_3 Depth=1
	v_add_co_u32 v3, vcc_lo, s6, v7
	v_add_co_ci_u32_e64 v4, null, s15, v8, vcc_lo
	v_add_co_u32 v5, vcc_lo, s16, v7
	v_add_co_ci_u32_e64 v6, null, s17, v8, vcc_lo
	global_load_dword v12, v[3:4], off
	global_load_dword v13, v[5:6], off
	s_andn2_b32 vcc_lo, exec_lo, s18
	s_cbranch_vccnz .LBB140_7
; %bb.6:                                ;   in Loop: Header=BB140_3 Depth=1
	v_add_co_u32 v14, vcc_lo, s2, v7
	v_add_co_ci_u32_e64 v15, null, s3, v8, vcc_lo
	global_load_dword v10, v[14:15], off offset:4
.LBB140_7:                              ;   in Loop: Header=BB140_3 Depth=1
	global_load_dword v15, v[3:4], off offset:4
	global_load_dword v16, v[5:6], off offset:4
	v_mov_b32_e32 v14, 1.0
	v_mov_b32_e32 v18, 1.0
	s_andn2_b32 vcc_lo, exec_lo, s18
	s_cbranch_vccnz .LBB140_9
; %bb.8:                                ;   in Loop: Header=BB140_3 Depth=1
	v_add_co_u32 v17, vcc_lo, s2, v7
	v_add_co_ci_u32_e64 v18, null, s3, v8, vcc_lo
	global_load_dword v18, v[17:18], off offset:8
.LBB140_9:                              ;   in Loop: Header=BB140_3 Depth=1
	global_load_dword v17, v[3:4], off offset:8
	global_load_dword v19, v[5:6], off offset:8
	s_andn2_b32 vcc_lo, exec_lo, s18
	s_cbranch_vccnz .LBB140_2
; %bb.10:                               ;   in Loop: Header=BB140_3 Depth=1
	v_add_co_u32 v7, vcc_lo, s2, v7
	v_add_co_ci_u32_e64 v8, null, s3, v8, vcc_lo
	global_load_dword v14, v[7:8], off offset:12
	s_branch .LBB140_2
.LBB140_11:
	s_or_b32 exec_lo, exec_lo, s7
.LBB140_12:
	s_or_b32 exec_lo, exec_lo, s0
	s_mov_b32 s7, exec_lo
	v_cmpx_gt_u32_e64 s14, v1
	s_cbranch_execz .LBB140_19
; %bb.13:
	v_mov_b32_e32 v2, 0
	s_cmp_lg_u64 s[2:3], 0
	v_lshlrev_b64 v[2:3], 2, v[1:2]
	v_add_co_u32 v6, vcc_lo, s12, v2
	v_add_co_ci_u32_e64 v7, null, s13, v3, vcc_lo
	v_add_co_u32 v2, vcc_lo, s2, v2
	v_add_co_ci_u32_e64 v3, null, s3, v3, vcc_lo
	;; [unrolled: 2-line block ×4, first 2 shown]
	s_cselect_b32 s8, -1, 0
	s_mov_b32 s9, 0
	s_inst_prefetch 0x1
	s_branch .LBB140_16
	.p2align	6
.LBB140_14:                             ;   in Loop: Header=BB140_16 Depth=1
	global_load_dword v8, v[2:3], off
.LBB140_15:                             ;   in Loop: Header=BB140_16 Depth=1
	global_load_dword v10, v[6:7], off
	global_load_dword v11, v[4:5], off
	v_add_nc_u32_e32 v1, 1, v1
	v_add_co_u32 v2, vcc_lo, v2, 4
	v_add_co_ci_u32_e64 v3, null, 0, v3, vcc_lo
	v_add_co_u32 v4, vcc_lo, v4, 4
	v_add_co_ci_u32_e64 v5, null, 0, v5, vcc_lo
	v_cmp_le_u32_e32 vcc_lo, s14, v1
	v_add_co_u32 v6, s0, v6, 4
	v_add_co_ci_u32_e64 v7, null, 0, v7, s0
	s_or_b32 s9, vcc_lo, s9
	s_waitcnt vmcnt(1)
	v_mul_f32_e32 v8, v8, v10
	s_waitcnt vmcnt(0)
	v_mul_f32_e32 v8, v11, v8
	s_waitcnt lgkmcnt(0)
	v_fmac_f32_e32 v9, s1, v8
	s_andn2_b32 exec_lo, exec_lo, s9
	s_cbranch_execz .LBB140_18
.LBB140_16:                             ; =>This Inner Loop Header: Depth=1
	s_andn2_b32 vcc_lo, exec_lo, s8
	s_cbranch_vccz .LBB140_14
; %bb.17:                               ;   in Loop: Header=BB140_16 Depth=1
	v_mov_b32_e32 v8, 1.0
	s_branch .LBB140_15
.LBB140_18:
	s_inst_prefetch 0x2
	s_or_b32 exec_lo, exec_lo, s9
.LBB140_19:
	s_or_b32 exec_lo, exec_lo, s7
	v_mbcnt_lo_u32_b32 v5, -1, 0
	s_mov_b32 s0, exec_lo
	s_waitcnt lgkmcnt(0)
	s_barrier
	buffer_gl0_inv
	v_lshl_or_b32 v1, v5, 2, 64
	v_cmp_gt_u32_e32 vcc_lo, 24, v5
	ds_bpermute_b32 v3, v1, v9
	v_cndmask_b32_e64 v2, 0, 8, vcc_lo
	v_cmp_gt_u32_e32 vcc_lo, 28, v5
	v_add_lshl_u32 v2, v2, v5, 2
	s_waitcnt lgkmcnt(0)
	v_add_f32_e32 v4, v9, v3
	v_cndmask_b32_e64 v3, 0, 4, vcc_lo
	v_cmp_gt_u32_e32 vcc_lo, 30, v5
	ds_bpermute_b32 v6, v2, v4
	v_add_lshl_u32 v3, v3, v5, 2
	s_waitcnt lgkmcnt(0)
	v_add_f32_e32 v6, v4, v6
	v_cndmask_b32_e64 v4, 0, 2, vcc_lo
	v_cmp_ne_u32_e32 vcc_lo, 31, v5
	ds_bpermute_b32 v7, v3, v6
	v_add_lshl_u32 v4, v4, v5, 2
	v_add_co_ci_u32_e64 v5, null, 0, v5, vcc_lo
	v_lshlrev_b32_e32 v5, 2, v5
	s_waitcnt lgkmcnt(0)
	v_add_f32_e32 v6, v6, v7
	ds_bpermute_b32 v7, v4, v6
	s_waitcnt lgkmcnt(0)
	v_add_f32_e32 v7, v6, v7
	v_and_b32_e32 v6, 31, v0
	ds_bpermute_b32 v8, v5, v7
	v_cmpx_eq_u32_e32 0, v6
	s_cbranch_execz .LBB140_21
; %bb.20:
	v_lshrrev_b32_e32 v9, 3, v0
	s_waitcnt lgkmcnt(0)
	v_add_f32_e32 v7, v7, v8
	v_add_nc_u32_e32 v9, 0, v9
	ds_write_b32 v9, v7
.LBB140_21:
	s_or_b32 exec_lo, exec_lo, s0
	s_waitcnt lgkmcnt(0)
	s_barrier
	buffer_gl0_inv
	s_load_dword s0, s[4:5], 0x44
	v_mov_b32_e32 v7, 0
	s_waitcnt lgkmcnt(0)
	s_bfe_u32 s7, s0, 0xb0005
	v_cmp_gt_u32_e32 vcc_lo, s7, v0
	s_and_saveexec_b32 s7, vcc_lo
; %bb.22:
	v_lshl_add_u32 v6, v6, 2, 0
	ds_read_b32 v7, v6
; %bb.23:
	s_or_b32 exec_lo, exec_lo, s7
	s_mov_b32 s7, exec_lo
	v_cmpx_gt_u32_e32 32, v0
	s_cbranch_execz .LBB140_25
; %bb.24:
	s_waitcnt lgkmcnt(0)
	ds_bpermute_b32 v1, v1, v7
	s_waitcnt lgkmcnt(0)
	v_add_f32_e32 v1, v7, v1
	ds_bpermute_b32 v2, v2, v1
	s_waitcnt lgkmcnt(0)
	v_add_f32_e32 v1, v1, v2
	;; [unrolled: 3-line block ×5, first 2 shown]
.LBB140_25:
	s_or_b32 exec_lo, exec_lo, s7
	s_mov_b32 s7, exec_lo
	v_cmpx_eq_u32_e32 0, v0
	s_cbranch_execz .LBB140_27
; %bb.26:
	v_mov_b32_e32 v1, 0
	s_waitcnt lgkmcnt(0)
	ds_write_b32 v1, v7 offset:4
.LBB140_27:
	s_or_b32 exec_lo, exec_lo, s7
	s_waitcnt lgkmcnt(0)
	s_barrier
	buffer_gl0_inv
	s_mov_b32 s7, exec_lo
	v_cmpx_gt_i32_e64 s14, v0
	s_cbranch_execz .LBB140_33
; %bb.28:
	v_cvt_f32_i32_e32 v3, s14
	s_load_dwordx2 s[8:9], s[4:5], 0x28
	s_and_b32 s4, 0xffff, s0
	v_div_scale_f32 v1, null, v3, v3, 1.0
	v_div_scale_f32 v5, vcc_lo, 1.0, v3, 1.0
	v_rcp_f32_e32 v2, v1
	v_fma_f32 v4, -v1, v2, 1.0
	s_waitcnt lgkmcnt(0)
	s_add_u32 s5, s8, s12
	s_addc_u32 s7, s9, s13
	s_cmp_lg_u64 s[2:3], 0
	s_mov_b32 s9, 0
	v_fmac_f32_e32 v2, v4, v2
	s_cselect_b32 s8, -1, 0
	v_mul_f32_e32 v6, v5, v2
	v_fma_f32 v4, -v1, v6, v5
	v_fmac_f32_e32 v6, v4, v2
	v_mov_b32_e32 v4, 0
	v_fma_f32 v1, -v1, v6, v5
	ds_read_b32 v4, v4 offset:4
	v_div_fmas_f32 v1, v1, v2, v6
	v_div_fixup_f32 v1, v1, v3, 1.0
	v_mul_f32_e32 v5, s1, v1
	s_inst_prefetch 0x1
	s_branch .LBB140_31
	.p2align	6
.LBB140_29:                             ;   in Loop: Header=BB140_31 Depth=1
	v_add_co_u32 v8, vcc_lo, s2, v1
	v_add_co_ci_u32_e64 v9, null, s3, v2, vcc_lo
	global_load_dword v8, v[8:9], off
.LBB140_30:                             ;   in Loop: Header=BB140_31 Depth=1
	s_waitcnt vmcnt(1)
	v_mul_f32_e32 v7, s1, v7
	s_waitcnt vmcnt(0)
	v_mul_f32_e32 v8, v8, v3
	v_add_nc_u32_e32 v0, s4, v0
	v_add_co_u32 v1, s0, s5, v1
	s_waitcnt lgkmcnt(0)
	v_mul_f32_e32 v7, v4, v7
	v_add_co_ci_u32_e64 v2, null, s7, v2, s0
	v_cmp_le_i32_e32 vcc_lo, s14, v0
	v_fma_f32 v6, v6, v8, -v7
	s_or_b32 s9, vcc_lo, s9
	v_mul_f32_e32 v6, v5, v6
	global_store_dword v[1:2], v6, off
	s_andn2_b32 exec_lo, exec_lo, s9
	s_cbranch_execz .LBB140_33
.LBB140_31:                             ; =>This Inner Loop Header: Depth=1
	v_ashrrev_i32_e32 v1, 31, v0
	v_lshlrev_b64 v[1:2], 2, v[0:1]
	v_add_co_u32 v6, vcc_lo, s6, v1
	v_add_co_ci_u32_e64 v7, null, s15, v2, vcc_lo
	v_add_co_u32 v8, vcc_lo, s16, v1
	v_add_co_ci_u32_e64 v9, null, s17, v2, vcc_lo
	global_load_dword v7, v[6:7], off
	global_load_dword v6, v[8:9], off
	s_andn2_b32 vcc_lo, exec_lo, s8
	s_cbranch_vccz .LBB140_29
; %bb.32:                               ;   in Loop: Header=BB140_31 Depth=1
	v_mov_b32_e32 v8, 1.0
	s_branch .LBB140_30
.LBB140_33:
	s_inst_prefetch 0x2
	s_endpgm
	.section	.rodata,"a",@progbits
	.p2align	6, 0x0
	.amdhsa_kernel _ZN2at6native12_GLOBAL__N_128layer_norm_grad_input_kernelIffLb1EEEvPKT_S5_PKT0_S8_S5_PS3_i
		.amdhsa_group_segment_fixed_size 0
		.amdhsa_private_segment_fixed_size 0
		.amdhsa_kernarg_size 312
		.amdhsa_user_sgpr_count 6
		.amdhsa_user_sgpr_private_segment_buffer 1
		.amdhsa_user_sgpr_dispatch_ptr 0
		.amdhsa_user_sgpr_queue_ptr 0
		.amdhsa_user_sgpr_kernarg_segment_ptr 1
		.amdhsa_user_sgpr_dispatch_id 0
		.amdhsa_user_sgpr_flat_scratch_init 0
		.amdhsa_user_sgpr_private_segment_size 0
		.amdhsa_wavefront_size32 1
		.amdhsa_uses_dynamic_stack 0
		.amdhsa_system_sgpr_private_segment_wavefront_offset 0
		.amdhsa_system_sgpr_workgroup_id_x 1
		.amdhsa_system_sgpr_workgroup_id_y 0
		.amdhsa_system_sgpr_workgroup_id_z 0
		.amdhsa_system_sgpr_workgroup_info 0
		.amdhsa_system_vgpr_workitem_id 0
		.amdhsa_next_free_vgpr 20
		.amdhsa_next_free_sgpr 20
		.amdhsa_reserve_vcc 1
		.amdhsa_reserve_flat_scratch 0
		.amdhsa_float_round_mode_32 0
		.amdhsa_float_round_mode_16_64 0
		.amdhsa_float_denorm_mode_32 3
		.amdhsa_float_denorm_mode_16_64 3
		.amdhsa_dx10_clamp 1
		.amdhsa_ieee_mode 1
		.amdhsa_fp16_overflow 0
		.amdhsa_workgroup_processor_mode 1
		.amdhsa_memory_ordered 1
		.amdhsa_forward_progress 1
		.amdhsa_shared_vgpr_count 0
		.amdhsa_exception_fp_ieee_invalid_op 0
		.amdhsa_exception_fp_denorm_src 0
		.amdhsa_exception_fp_ieee_div_zero 0
		.amdhsa_exception_fp_ieee_overflow 0
		.amdhsa_exception_fp_ieee_underflow 0
		.amdhsa_exception_fp_ieee_inexact 0
		.amdhsa_exception_int_div_zero 0
	.end_amdhsa_kernel
	.section	.text._ZN2at6native12_GLOBAL__N_128layer_norm_grad_input_kernelIffLb1EEEvPKT_S5_PKT0_S8_S5_PS3_i,"axG",@progbits,_ZN2at6native12_GLOBAL__N_128layer_norm_grad_input_kernelIffLb1EEEvPKT_S5_PKT0_S8_S5_PS3_i,comdat
.Lfunc_end140:
	.size	_ZN2at6native12_GLOBAL__N_128layer_norm_grad_input_kernelIffLb1EEEvPKT_S5_PKT0_S8_S5_PS3_i, .Lfunc_end140-_ZN2at6native12_GLOBAL__N_128layer_norm_grad_input_kernelIffLb1EEEvPKT_S5_PKT0_S8_S5_PS3_i
                                        ; -- End function
	.set _ZN2at6native12_GLOBAL__N_128layer_norm_grad_input_kernelIffLb1EEEvPKT_S5_PKT0_S8_S5_PS3_i.num_vgpr, 20
	.set _ZN2at6native12_GLOBAL__N_128layer_norm_grad_input_kernelIffLb1EEEvPKT_S5_PKT0_S8_S5_PS3_i.num_agpr, 0
	.set _ZN2at6native12_GLOBAL__N_128layer_norm_grad_input_kernelIffLb1EEEvPKT_S5_PKT0_S8_S5_PS3_i.numbered_sgpr, 20
	.set _ZN2at6native12_GLOBAL__N_128layer_norm_grad_input_kernelIffLb1EEEvPKT_S5_PKT0_S8_S5_PS3_i.num_named_barrier, 0
	.set _ZN2at6native12_GLOBAL__N_128layer_norm_grad_input_kernelIffLb1EEEvPKT_S5_PKT0_S8_S5_PS3_i.private_seg_size, 0
	.set _ZN2at6native12_GLOBAL__N_128layer_norm_grad_input_kernelIffLb1EEEvPKT_S5_PKT0_S8_S5_PS3_i.uses_vcc, 1
	.set _ZN2at6native12_GLOBAL__N_128layer_norm_grad_input_kernelIffLb1EEEvPKT_S5_PKT0_S8_S5_PS3_i.uses_flat_scratch, 0
	.set _ZN2at6native12_GLOBAL__N_128layer_norm_grad_input_kernelIffLb1EEEvPKT_S5_PKT0_S8_S5_PS3_i.has_dyn_sized_stack, 0
	.set _ZN2at6native12_GLOBAL__N_128layer_norm_grad_input_kernelIffLb1EEEvPKT_S5_PKT0_S8_S5_PS3_i.has_recursion, 0
	.set _ZN2at6native12_GLOBAL__N_128layer_norm_grad_input_kernelIffLb1EEEvPKT_S5_PKT0_S8_S5_PS3_i.has_indirect_call, 0
	.section	.AMDGPU.csdata,"",@progbits
; Kernel info:
; codeLenInByte = 1596
; TotalNumSgprs: 22
; NumVgprs: 20
; ScratchSize: 0
; MemoryBound: 0
; FloatMode: 240
; IeeeMode: 1
; LDSByteSize: 0 bytes/workgroup (compile time only)
; SGPRBlocks: 0
; VGPRBlocks: 2
; NumSGPRsForWavesPerEU: 22
; NumVGPRsForWavesPerEU: 20
; Occupancy: 16
; WaveLimiterHint : 0
; COMPUTE_PGM_RSRC2:SCRATCH_EN: 0
; COMPUTE_PGM_RSRC2:USER_SGPR: 6
; COMPUTE_PGM_RSRC2:TRAP_HANDLER: 0
; COMPUTE_PGM_RSRC2:TGID_X_EN: 1
; COMPUTE_PGM_RSRC2:TGID_Y_EN: 0
; COMPUTE_PGM_RSRC2:TGID_Z_EN: 0
; COMPUTE_PGM_RSRC2:TIDIG_COMP_CNT: 0
	.section	.text._ZN2at6native12_GLOBAL__N_133GammaBetaBackwardSimpleCUDAKernelIffLb1EEEvllPKT_S5_PKT0_S8_PS3_S9_,"axG",@progbits,_ZN2at6native12_GLOBAL__N_133GammaBetaBackwardSimpleCUDAKernelIffLb1EEEvllPKT_S5_PKT0_S8_PS3_S9_,comdat
	.globl	_ZN2at6native12_GLOBAL__N_133GammaBetaBackwardSimpleCUDAKernelIffLb1EEEvllPKT_S5_PKT0_S8_PS3_S9_ ; -- Begin function _ZN2at6native12_GLOBAL__N_133GammaBetaBackwardSimpleCUDAKernelIffLb1EEEvllPKT_S5_PKT0_S8_PS3_S9_
	.p2align	8
	.type	_ZN2at6native12_GLOBAL__N_133GammaBetaBackwardSimpleCUDAKernelIffLb1EEEvllPKT_S5_PKT0_S8_PS3_S9_,@function
_ZN2at6native12_GLOBAL__N_133GammaBetaBackwardSimpleCUDAKernelIffLb1EEEvllPKT_S5_PKT0_S8_PS3_S9_: ; @_ZN2at6native12_GLOBAL__N_133GammaBetaBackwardSimpleCUDAKernelIffLb1EEEvllPKT_S5_PKT0_S8_PS3_S9_
; %bb.0:
	s_clause 0x1
	s_load_dword s0, s[4:5], 0x4c
	s_load_dwordx8 s[8:15], s[4:5], 0x0
	v_mov_b32_e32 v1, 0
	s_waitcnt lgkmcnt(0)
	s_and_b32 s0, s0, 0xffff
	v_mad_u64_u32 v[2:3], null, s0, s6, v[0:1]
	s_mov_b32 s0, exec_lo
	v_cmpx_gt_i64_e64 s[10:11], v[2:3]
	s_cbranch_execz .LBB141_8
; %bb.1:
	s_load_dwordx4 s[0:3], s[4:5], 0x28
	v_cmp_lt_i64_e64 s4, s[8:9], 1
	v_lshlrev_b64 v[2:3], 2, v[2:3]
	s_and_b32 vcc_lo, exec_lo, s4
	s_cbranch_vccnz .LBB141_6
; %bb.2:
	v_mov_b32_e32 v5, v3
	v_mov_b32_e32 v1, 0
	;; [unrolled: 1-line block ×3, first 2 shown]
	s_waitcnt lgkmcnt(0)
	s_cmp_lg_u64 s[2:3], 0
	s_cselect_b32 s6, -1, 0
	s_lshl_b64 s[4:5], s[10:11], 2
	s_inst_prefetch 0x1
	s_branch .LBB141_4
	.p2align	6
.LBB141_3:                              ;   in Loop: Header=BB141_4 Depth=1
	v_add_co_u32 v4, vcc_lo, v4, s4
	s_add_u32 s8, s8, -1
	v_add_f32_e32 v1, v1, v0
	s_addc_u32 s9, s9, -1
	v_add_co_ci_u32_e64 v5, null, s5, v5, vcc_lo
	s_add_u32 s0, s0, 4
	s_addc_u32 s1, s1, 0
	s_cmp_eq_u64 s[8:9], 0
	s_cbranch_scc1 .LBB141_6
.LBB141_4:                              ; =>This Inner Loop Header: Depth=1
	v_mov_b32_e32 v0, 0
	s_andn2_b32 vcc_lo, exec_lo, s6
	s_cbranch_vccnz .LBB141_3
; %bb.5:                                ;   in Loop: Header=BB141_4 Depth=1
	v_add_co_u32 v6, vcc_lo, s12, v4
	v_add_co_ci_u32_e64 v7, null, s13, v5, vcc_lo
	v_add_co_u32 v8, vcc_lo, s14, v4
	v_add_co_ci_u32_e64 v9, null, s15, v5, vcc_lo
	global_load_dword v0, v[6:7], off
	global_load_dword v6, v[8:9], off
	s_load_dword s7, s[0:1], 0x0
	s_waitcnt vmcnt(0)
	v_mul_f32_e32 v0, v0, v6
	s_waitcnt lgkmcnt(0)
	v_mul_f32_e32 v0, s7, v0
	s_branch .LBB141_3
.LBB141_6:
	s_inst_prefetch 0x2
	s_waitcnt lgkmcnt(0)
	s_cmp_lg_u64 s[2:3], 0
	s_cbranch_scc0 .LBB141_8
; %bb.7:
	v_add_co_u32 v2, vcc_lo, s2, v2
	v_add_co_ci_u32_e64 v3, null, s3, v3, vcc_lo
	global_store_dword v[2:3], v1, off
.LBB141_8:
	s_endpgm
	.section	.rodata,"a",@progbits
	.p2align	6, 0x0
	.amdhsa_kernel _ZN2at6native12_GLOBAL__N_133GammaBetaBackwardSimpleCUDAKernelIffLb1EEEvllPKT_S5_PKT0_S8_PS3_S9_
		.amdhsa_group_segment_fixed_size 0
		.amdhsa_private_segment_fixed_size 0
		.amdhsa_kernarg_size 320
		.amdhsa_user_sgpr_count 6
		.amdhsa_user_sgpr_private_segment_buffer 1
		.amdhsa_user_sgpr_dispatch_ptr 0
		.amdhsa_user_sgpr_queue_ptr 0
		.amdhsa_user_sgpr_kernarg_segment_ptr 1
		.amdhsa_user_sgpr_dispatch_id 0
		.amdhsa_user_sgpr_flat_scratch_init 0
		.amdhsa_user_sgpr_private_segment_size 0
		.amdhsa_wavefront_size32 1
		.amdhsa_uses_dynamic_stack 0
		.amdhsa_system_sgpr_private_segment_wavefront_offset 0
		.amdhsa_system_sgpr_workgroup_id_x 1
		.amdhsa_system_sgpr_workgroup_id_y 0
		.amdhsa_system_sgpr_workgroup_id_z 0
		.amdhsa_system_sgpr_workgroup_info 0
		.amdhsa_system_vgpr_workitem_id 0
		.amdhsa_next_free_vgpr 10
		.amdhsa_next_free_sgpr 16
		.amdhsa_reserve_vcc 1
		.amdhsa_reserve_flat_scratch 0
		.amdhsa_float_round_mode_32 0
		.amdhsa_float_round_mode_16_64 0
		.amdhsa_float_denorm_mode_32 3
		.amdhsa_float_denorm_mode_16_64 3
		.amdhsa_dx10_clamp 1
		.amdhsa_ieee_mode 1
		.amdhsa_fp16_overflow 0
		.amdhsa_workgroup_processor_mode 1
		.amdhsa_memory_ordered 1
		.amdhsa_forward_progress 1
		.amdhsa_shared_vgpr_count 0
		.amdhsa_exception_fp_ieee_invalid_op 0
		.amdhsa_exception_fp_denorm_src 0
		.amdhsa_exception_fp_ieee_div_zero 0
		.amdhsa_exception_fp_ieee_overflow 0
		.amdhsa_exception_fp_ieee_underflow 0
		.amdhsa_exception_fp_ieee_inexact 0
		.amdhsa_exception_int_div_zero 0
	.end_amdhsa_kernel
	.section	.text._ZN2at6native12_GLOBAL__N_133GammaBetaBackwardSimpleCUDAKernelIffLb1EEEvllPKT_S5_PKT0_S8_PS3_S9_,"axG",@progbits,_ZN2at6native12_GLOBAL__N_133GammaBetaBackwardSimpleCUDAKernelIffLb1EEEvllPKT_S5_PKT0_S8_PS3_S9_,comdat
.Lfunc_end141:
	.size	_ZN2at6native12_GLOBAL__N_133GammaBetaBackwardSimpleCUDAKernelIffLb1EEEvllPKT_S5_PKT0_S8_PS3_S9_, .Lfunc_end141-_ZN2at6native12_GLOBAL__N_133GammaBetaBackwardSimpleCUDAKernelIffLb1EEEvllPKT_S5_PKT0_S8_PS3_S9_
                                        ; -- End function
	.set _ZN2at6native12_GLOBAL__N_133GammaBetaBackwardSimpleCUDAKernelIffLb1EEEvllPKT_S5_PKT0_S8_PS3_S9_.num_vgpr, 10
	.set _ZN2at6native12_GLOBAL__N_133GammaBetaBackwardSimpleCUDAKernelIffLb1EEEvllPKT_S5_PKT0_S8_PS3_S9_.num_agpr, 0
	.set _ZN2at6native12_GLOBAL__N_133GammaBetaBackwardSimpleCUDAKernelIffLb1EEEvllPKT_S5_PKT0_S8_PS3_S9_.numbered_sgpr, 16
	.set _ZN2at6native12_GLOBAL__N_133GammaBetaBackwardSimpleCUDAKernelIffLb1EEEvllPKT_S5_PKT0_S8_PS3_S9_.num_named_barrier, 0
	.set _ZN2at6native12_GLOBAL__N_133GammaBetaBackwardSimpleCUDAKernelIffLb1EEEvllPKT_S5_PKT0_S8_PS3_S9_.private_seg_size, 0
	.set _ZN2at6native12_GLOBAL__N_133GammaBetaBackwardSimpleCUDAKernelIffLb1EEEvllPKT_S5_PKT0_S8_PS3_S9_.uses_vcc, 1
	.set _ZN2at6native12_GLOBAL__N_133GammaBetaBackwardSimpleCUDAKernelIffLb1EEEvllPKT_S5_PKT0_S8_PS3_S9_.uses_flat_scratch, 0
	.set _ZN2at6native12_GLOBAL__N_133GammaBetaBackwardSimpleCUDAKernelIffLb1EEEvllPKT_S5_PKT0_S8_PS3_S9_.has_dyn_sized_stack, 0
	.set _ZN2at6native12_GLOBAL__N_133GammaBetaBackwardSimpleCUDAKernelIffLb1EEEvllPKT_S5_PKT0_S8_PS3_S9_.has_recursion, 0
	.set _ZN2at6native12_GLOBAL__N_133GammaBetaBackwardSimpleCUDAKernelIffLb1EEEvllPKT_S5_PKT0_S8_PS3_S9_.has_indirect_call, 0
	.section	.AMDGPU.csdata,"",@progbits
; Kernel info:
; codeLenInByte = 304
; TotalNumSgprs: 18
; NumVgprs: 10
; ScratchSize: 0
; MemoryBound: 0
; FloatMode: 240
; IeeeMode: 1
; LDSByteSize: 0 bytes/workgroup (compile time only)
; SGPRBlocks: 0
; VGPRBlocks: 1
; NumSGPRsForWavesPerEU: 18
; NumVGPRsForWavesPerEU: 10
; Occupancy: 16
; WaveLimiterHint : 0
; COMPUTE_PGM_RSRC2:SCRATCH_EN: 0
; COMPUTE_PGM_RSRC2:USER_SGPR: 6
; COMPUTE_PGM_RSRC2:TRAP_HANDLER: 0
; COMPUTE_PGM_RSRC2:TGID_X_EN: 1
; COMPUTE_PGM_RSRC2:TGID_Y_EN: 0
; COMPUTE_PGM_RSRC2:TGID_Z_EN: 0
; COMPUTE_PGM_RSRC2:TIDIG_COMP_CNT: 0
	.section	.text._ZN2at6native12_GLOBAL__N_135GammaBetaBackwardCUDAKernelTemplateIffLj64ELj1ELj32ELb1ELb1ELb1EEEvllPKT_S5_PKT0_S8_PS3_S9_,"axG",@progbits,_ZN2at6native12_GLOBAL__N_135GammaBetaBackwardCUDAKernelTemplateIffLj64ELj1ELj32ELb1ELb1ELb1EEEvllPKT_S5_PKT0_S8_PS3_S9_,comdat
	.globl	_ZN2at6native12_GLOBAL__N_135GammaBetaBackwardCUDAKernelTemplateIffLj64ELj1ELj32ELb1ELb1ELb1EEEvllPKT_S5_PKT0_S8_PS3_S9_ ; -- Begin function _ZN2at6native12_GLOBAL__N_135GammaBetaBackwardCUDAKernelTemplateIffLj64ELj1ELj32ELb1ELb1ELb1EEEvllPKT_S5_PKT0_S8_PS3_S9_
	.p2align	8
	.type	_ZN2at6native12_GLOBAL__N_135GammaBetaBackwardCUDAKernelTemplateIffLj64ELj1ELj32ELb1ELb1ELb1EEEvllPKT_S5_PKT0_S8_PS3_S9_,@function
_ZN2at6native12_GLOBAL__N_135GammaBetaBackwardCUDAKernelTemplateIffLj64ELj1ELj32ELb1ELb1ELb1EEEvllPKT_S5_PKT0_S8_PS3_S9_: ; @_ZN2at6native12_GLOBAL__N_135GammaBetaBackwardCUDAKernelTemplateIffLj64ELj1ELj32ELb1ELb1ELb1EEEvllPKT_S5_PKT0_S8_PS3_S9_
; %bb.0:
	s_clause 0x1
	s_load_dwordx4 s[0:3], s[4:5], 0x0
	s_load_dwordx2 s[12:13], s[4:5], 0x30
	s_lshl_b32 s14, s7, 5
	s_mov_b32 s15, 0
	v_mov_b32_e32 v30, 0
	s_waitcnt lgkmcnt(0)
	v_cmp_le_i64_e64 s8, s[0:1], s[14:15]
	s_and_b32 vcc_lo, exec_lo, s8
	s_cbranch_vccnz .LBB142_5
; %bb.1:
	s_clause 0x3
	s_load_dword s16, s[4:5], 0x4c
	s_load_dword s17, s[4:5], 0x44
	s_load_dwordx4 s[8:11], s[4:5], 0x10
	s_load_dwordx2 s[18:19], s[4:5], 0x28
	v_lshlrev_b32_e32 v4, 5, v1
	v_mov_b32_e32 v3, 0
	v_lshl_or_b32 v2, s6, 6, v0
	v_mov_b32_e32 v8, 4
	v_mov_b32_e32 v9, 8
	;; [unrolled: 1-line block ×13, first 2 shown]
	s_waitcnt lgkmcnt(0)
	s_and_b32 s16, s16, 0xffff
	v_mov_b32_e32 v21, 56
	v_mad_u32_u24 v5, v1, s16, v0
	v_add_co_u32 v40, s16, v4, s14
	v_add_co_ci_u32_e64 v41, null, 0, 0, s16
	v_and_b32_e32 v30, 31, v5
	v_mul_lo_u32 v6, s3, v40
	v_mad_u64_u32 v[4:5], null, s2, v40, 0
	v_mul_lo_u32 v7, s2, v41
	s_lshl_b32 s16, s17, 5
	v_mov_b32_e32 v22, 60
	s_mul_i32 s20, s3, s16
	s_mul_hi_u32 s21, s2, s16
	v_mov_b32_e32 v23, 64
	v_mov_b32_e32 v24, 0x44
	;; [unrolled: 1-line block ×3, first 2 shown]
	v_add3_u32 v5, v5, v7, v6
	v_mov_b32_e32 v26, 0x4c
	v_mov_b32_e32 v27, 0x50
	;; [unrolled: 1-line block ×4, first 2 shown]
	v_lshlrev_b64 v[6:7], 2, v[4:5]
	v_add_co_u32 v4, vcc_lo, v40, v30
	v_add_co_ci_u32_e64 v5, null, 0, v41, vcc_lo
	v_lshlrev_b64 v[40:41], 2, v[2:3]
	v_mov_b32_e32 v31, 0x5c
	v_mov_b32_e32 v32, 0x60
	v_lshlrev_b64 v[42:43], 2, v[4:5]
	v_mov_b32_e32 v33, 0x64
	v_mov_b32_e32 v34, 0x68
	v_add_co_u32 v2, vcc_lo, v6, v40
	v_add_co_ci_u32_e64 v40, null, v7, v41, vcc_lo
	v_add_co_u32 v6, vcc_lo, s18, v42
	v_mov_b32_e32 v35, 0x6c
	v_mov_b32_e32 v36, 0x70
	;; [unrolled: 1-line block ×5, first 2 shown]
	v_add_co_ci_u32_e64 v7, null, s19, v43, vcc_lo
	v_mov_b32_e32 v30, 0
	s_mov_b32 s17, s15
	s_add_i32 s21, s21, s20
	s_mul_i32 s20, s2, s16
	s_lshl_b64 s[22:23], s[2:3], 2
	s_lshl_b64 s[18:19], s[20:21], 2
	;; [unrolled: 1-line block ×3, first 2 shown]
	s_branch .LBB142_3
.LBB142_2:                              ;   in Loop: Header=BB142_3 Depth=1
	s_or_b32 exec_lo, exec_lo, s17
	v_add_co_u32 v42, vcc_lo, s8, v2
	v_add_co_ci_u32_e64 v43, null, s9, v40, vcc_lo
	v_add_co_u32 v44, vcc_lo, s10, v2
	v_add_co_ci_u32_e64 v45, null, s11, v40, vcc_lo
	global_load_dword v48, v[42:43], off
	global_load_dword v49, v[44:45], off
	v_add_co_u32 v42, vcc_lo, v42, s22
	v_add_co_ci_u32_e64 v43, null, s23, v43, vcc_lo
	v_add_co_u32 v44, vcc_lo, v44, s22
	v_add_co_ci_u32_e64 v45, null, s23, v45, vcc_lo
	global_load_dword v50, v[42:43], off
	global_load_dword v51, v[44:45], off
	;; [unrolled: 6-line block ×6, first 2 shown]
	v_add_co_u32 v42, vcc_lo, v42, s22
	v_add_co_ci_u32_e64 v43, null, s23, v43, vcc_lo
	v_add_co_u32 v44, vcc_lo, v44, s22
	v_add_co_ci_u32_e64 v45, null, s23, v45, vcc_lo
	global_load_dword v60, v[42:43], off
	v_add_co_u32 v42, vcc_lo, v42, s22
	global_load_dword v61, v[44:45], off
	v_add_co_ci_u32_e64 v43, null, s23, v43, vcc_lo
	v_add_co_u32 v46, vcc_lo, v44, s22
	v_add_co_ci_u32_e64 v47, null, s23, v45, vcc_lo
	v_add_co_u32 v44, vcc_lo, v42, s22
	v_add_co_ci_u32_e64 v45, null, s23, v43, vcc_lo
	global_load_dword v62, v[42:43], off
	s_waitcnt vmcnt(15)
	ds_bpermute_b32 v43, v3, v41
	s_add_u32 s14, s14, s16
	s_addc_u32 s15, s15, 0
	v_cmp_lt_i64_e64 s17, s[14:15], s[0:1]
	s_waitcnt vmcnt(13)
	v_mul_f32_e32 v42, v48, v49
	global_load_dword v48, v[46:47], off
	global_load_dword v49, v[44:45], off
	s_waitcnt lgkmcnt(0)
	v_fmac_f32_e32 v30, v42, v43
	v_add_co_u32 v42, vcc_lo, v46, s22
	v_add_co_ci_u32_e64 v43, null, s23, v47, vcc_lo
	v_add_co_u32 v46, vcc_lo, v44, s22
	s_waitcnt vmcnt(13)
	v_mul_f32_e32 v44, v50, v51
	global_load_dword v50, v[42:43], off
	v_add_co_ci_u32_e64 v47, null, s23, v45, vcc_lo
	ds_bpermute_b32 v45, v8, v41
	global_load_dword v51, v[46:47], off
	s_waitcnt lgkmcnt(0)
	v_fmac_f32_e32 v30, v44, v45
	v_add_co_u32 v44, vcc_lo, v42, s22
	v_add_co_ci_u32_e64 v45, null, s23, v43, vcc_lo
	v_add_co_u32 v42, vcc_lo, v46, s22
	v_add_co_ci_u32_e64 v43, null, s23, v47, vcc_lo
	ds_bpermute_b32 v47, v9, v41
	s_waitcnt vmcnt(13)
	v_mul_f32_e32 v46, v52, v53
	global_load_dword v52, v[44:45], off
	global_load_dword v53, v[42:43], off
	s_waitcnt lgkmcnt(0)
	v_fmac_f32_e32 v30, v46, v47
	v_add_co_u32 v46, vcc_lo, v44, s22
	v_add_co_ci_u32_e64 v47, null, s23, v45, vcc_lo
	v_add_co_u32 v44, vcc_lo, v42, s22
	v_add_co_ci_u32_e64 v45, null, s23, v43, vcc_lo
	ds_bpermute_b32 v43, v10, v41
	s_waitcnt vmcnt(13)
	v_mul_f32_e32 v42, v54, v55
	global_load_dword v54, v[46:47], off
	;; [unrolled: 11-line block ×6, first 2 shown]
	global_load_dword v62, v[46:47], off
	s_waitcnt lgkmcnt(0)
	v_fmac_f32_e32 v30, v44, v45
	v_add_co_u32 v44, vcc_lo, v42, s22
	v_add_co_ci_u32_e64 v45, null, s23, v43, vcc_lo
	v_add_co_u32 v42, vcc_lo, v46, s22
	s_waitcnt vmcnt(13)
	v_mul_f32_e32 v46, v49, v50
	global_load_dword v49, v[44:45], off
	v_add_co_ci_u32_e64 v43, null, s23, v47, vcc_lo
	ds_bpermute_b32 v47, v15, v41
	global_load_dword v50, v[42:43], off
	s_waitcnt lgkmcnt(0)
	v_fmac_f32_e32 v30, v46, v47
	v_add_co_u32 v46, vcc_lo, v44, s22
	v_add_co_ci_u32_e64 v47, null, s23, v45, vcc_lo
	v_add_co_u32 v44, vcc_lo, v42, s22
	v_add_co_ci_u32_e64 v45, null, s23, v43, vcc_lo
	ds_bpermute_b32 v43, v16, v41
	s_waitcnt vmcnt(13)
	v_mul_f32_e32 v42, v51, v52
	global_load_dword v51, v[46:47], off
	global_load_dword v52, v[44:45], off
	s_waitcnt lgkmcnt(0)
	v_fmac_f32_e32 v30, v42, v43
	v_add_co_u32 v42, vcc_lo, v46, s22
	v_add_co_ci_u32_e64 v43, null, s23, v47, vcc_lo
	v_add_co_u32 v46, vcc_lo, v44, s22
	v_add_co_ci_u32_e64 v47, null, s23, v45, vcc_lo
	ds_bpermute_b32 v45, v17, v41
	s_waitcnt vmcnt(13)
	v_mul_f32_e32 v44, v53, v54
	global_load_dword v53, v[42:43], off
	;; [unrolled: 11-line block ×6, first 2 shown]
	global_load_dword v61, v[42:43], off
	s_waitcnt lgkmcnt(0)
	v_fmac_f32_e32 v30, v46, v47
	v_add_co_u32 v46, vcc_lo, v44, s22
	v_add_co_ci_u32_e64 v47, null, s23, v45, vcc_lo
	v_add_co_u32 v44, vcc_lo, v42, s22
	s_waitcnt vmcnt(13)
	v_mul_f32_e32 v42, v62, v49
	global_load_dword v49, v[46:47], off
	v_add_co_ci_u32_e64 v45, null, s23, v43, vcc_lo
	ds_bpermute_b32 v43, v22, v41
	global_load_dword v62, v[44:45], off
	s_waitcnt lgkmcnt(0)
	v_fmac_f32_e32 v30, v42, v43
	v_add_co_u32 v42, vcc_lo, v46, s22
	v_add_co_ci_u32_e64 v43, null, s23, v47, vcc_lo
	v_add_co_u32 v46, vcc_lo, v44, s22
	v_add_co_ci_u32_e64 v47, null, s23, v45, vcc_lo
	ds_bpermute_b32 v45, v23, v41
	s_waitcnt vmcnt(13)
	v_mul_f32_e32 v44, v50, v51
	global_load_dword v50, v[42:43], off
	global_load_dword v51, v[46:47], off
	s_waitcnt lgkmcnt(0)
	v_fmac_f32_e32 v30, v44, v45
	v_add_co_u32 v44, vcc_lo, v42, s22
	v_add_co_ci_u32_e64 v45, null, s23, v43, vcc_lo
	v_add_co_u32 v42, vcc_lo, v46, s22
	v_add_co_ci_u32_e64 v43, null, s23, v47, vcc_lo
	ds_bpermute_b32 v47, v24, v41
	s_waitcnt vmcnt(13)
	v_mul_f32_e32 v46, v52, v53
	global_load_dword v52, v[44:45], off
	;; [unrolled: 11-line block ×7, first 2 shown]
	global_load_dword v61, v[46:47], off
	s_waitcnt lgkmcnt(0)
	v_fmac_f32_e32 v30, v44, v45
	v_add_co_u32 v44, vcc_lo, v42, s22
	v_add_co_ci_u32_e64 v45, null, s23, v43, vcc_lo
	v_add_co_u32 v42, vcc_lo, v46, s22
	v_add_co_ci_u32_e64 v43, null, s23, v47, vcc_lo
	;; [unrolled: 2-line block ×3, first 2 shown]
	global_load_dword v44, v[44:45], off
	global_load_dword v42, v[42:43], off
	global_load_dword v43, v[46:47], off
	ds_bpermute_b32 v45, v31, v41
	s_waitcnt vmcnt(16)
	v_mul_f32_e32 v46, v62, v50
	ds_bpermute_b32 v47, v32, v41
	v_add_co_u32 v2, vcc_lo, v2, s18
	v_add_co_ci_u32_e64 v40, null, s19, v40, vcc_lo
	v_add_co_u32 v6, vcc_lo, v6, s20
	v_add_co_ci_u32_e64 v7, null, s21, v7, vcc_lo
	;; [unrolled: 2-line block ×3, first 2 shown]
	s_and_b32 vcc_lo, exec_lo, s17
	s_waitcnt lgkmcnt(1)
	v_fmac_f32_e32 v30, v46, v45
	ds_bpermute_b32 v45, v33, v41
	ds_bpermute_b32 v46, v34, v41
	s_waitcnt vmcnt(14)
	v_mul_f32_e32 v50, v51, v52
	ds_bpermute_b32 v51, v35, v41
	s_waitcnt lgkmcnt(3)
	v_fmac_f32_e32 v30, v50, v47
	ds_bpermute_b32 v50, v36, v41
	s_waitcnt vmcnt(12)
	v_mul_f32_e32 v47, v53, v54
	s_waitcnt lgkmcnt(3)
	v_fmac_f32_e32 v30, v47, v45
	ds_bpermute_b32 v47, v37, v41
	s_waitcnt vmcnt(10)
	v_mul_f32_e32 v45, v55, v56
	s_waitcnt lgkmcnt(3)
	v_fmac_f32_e32 v30, v45, v46
	ds_bpermute_b32 v46, v38, v41
	ds_bpermute_b32 v41, v39, v41
	s_waitcnt vmcnt(8)
	v_mul_f32_e32 v45, v57, v58
	s_waitcnt lgkmcnt(4)
	v_fmac_f32_e32 v30, v45, v51
	s_waitcnt vmcnt(6)
	v_mul_f32_e32 v45, v59, v48
	s_waitcnt lgkmcnt(3)
	v_fmac_f32_e32 v30, v45, v50
	;; [unrolled: 4-line block ×3, first 2 shown]
	s_waitcnt vmcnt(2)
	v_mul_f32_e32 v44, v61, v44
	s_waitcnt vmcnt(0)
	v_mul_f32_e32 v42, v42, v43
	s_waitcnt lgkmcnt(1)
	v_fmac_f32_e32 v30, v44, v46
	s_waitcnt lgkmcnt(0)
	v_fmac_f32_e32 v30, v42, v41
	s_cbranch_vccz .LBB142_5
.LBB142_3:                              ; =>This Inner Loop Header: Depth=1
	v_mov_b32_e32 v41, 0
	s_mov_b32 s17, exec_lo
	v_cmpx_gt_i64_e64 s[0:1], v[4:5]
	s_cbranch_execz .LBB142_2
; %bb.4:                                ;   in Loop: Header=BB142_3 Depth=1
	global_load_dword v41, v[6:7], off
	s_branch .LBB142_2
.LBB142_5:
	s_cmp_eq_u64 s[12:13], 0
	s_cbranch_scc1 .LBB142_7
; %bb.6:
	s_load_dword s0, s[4:5], 0x4c
	v_mov_b32_e32 v2, 0
	v_lshlrev_b32_e32 v0, 2, v0
	s_waitcnt lgkmcnt(0)
	s_lshr_b32 s0, s0, 16
	v_mad_u64_u32 v[1:2], null, s0, s7, v[1:2]
	s_mov_b32 s7, 0
	s_lshl_b64 s[0:1], s[6:7], 8
	v_mul_lo_u32 v3, v2, s2
	v_mul_lo_u32 v4, v1, s3
	v_mad_u64_u32 v[1:2], null, v1, s2, 0
	v_add3_u32 v2, v2, v4, v3
	v_lshlrev_b64 v[1:2], 2, v[1:2]
	v_add_co_u32 v1, vcc_lo, s12, v1
	v_add_co_ci_u32_e64 v2, null, s13, v2, vcc_lo
	v_add_co_u32 v1, vcc_lo, v1, s0
	v_add_co_ci_u32_e64 v2, null, s1, v2, vcc_lo
	;; [unrolled: 2-line block ×3, first 2 shown]
	global_store_dword v[0:1], v30, off
.LBB142_7:
	s_endpgm
	.section	.rodata,"a",@progbits
	.p2align	6, 0x0
	.amdhsa_kernel _ZN2at6native12_GLOBAL__N_135GammaBetaBackwardCUDAKernelTemplateIffLj64ELj1ELj32ELb1ELb1ELb1EEEvllPKT_S5_PKT0_S8_PS3_S9_
		.amdhsa_group_segment_fixed_size 0
		.amdhsa_private_segment_fixed_size 0
		.amdhsa_kernarg_size 320
		.amdhsa_user_sgpr_count 6
		.amdhsa_user_sgpr_private_segment_buffer 1
		.amdhsa_user_sgpr_dispatch_ptr 0
		.amdhsa_user_sgpr_queue_ptr 0
		.amdhsa_user_sgpr_kernarg_segment_ptr 1
		.amdhsa_user_sgpr_dispatch_id 0
		.amdhsa_user_sgpr_flat_scratch_init 0
		.amdhsa_user_sgpr_private_segment_size 0
		.amdhsa_wavefront_size32 1
		.amdhsa_uses_dynamic_stack 0
		.amdhsa_system_sgpr_private_segment_wavefront_offset 0
		.amdhsa_system_sgpr_workgroup_id_x 1
		.amdhsa_system_sgpr_workgroup_id_y 1
		.amdhsa_system_sgpr_workgroup_id_z 0
		.amdhsa_system_sgpr_workgroup_info 0
		.amdhsa_system_vgpr_workitem_id 1
		.amdhsa_next_free_vgpr 63
		.amdhsa_next_free_sgpr 24
		.amdhsa_reserve_vcc 1
		.amdhsa_reserve_flat_scratch 0
		.amdhsa_float_round_mode_32 0
		.amdhsa_float_round_mode_16_64 0
		.amdhsa_float_denorm_mode_32 3
		.amdhsa_float_denorm_mode_16_64 3
		.amdhsa_dx10_clamp 1
		.amdhsa_ieee_mode 1
		.amdhsa_fp16_overflow 0
		.amdhsa_workgroup_processor_mode 1
		.amdhsa_memory_ordered 1
		.amdhsa_forward_progress 1
		.amdhsa_shared_vgpr_count 0
		.amdhsa_exception_fp_ieee_invalid_op 0
		.amdhsa_exception_fp_denorm_src 0
		.amdhsa_exception_fp_ieee_div_zero 0
		.amdhsa_exception_fp_ieee_overflow 0
		.amdhsa_exception_fp_ieee_underflow 0
		.amdhsa_exception_fp_ieee_inexact 0
		.amdhsa_exception_int_div_zero 0
	.end_amdhsa_kernel
	.section	.text._ZN2at6native12_GLOBAL__N_135GammaBetaBackwardCUDAKernelTemplateIffLj64ELj1ELj32ELb1ELb1ELb1EEEvllPKT_S5_PKT0_S8_PS3_S9_,"axG",@progbits,_ZN2at6native12_GLOBAL__N_135GammaBetaBackwardCUDAKernelTemplateIffLj64ELj1ELj32ELb1ELb1ELb1EEEvllPKT_S5_PKT0_S8_PS3_S9_,comdat
.Lfunc_end142:
	.size	_ZN2at6native12_GLOBAL__N_135GammaBetaBackwardCUDAKernelTemplateIffLj64ELj1ELj32ELb1ELb1ELb1EEEvllPKT_S5_PKT0_S8_PS3_S9_, .Lfunc_end142-_ZN2at6native12_GLOBAL__N_135GammaBetaBackwardCUDAKernelTemplateIffLj64ELj1ELj32ELb1ELb1ELb1EEEvllPKT_S5_PKT0_S8_PS3_S9_
                                        ; -- End function
	.set _ZN2at6native12_GLOBAL__N_135GammaBetaBackwardCUDAKernelTemplateIffLj64ELj1ELj32ELb1ELb1ELb1EEEvllPKT_S5_PKT0_S8_PS3_S9_.num_vgpr, 63
	.set _ZN2at6native12_GLOBAL__N_135GammaBetaBackwardCUDAKernelTemplateIffLj64ELj1ELj32ELb1ELb1ELb1EEEvllPKT_S5_PKT0_S8_PS3_S9_.num_agpr, 0
	.set _ZN2at6native12_GLOBAL__N_135GammaBetaBackwardCUDAKernelTemplateIffLj64ELj1ELj32ELb1ELb1ELb1EEEvllPKT_S5_PKT0_S8_PS3_S9_.numbered_sgpr, 24
	.set _ZN2at6native12_GLOBAL__N_135GammaBetaBackwardCUDAKernelTemplateIffLj64ELj1ELj32ELb1ELb1ELb1EEEvllPKT_S5_PKT0_S8_PS3_S9_.num_named_barrier, 0
	.set _ZN2at6native12_GLOBAL__N_135GammaBetaBackwardCUDAKernelTemplateIffLj64ELj1ELj32ELb1ELb1ELb1EEEvllPKT_S5_PKT0_S8_PS3_S9_.private_seg_size, 0
	.set _ZN2at6native12_GLOBAL__N_135GammaBetaBackwardCUDAKernelTemplateIffLj64ELj1ELj32ELb1ELb1ELb1EEEvllPKT_S5_PKT0_S8_PS3_S9_.uses_vcc, 1
	.set _ZN2at6native12_GLOBAL__N_135GammaBetaBackwardCUDAKernelTemplateIffLj64ELj1ELj32ELb1ELb1ELb1EEEvllPKT_S5_PKT0_S8_PS3_S9_.uses_flat_scratch, 0
	.set _ZN2at6native12_GLOBAL__N_135GammaBetaBackwardCUDAKernelTemplateIffLj64ELj1ELj32ELb1ELb1ELb1EEEvllPKT_S5_PKT0_S8_PS3_S9_.has_dyn_sized_stack, 0
	.set _ZN2at6native12_GLOBAL__N_135GammaBetaBackwardCUDAKernelTemplateIffLj64ELj1ELj32ELb1ELb1ELb1EEEvllPKT_S5_PKT0_S8_PS3_S9_.has_recursion, 0
	.set _ZN2at6native12_GLOBAL__N_135GammaBetaBackwardCUDAKernelTemplateIffLj64ELj1ELj32ELb1ELb1ELb1EEEvllPKT_S5_PKT0_S8_PS3_S9_.has_indirect_call, 0
	.section	.AMDGPU.csdata,"",@progbits
; Kernel info:
; codeLenInByte = 3040
; TotalNumSgprs: 26
; NumVgprs: 63
; ScratchSize: 0
; MemoryBound: 0
; FloatMode: 240
; IeeeMode: 1
; LDSByteSize: 0 bytes/workgroup (compile time only)
; SGPRBlocks: 0
; VGPRBlocks: 7
; NumSGPRsForWavesPerEU: 26
; NumVGPRsForWavesPerEU: 63
; Occupancy: 16
; WaveLimiterHint : 0
; COMPUTE_PGM_RSRC2:SCRATCH_EN: 0
; COMPUTE_PGM_RSRC2:USER_SGPR: 6
; COMPUTE_PGM_RSRC2:TRAP_HANDLER: 0
; COMPUTE_PGM_RSRC2:TGID_X_EN: 1
; COMPUTE_PGM_RSRC2:TGID_Y_EN: 1
; COMPUTE_PGM_RSRC2:TGID_Z_EN: 0
; COMPUTE_PGM_RSRC2:TIDIG_COMP_CNT: 1
	.section	.text._ZN2at6native12_GLOBAL__N_135GammaBetaBackwardCUDAKernelTemplateIffLj64ELj1ELj32ELb1ELb0ELb1EEEvllPKT_S5_PKT0_S8_PS3_S9_,"axG",@progbits,_ZN2at6native12_GLOBAL__N_135GammaBetaBackwardCUDAKernelTemplateIffLj64ELj1ELj32ELb1ELb0ELb1EEEvllPKT_S5_PKT0_S8_PS3_S9_,comdat
	.globl	_ZN2at6native12_GLOBAL__N_135GammaBetaBackwardCUDAKernelTemplateIffLj64ELj1ELj32ELb1ELb0ELb1EEEvllPKT_S5_PKT0_S8_PS3_S9_ ; -- Begin function _ZN2at6native12_GLOBAL__N_135GammaBetaBackwardCUDAKernelTemplateIffLj64ELj1ELj32ELb1ELb0ELb1EEEvllPKT_S5_PKT0_S8_PS3_S9_
	.p2align	8
	.type	_ZN2at6native12_GLOBAL__N_135GammaBetaBackwardCUDAKernelTemplateIffLj64ELj1ELj32ELb1ELb0ELb1EEEvllPKT_S5_PKT0_S8_PS3_S9_,@function
_ZN2at6native12_GLOBAL__N_135GammaBetaBackwardCUDAKernelTemplateIffLj64ELj1ELj32ELb1ELb0ELb1EEEvllPKT_S5_PKT0_S8_PS3_S9_: ; @_ZN2at6native12_GLOBAL__N_135GammaBetaBackwardCUDAKernelTemplateIffLj64ELj1ELj32ELb1ELb0ELb1EEEvllPKT_S5_PKT0_S8_PS3_S9_
; %bb.0:
	s_mov_b64 s[38:39], s[2:3]
	s_mov_b64 s[36:37], s[0:1]
	s_mov_b32 s0, s7
	s_add_u32 s36, s36, s8
	s_clause 0x1
	s_load_dwordx8 s[8:15], s[4:5], 0x0
	s_load_dwordx2 s[16:17], s[4:5], 0x28
	s_addc_u32 s37, s37, 0
	s_lshl_b32 s7, s6, 6
	s_mov_b32 s19, 0
	s_or_b32 s18, s7, 63
	v_mov_b32_e32 v224, v0
	v_mov_b32_e32 v223, v1
	s_waitcnt lgkmcnt(0)
	v_cmp_le_i64_e64 s1, s[10:11], s[18:19]
	s_lshl_b32 s18, s0, 5
	v_cmp_gt_i64_e64 s26, s[8:9], s[18:19]
	s_and_b32 vcc_lo, exec_lo, s1
	v_cndmask_b32_e64 v0, 0, 1, s26
	v_cmp_ne_u32_e64 s1, 1, v0
	s_cbranch_vccz .LBB143_141
; %bb.1:
	v_mov_b32_e32 v202, 0
	s_and_b32 vcc_lo, exec_lo, s1
	s_cbranch_vccnz .LBB143_142
; %bb.2:
	v_lshlrev_b32_e32 v39, 5, v223
	v_mov_b32_e32 v2, 0
	v_add_nc_u32_e32 v0, s7, v224
	s_load_dword s2, s[4:5], 0x44
	s_add_u32 s20, s4, 64
	v_add_co_u32 v5, s1, v39, s18
	v_add_co_ci_u32_e64 v6, null, 0, 0, s1
	v_mov_b32_e32 v1, v2
	v_mul_lo_u32 v7, s11, v5
	v_mad_u64_u32 v[3:4], null, s10, v5, 0
	v_mul_lo_u32 v8, s10, v6
	v_cmp_gt_i64_e64 s1, s[10:11], v[0:1]
	v_lshlrev_b64 v[35:36], 2, v[0:1]
	s_addc_u32 s21, s5, 0
	v_mov_b32_e32 v40, v2
	v_mov_b32_e32 v167, 0
	s_mov_b64 s[24:25], s[18:19]
	v_add3_u32 v4, v4, v8, v7
	v_add_co_u32 v7, vcc_lo, v5, 31
	v_add_co_ci_u32_e64 v8, null, 0, v6, vcc_lo
	v_add_co_u32 v9, vcc_lo, v5, 30
	v_add_co_ci_u32_e64 v10, null, 0, v6, vcc_lo
	v_lshlrev_b64 v[0:1], 2, v[3:4]
	v_mul_lo_u32 v11, s11, v7
	v_mul_lo_u32 v12, s10, v8
	v_mad_u64_u32 v[7:8], null, s10, v7, 0
	v_mul_lo_u32 v13, s11, v9
	v_mul_lo_u32 v14, s10, v10
	v_mad_u64_u32 v[9:10], null, s10, v9, 0
	v_add_co_u32 v41, vcc_lo, s12, v0
	v_add_co_ci_u32_e64 v42, null, s13, v1, vcc_lo
	v_add_co_u32 v43, vcc_lo, s14, v0
	v_add3_u32 v8, v8, v12, v11
	v_add_co_ci_u32_e64 v44, null, s15, v1, vcc_lo
	v_add_co_u32 v11, vcc_lo, v5, 29
	v_add3_u32 v10, v10, v14, v13
	v_add_co_ci_u32_e64 v12, null, 0, v6, vcc_lo
	v_lshlrev_b64 v[0:1], 2, v[7:8]
	v_mul_lo_u32 v13, s11, v11
	v_lshlrev_b64 v[7:8], 2, v[9:10]
	v_mul_lo_u32 v12, s10, v12
	v_mad_u64_u32 v[9:10], null, s10, v11, 0
	v_add_co_u32 v45, vcc_lo, s12, v0
	v_add_co_ci_u32_e64 v46, null, s13, v1, vcc_lo
	v_add_co_u32 v47, vcc_lo, s14, v0
	v_add3_u32 v10, v10, v12, v13
	s_waitcnt lgkmcnt(0)
	s_lshl_b32 s27, s2, 5
	v_add_co_ci_u32_e64 v48, null, s15, v1, vcc_lo
	v_add_co_u32 v49, vcc_lo, s12, v7
	s_mul_i32 s2, s11, s27
	s_mul_hi_u32 s3, s10, s27
	v_add_co_ci_u32_e64 v50, null, s13, v8, vcc_lo
	v_add_co_u32 v11, vcc_lo, v5, 28
	s_add_i32 s23, s3, s2
	v_add_co_u32 v51, s2, s14, v7
	v_lshlrev_b64 v[0:1], 2, v[9:10]
	v_add_co_ci_u32_e64 v7, null, 0, v6, vcc_lo
	v_add_co_u32 v9, vcc_lo, v5, 27
	v_add_co_ci_u32_e64 v10, null, 0, v6, vcc_lo
	v_add_co_ci_u32_e64 v52, null, s15, v8, s2
	v_mul_lo_u32 v12, s11, v11
	v_mul_lo_u32 v13, s10, v7
	v_mad_u64_u32 v[7:8], null, s10, v11, 0
	v_mul_lo_u32 v11, s11, v9
	v_mul_lo_u32 v14, s10, v10
	v_mad_u64_u32 v[9:10], null, s10, v9, 0
	v_add_co_u32 v53, vcc_lo, s12, v0
	v_add_co_ci_u32_e64 v54, null, s13, v1, vcc_lo
	v_add_co_u32 v55, vcc_lo, s14, v0
	v_add_co_ci_u32_e64 v56, null, s15, v1, vcc_lo
	v_add3_u32 v10, v10, v14, v11
	v_add_co_u32 v11, vcc_lo, v5, 26
	v_add3_u32 v8, v8, v13, v12
	v_add_co_ci_u32_e64 v12, null, 0, v6, vcc_lo
	v_mul_lo_u32 v13, s11, v11
	s_mul_i32 s22, s10, s27
	v_lshlrev_b64 v[0:1], 2, v[7:8]
	v_lshlrev_b64 v[7:8], 2, v[9:10]
	v_mul_lo_u32 v12, s10, v12
	v_mad_u64_u32 v[9:10], null, s10, v11, 0
	v_add_co_u32 v57, vcc_lo, s12, v0
	v_add_co_ci_u32_e64 v58, null, s13, v1, vcc_lo
	v_add_co_u32 v59, vcc_lo, s14, v0
	v_add3_u32 v10, v10, v12, v13
	v_add_co_ci_u32_e64 v60, null, s15, v1, vcc_lo
	v_add_co_u32 v61, vcc_lo, s12, v7
	v_add_co_ci_u32_e64 v62, null, s13, v8, vcc_lo
	v_add_co_u32 v11, vcc_lo, v5, 25
	v_add_co_u32 v63, s2, s14, v7
	v_lshlrev_b64 v[0:1], 2, v[9:10]
	v_add_co_ci_u32_e64 v7, null, 0, v6, vcc_lo
	v_add_co_u32 v9, vcc_lo, v5, 24
	v_add_co_ci_u32_e64 v10, null, 0, v6, vcc_lo
	v_add_co_ci_u32_e64 v64, null, s15, v8, s2
	v_mul_lo_u32 v12, s11, v11
	v_mul_lo_u32 v13, s10, v7
	v_mad_u64_u32 v[7:8], null, s10, v11, 0
	v_mul_lo_u32 v11, s11, v9
	v_mul_lo_u32 v14, s10, v10
	v_mad_u64_u32 v[9:10], null, s10, v9, 0
	v_add_co_u32 v65, vcc_lo, s12, v0
	v_add_co_ci_u32_e64 v66, null, s13, v1, vcc_lo
	v_add_co_u32 v67, vcc_lo, s14, v0
	v_add_co_ci_u32_e64 v68, null, s15, v1, vcc_lo
	v_add3_u32 v10, v10, v14, v11
	v_add_co_u32 v11, vcc_lo, v5, 23
	v_add3_u32 v8, v8, v13, v12
	v_add_co_ci_u32_e64 v12, null, 0, v6, vcc_lo
	v_mul_lo_u32 v13, s11, v11
	v_lshlrev_b64 v[0:1], 2, v[7:8]
	v_lshlrev_b64 v[7:8], 2, v[9:10]
	v_mul_lo_u32 v12, s10, v12
	v_mad_u64_u32 v[9:10], null, s10, v11, 0
	v_add_co_u32 v69, vcc_lo, s12, v0
	v_add_co_ci_u32_e64 v70, null, s13, v1, vcc_lo
	v_add_co_u32 v71, vcc_lo, s14, v0
	v_add3_u32 v10, v10, v12, v13
	v_add_co_ci_u32_e64 v72, null, s15, v1, vcc_lo
	v_add_co_u32 v73, vcc_lo, s12, v7
	v_add_co_ci_u32_e64 v74, null, s13, v8, vcc_lo
	v_add_co_u32 v11, vcc_lo, v5, 22
	v_add_co_u32 v75, s2, s14, v7
	v_lshlrev_b64 v[0:1], 2, v[9:10]
	v_add_co_ci_u32_e64 v7, null, 0, v6, vcc_lo
	v_add_co_u32 v9, vcc_lo, v5, 21
	v_add_co_ci_u32_e64 v10, null, 0, v6, vcc_lo
	v_add_co_ci_u32_e64 v76, null, s15, v8, s2
	v_mul_lo_u32 v12, s11, v11
	v_mul_lo_u32 v13, s10, v7
	v_mad_u64_u32 v[7:8], null, s10, v11, 0
	v_mul_lo_u32 v11, s11, v9
	v_mul_lo_u32 v14, s10, v10
	v_mad_u64_u32 v[9:10], null, s10, v9, 0
	v_add_co_u32 v77, vcc_lo, s12, v0
	v_add_co_ci_u32_e64 v78, null, s13, v1, vcc_lo
	v_add_co_u32 v79, vcc_lo, s14, v0
	v_add_co_ci_u32_e64 v80, null, s15, v1, vcc_lo
	v_add3_u32 v10, v10, v14, v11
	v_add_co_u32 v11, vcc_lo, v5, 20
	v_add3_u32 v8, v8, v13, v12
	v_add_co_ci_u32_e64 v12, null, 0, v6, vcc_lo
	v_mul_lo_u32 v13, s11, v11
	;; [unrolled: 33-line block ×4, first 2 shown]
	v_lshlrev_b64 v[0:1], 2, v[7:8]
	v_lshlrev_b64 v[7:8], 2, v[9:10]
	v_mul_lo_u32 v12, s10, v12
	v_mad_u64_u32 v[9:10], null, s10, v11, 0
	v_add_co_u32 v105, vcc_lo, s12, v0
	v_add_co_ci_u32_e64 v106, null, s13, v1, vcc_lo
	v_add_co_u32 v107, vcc_lo, s14, v0
	v_add3_u32 v10, v10, v12, v13
	v_add_co_ci_u32_e64 v108, null, s15, v1, vcc_lo
	v_add_co_u32 v109, vcc_lo, s12, v7
	v_add_co_ci_u32_e64 v110, null, s13, v8, vcc_lo
	v_add_co_u32 v11, vcc_lo, v5, 13
	v_add_co_u32 v111, s2, s14, v7
	v_lshlrev_b64 v[0:1], 2, v[9:10]
	v_add_co_ci_u32_e64 v7, null, 0, v6, vcc_lo
	v_add_co_u32 v9, vcc_lo, v5, 12
	v_add_co_ci_u32_e64 v10, null, 0, v6, vcc_lo
	v_add_co_ci_u32_e64 v112, null, s15, v8, s2
	v_mul_lo_u32 v12, s11, v11
	v_mul_lo_u32 v13, s10, v7
	v_mad_u64_u32 v[7:8], null, s10, v11, 0
	v_mul_lo_u32 v11, s11, v9
	v_mul_lo_u32 v14, s10, v10
	v_mad_u64_u32 v[9:10], null, s10, v9, 0
	v_add_co_u32 v113, vcc_lo, s12, v0
	v_add_co_ci_u32_e64 v114, null, s13, v1, vcc_lo
	v_add_co_u32 v115, vcc_lo, s14, v0
	v_add3_u32 v8, v8, v13, v12
	v_add_co_ci_u32_e64 v116, null, s15, v1, vcc_lo
	v_add3_u32 v10, v10, v14, v11
	v_add_co_u32 v11, vcc_lo, v5, 11
	v_add_co_ci_u32_e64 v12, null, 0, v6, vcc_lo
	v_lshlrev_b64 v[0:1], 2, v[7:8]
	v_lshlrev_b64 v[7:8], 2, v[9:10]
	v_mul_lo_u32 v13, s11, v11
	v_mul_lo_u32 v12, s10, v12
	v_mad_u64_u32 v[9:10], null, s10, v11, 0
	v_add_co_u32 v117, vcc_lo, s12, v0
	v_add_co_ci_u32_e64 v118, null, s13, v1, vcc_lo
	v_add_co_u32 v119, vcc_lo, s14, v0
	v_add_co_ci_u32_e64 v120, null, s15, v1, vcc_lo
	v_add_co_u32 v121, vcc_lo, s12, v7
	v_add3_u32 v10, v10, v12, v13
	v_add_co_ci_u32_e64 v122, null, s13, v8, vcc_lo
	v_add_co_u32 v11, vcc_lo, v5, 10
	v_add_co_u32 v123, s2, s14, v7
	v_add_co_ci_u32_e64 v7, null, 0, v6, vcc_lo
	v_lshlrev_b64 v[0:1], 2, v[9:10]
	v_add_co_u32 v9, vcc_lo, v5, 9
	v_add_co_ci_u32_e64 v10, null, 0, v6, vcc_lo
	v_add_co_ci_u32_e64 v124, null, s15, v8, s2
	v_mul_lo_u32 v12, s11, v11
	v_mul_lo_u32 v13, s10, v7
	v_mad_u64_u32 v[7:8], null, s10, v11, 0
	v_mul_lo_u32 v11, s11, v9
	v_mul_lo_u32 v14, s10, v10
	v_mad_u64_u32 v[9:10], null, s10, v9, 0
	v_add_co_u32 v125, vcc_lo, s12, v0
	v_add3_u32 v8, v8, v13, v12
	v_add_co_ci_u32_e64 v126, null, s13, v1, vcc_lo
	v_add_co_u32 v127, vcc_lo, s14, v0
	v_add_co_ci_u32_e64 v128, null, s15, v1, vcc_lo
	v_add3_u32 v10, v10, v14, v11
	v_add_co_u32 v11, vcc_lo, v5, 8
	v_lshlrev_b64 v[0:1], 2, v[7:8]
	v_add_co_ci_u32_e64 v12, null, 0, v6, vcc_lo
	v_lshlrev_b64 v[7:8], 2, v[9:10]
	v_mul_lo_u32 v13, s11, v11
	v_mad_u64_u32 v[9:10], null, s10, v11, 0
	v_add_co_u32 v129, vcc_lo, s12, v0
	v_mul_lo_u32 v12, s10, v12
	v_add_co_ci_u32_e64 v130, null, s13, v1, vcc_lo
	v_add_co_u32 v131, vcc_lo, s14, v0
	v_add_co_ci_u32_e64 v132, null, s15, v1, vcc_lo
	v_add_co_u32 v133, vcc_lo, s12, v7
	;; [unrolled: 2-line block ×3, first 2 shown]
	v_add3_u32 v10, v10, v12, v13
	v_add_co_ci_u32_e64 v1, null, 0, v6, vcc_lo
	v_add_co_u32 v11, vcc_lo, v5, 6
	v_add_co_u32 v135, s2, s14, v7
	v_add_co_ci_u32_e64 v12, null, 0, v6, vcc_lo
	v_add_co_ci_u32_e64 v136, null, s15, v8, s2
	v_lshlrev_b64 v[7:8], 2, v[9:10]
	v_mul_lo_u32 v13, s11, v0
	v_mul_lo_u32 v14, s10, v1
	v_mad_u64_u32 v[9:10], null, s10, v0, 0
	v_mul_lo_u32 v15, s11, v11
	v_mul_lo_u32 v16, s10, v12
	v_mad_u64_u32 v[11:12], null, s10, v11, 0
	v_add_co_u32 v0, vcc_lo, s12, v7
	v_add3_u32 v10, v10, v14, v13
	v_add_co_ci_u32_e64 v1, null, s13, v8, vcc_lo
	v_add_co_u32 v137, vcc_lo, s14, v7
	v_add_co_ci_u32_e64 v138, null, s15, v8, vcc_lo
	v_add3_u32 v12, v12, v16, v15
	v_add_co_u32 v13, vcc_lo, v5, 5
	v_lshlrev_b64 v[7:8], 2, v[9:10]
	v_add_co_ci_u32_e64 v14, null, 0, v6, vcc_lo
	v_lshlrev_b64 v[9:10], 2, v[11:12]
	v_mul_lo_u32 v15, s11, v13
	v_mad_u64_u32 v[11:12], null, s10, v13, 0
	v_add_co_u32 v139, vcc_lo, s12, v7
	v_mul_lo_u32 v14, s10, v14
	v_add_co_ci_u32_e64 v140, null, s13, v8, vcc_lo
	v_add_co_u32 v141, vcc_lo, s14, v7
	v_add_co_ci_u32_e64 v142, null, s15, v8, vcc_lo
	v_add_co_u32 v143, vcc_lo, s12, v9
	;; [unrolled: 2-line block ×3, first 2 shown]
	v_add3_u32 v12, v12, v14, v15
	v_add_co_u32 v145, s2, s14, v9
	v_add_co_ci_u32_e64 v9, null, 0, v6, vcc_lo
	v_add_co_ci_u32_e64 v146, null, s15, v10, s2
	v_lshlrev_b64 v[7:8], 2, v[11:12]
	v_mul_lo_u32 v14, s11, v13
	v_add_co_u32 v11, vcc_lo, v5, 3
	v_mul_lo_u32 v15, s10, v9
	v_mad_u64_u32 v[9:10], null, s10, v13, 0
	v_add_co_ci_u32_e64 v12, null, 0, v6, vcc_lo
	v_mul_lo_u32 v13, s11, v11
	v_add_co_u32 v147, vcc_lo, s12, v7
	v_mul_lo_u32 v16, s10, v12
	v_mad_u64_u32 v[11:12], null, s10, v11, 0
	v_add3_u32 v10, v10, v15, v14
	v_add_co_ci_u32_e64 v148, null, s13, v8, vcc_lo
	v_add_co_u32 v149, vcc_lo, s14, v7
	v_add_co_ci_u32_e64 v150, null, s15, v8, vcc_lo
	v_lshlrev_b64 v[7:8], 2, v[9:10]
	v_add_co_u32 v9, vcc_lo, v5, 2
	v_add3_u32 v12, v12, v16, v13
	v_add_co_ci_u32_e64 v10, null, 0, v6, vcc_lo
	v_add_co_u32 v151, vcc_lo, s12, v7
	v_lshlrev_b64 v[5:6], 2, v[11:12]
	v_mul_lo_u32 v11, s11, v9
	v_mul_lo_u32 v12, s10, v10
	v_mad_u64_u32 v[9:10], null, s10, v9, 0
	v_add_co_ci_u32_e64 v152, null, s13, v8, vcc_lo
	v_add_co_u32 v153, vcc_lo, s14, v7
	v_add_co_ci_u32_e64 v154, null, s15, v8, vcc_lo
	v_add_co_u32 v155, vcc_lo, s12, v5
	v_add_co_ci_u32_e64 v156, null, s13, v6, vcc_lo
	v_add3_u32 v10, v10, v12, v11
	v_add_co_u32 v157, vcc_lo, s14, v5
	v_add_co_ci_u32_e64 v158, null, s15, v6, vcc_lo
	v_add_co_u32 v3, vcc_lo, v3, s10
	v_add_co_ci_u32_e64 v4, null, s11, v4, vcc_lo
	v_lshlrev_b64 v[5:6], 2, v[9:10]
	s_lshl_b64 s[2:3], s[22:23], 2
	s_mov_b64 s[22:23], 31
	v_lshlrev_b64 v[3:4], 2, v[3:4]
	v_add_co_u32 v159, vcc_lo, s12, v5
	v_add_co_ci_u32_e64 v160, null, s13, v6, vcc_lo
	v_add_co_u32 v161, vcc_lo, s14, v5
	v_add_co_ci_u32_e64 v162, null, s15, v6, vcc_lo
	v_add_co_u32 v163, vcc_lo, s12, v3
	v_add_co_ci_u32_e64 v164, null, s13, v4, vcc_lo
	v_add_co_u32 v165, vcc_lo, s14, v3
	v_add_co_ci_u32_e64 v166, null, s15, v4, vcc_lo
.LBB143_3:                              ; =>This Inner Loop Header: Depth=1
	s_add_u32 s28, s18, s22
	s_addc_u32 s29, 0, s23
	v_add_co_u32 v37, vcc_lo, s18, v39
	v_cmp_ge_i64_e64 s28, s[28:29], s[8:9]
	v_add_co_ci_u32_e64 v38, null, 0, v40, vcc_lo
                                        ; implicit-def: $vgpr3_vgpr4_vgpr5_vgpr6_vgpr7_vgpr8_vgpr9_vgpr10_vgpr11_vgpr12_vgpr13_vgpr14_vgpr15_vgpr16_vgpr17_vgpr18_vgpr19_vgpr20_vgpr21_vgpr22_vgpr23_vgpr24_vgpr25_vgpr26_vgpr27_vgpr28_vgpr29_vgpr30_vgpr31_vgpr32_vgpr33_vgpr34
                                        ; implicit-def: $vgpr202
                                        ; implicit-def: $vgpr192
                                        ; implicit-def: $vgpr3
	s_and_b32 vcc_lo, exec_lo, s28
	s_mov_b32 s28, -1
	s_cbranch_vccz .LBB143_71
; %bb.4:                                ;   in Loop: Header=BB143_3 Depth=1
	s_load_dword s28, s[20:21], 0xc
	v_mov_b32_e32 v169, 0
	v_mov_b32_e32 v168, 0
	s_waitcnt lgkmcnt(0)
	s_and_b32 s28, s28, 0xffff
	v_mad_u32_u24 v3, v223, s28, v224
	s_mov_b32 s28, exec_lo
	v_and_b32_e32 v3, 31, v3
	v_add_co_u32 v3, vcc_lo, v37, v3
	v_add_co_ci_u32_e64 v4, null, 0, v38, vcc_lo
	v_cmpx_gt_i64_e64 s[8:9], v[3:4]
	s_cbranch_execz .LBB143_6
; %bb.5:                                ;   in Loop: Header=BB143_3 Depth=1
	v_lshlrev_b64 v[3:4], 2, v[3:4]
	v_add_co_u32 v3, vcc_lo, s16, v3
	v_add_co_ci_u32_e64 v4, null, s17, v4, vcc_lo
	global_load_dword v168, v[3:4], off
.LBB143_6:                              ;   in Loop: Header=BB143_3 Depth=1
	s_or_b32 exec_lo, exec_lo, s28
	v_mov_b32_e32 v33, v2
	v_cmp_gt_i64_e32 vcc_lo, s[8:9], v[37:38]
	v_mov_b32_e32 v3, v2
	v_mov_b32_e32 v4, v2
	;; [unrolled: 1-line block ×62, first 2 shown]
	s_and_b32 s29, s1, vcc_lo
	s_and_saveexec_b32 s28, s29
	s_cbranch_execz .LBB143_8
; %bb.7:                                ;   in Loop: Header=BB143_3 Depth=1
	v_add_co_u32 v3, vcc_lo, v41, v35
	v_add_co_ci_u32_e64 v4, null, v42, v36, vcc_lo
	v_add_co_u32 v5, vcc_lo, v43, v35
	v_add_co_ci_u32_e64 v6, null, v44, v36, vcc_lo
	global_load_dword v3, v[3:4], off
	global_load_dword v169, v[5:6], off
	v_mov_b32_e32 v4, v2
	v_mov_b32_e32 v5, v2
	;; [unrolled: 1-line block ×31, first 2 shown]
.LBB143_8:                              ;   in Loop: Header=BB143_3 Depth=1
	s_or_b32 exec_lo, exec_lo, s28
	v_add_co_u32 v170, vcc_lo, v37, 1
	v_add_co_ci_u32_e64 v171, null, 0, v38, vcc_lo
	v_cmp_gt_i64_e32 vcc_lo, s[8:9], v[170:171]
	v_mov_b32_e32 v170, 0
	v_mov_b32_e32 v171, 0
	s_and_b32 s29, s1, vcc_lo
	s_and_saveexec_b32 s28, s29
	s_cbranch_execz .LBB143_10
; %bb.9:                                ;   in Loop: Header=BB143_3 Depth=1
	v_add_co_u32 v171, vcc_lo, v163, v35
	v_add_co_ci_u32_e64 v172, null, v164, v36, vcc_lo
	v_add_co_u32 v173, vcc_lo, v165, v35
	v_add_co_ci_u32_e64 v174, null, v166, v36, vcc_lo
	global_load_dword v4, v[171:172], off
	global_load_dword v171, v[173:174], off
.LBB143_10:                             ;   in Loop: Header=BB143_3 Depth=1
	s_or_b32 exec_lo, exec_lo, s28
	v_add_co_u32 v172, vcc_lo, v37, 2
	v_add_co_ci_u32_e64 v173, null, 0, v38, vcc_lo
	v_cmp_gt_i64_e32 vcc_lo, s[8:9], v[172:173]
	s_and_b32 s29, s1, vcc_lo
	s_and_saveexec_b32 s28, s29
	s_cbranch_execz .LBB143_12
; %bb.11:                               ;   in Loop: Header=BB143_3 Depth=1
	v_add_co_u32 v172, vcc_lo, v159, v35
	v_add_co_ci_u32_e64 v173, null, v160, v36, vcc_lo
	v_add_co_u32 v174, vcc_lo, v161, v35
	v_add_co_ci_u32_e64 v175, null, v162, v36, vcc_lo
	global_load_dword v5, v[172:173], off
	global_load_dword v170, v[174:175], off
.LBB143_12:                             ;   in Loop: Header=BB143_3 Depth=1
	s_or_b32 exec_lo, exec_lo, s28
	v_add_co_u32 v172, vcc_lo, v37, 3
	v_add_co_ci_u32_e64 v173, null, 0, v38, vcc_lo
	v_cmp_gt_i64_e32 vcc_lo, s[8:9], v[172:173]
	v_mov_b32_e32 v172, 0
	v_mov_b32_e32 v173, 0
	s_and_b32 s29, s1, vcc_lo
	s_and_saveexec_b32 s28, s29
	s_cbranch_execz .LBB143_14
; %bb.13:                               ;   in Loop: Header=BB143_3 Depth=1
	v_add_co_u32 v173, vcc_lo, v155, v35
	v_add_co_ci_u32_e64 v174, null, v156, v36, vcc_lo
	v_add_co_u32 v175, vcc_lo, v157, v35
	v_add_co_ci_u32_e64 v176, null, v158, v36, vcc_lo
	global_load_dword v6, v[173:174], off
	global_load_dword v173, v[175:176], off
.LBB143_14:                             ;   in Loop: Header=BB143_3 Depth=1
	s_or_b32 exec_lo, exec_lo, s28
	v_add_co_u32 v174, vcc_lo, v37, 4
	v_add_co_ci_u32_e64 v175, null, 0, v38, vcc_lo
	v_cmp_gt_i64_e32 vcc_lo, s[8:9], v[174:175]
	s_and_b32 s29, s1, vcc_lo
	s_and_saveexec_b32 s28, s29
	s_cbranch_execz .LBB143_16
; %bb.15:                               ;   in Loop: Header=BB143_3 Depth=1
	v_add_co_u32 v174, vcc_lo, v151, v35
	v_add_co_ci_u32_e64 v175, null, v152, v36, vcc_lo
	v_add_co_u32 v176, vcc_lo, v153, v35
	v_add_co_ci_u32_e64 v177, null, v154, v36, vcc_lo
	global_load_dword v7, v[174:175], off
	global_load_dword v172, v[176:177], off
.LBB143_16:                             ;   in Loop: Header=BB143_3 Depth=1
	s_or_b32 exec_lo, exec_lo, s28
	v_add_co_u32 v174, vcc_lo, v37, 5
	v_add_co_ci_u32_e64 v175, null, 0, v38, vcc_lo
	v_cmp_gt_i64_e32 vcc_lo, s[8:9], v[174:175]
	v_mov_b32_e32 v174, 0
	v_mov_b32_e32 v175, 0
	s_and_b32 s29, s1, vcc_lo
	s_and_saveexec_b32 s28, s29
	s_cbranch_execz .LBB143_18
; %bb.17:                               ;   in Loop: Header=BB143_3 Depth=1
	v_add_co_u32 v175, vcc_lo, v147, v35
	v_add_co_ci_u32_e64 v176, null, v148, v36, vcc_lo
	v_add_co_u32 v177, vcc_lo, v149, v35
	v_add_co_ci_u32_e64 v178, null, v150, v36, vcc_lo
	global_load_dword v8, v[175:176], off
	global_load_dword v175, v[177:178], off
.LBB143_18:                             ;   in Loop: Header=BB143_3 Depth=1
	;; [unrolled: 32-line block ×10, first 2 shown]
	s_or_b32 exec_lo, exec_lo, s28
	v_add_co_u32 v192, vcc_lo, v37, 22
	v_add_co_ci_u32_e64 v193, null, 0, v38, vcc_lo
	v_cmp_gt_i64_e32 vcc_lo, s[8:9], v[192:193]
	s_and_b32 s29, s1, vcc_lo
	s_and_saveexec_b32 s28, s29
	s_cbranch_execz .LBB143_52
; %bb.51:                               ;   in Loop: Header=BB143_3 Depth=1
	v_add_co_u32 v192, vcc_lo, v81, v35
	v_add_co_ci_u32_e64 v193, null, v82, v36, vcc_lo
	v_add_co_u32 v194, vcc_lo, v83, v35
	v_add_co_ci_u32_e64 v195, null, v84, v36, vcc_lo
	global_load_dword v25, v[192:193], off
	global_load_dword v190, v[194:195], off
.LBB143_52:                             ;   in Loop: Header=BB143_3 Depth=1
	s_or_b32 exec_lo, exec_lo, s28
	v_add_co_u32 v192, vcc_lo, v37, 23
	v_add_co_ci_u32_e64 v193, null, 0, v38, vcc_lo
	v_mov_b32_e32 v194, 0
	v_cmp_gt_i64_e32 vcc_lo, s[8:9], v[192:193]
	v_mov_b32_e32 v193, 0
	s_and_b32 s29, s1, vcc_lo
	s_and_saveexec_b32 s28, s29
	s_cbranch_execz .LBB143_54
; %bb.53:                               ;   in Loop: Header=BB143_3 Depth=1
	v_add_co_u32 v194, vcc_lo, v77, v35
	v_add_co_ci_u32_e64 v195, null, v78, v36, vcc_lo
	v_add_co_u32 v196, vcc_lo, v79, v35
	v_add_co_ci_u32_e64 v197, null, v80, v36, vcc_lo
	global_load_dword v26, v[194:195], off
	global_load_dword v194, v[196:197], off
.LBB143_54:                             ;   in Loop: Header=BB143_3 Depth=1
	s_or_b32 exec_lo, exec_lo, s28
	v_add_co_u32 v195, vcc_lo, v37, 24
	v_add_co_ci_u32_e64 v196, null, 0, v38, vcc_lo
	v_cmp_gt_i64_e32 vcc_lo, s[8:9], v[195:196]
	s_and_b32 s29, s1, vcc_lo
	s_and_saveexec_b32 s28, s29
	s_cbranch_execz .LBB143_56
; %bb.55:                               ;   in Loop: Header=BB143_3 Depth=1
	v_add_co_u32 v192, vcc_lo, v73, v35
	v_add_co_ci_u32_e64 v193, null, v74, v36, vcc_lo
	v_add_co_u32 v195, vcc_lo, v75, v35
	v_add_co_ci_u32_e64 v196, null, v76, v36, vcc_lo
	global_load_dword v27, v[192:193], off
	global_load_dword v193, v[195:196], off
.LBB143_56:                             ;   in Loop: Header=BB143_3 Depth=1
	s_or_b32 exec_lo, exec_lo, s28
	v_add_co_u32 v195, vcc_lo, v37, 25
	v_add_co_ci_u32_e64 v196, null, 0, v38, vcc_lo
	v_cmp_gt_i64_e32 vcc_lo, s[8:9], v[195:196]
	v_mov_b32_e32 v195, 0
	v_mov_b32_e32 v196, 0
	s_and_b32 s29, s1, vcc_lo
	s_and_saveexec_b32 s28, s29
	s_cbranch_execz .LBB143_58
; %bb.57:                               ;   in Loop: Header=BB143_3 Depth=1
	v_add_co_u32 v196, vcc_lo, v69, v35
	v_add_co_ci_u32_e64 v197, null, v70, v36, vcc_lo
	v_add_co_u32 v198, vcc_lo, v71, v35
	v_add_co_ci_u32_e64 v199, null, v72, v36, vcc_lo
	global_load_dword v28, v[196:197], off
	global_load_dword v196, v[198:199], off
.LBB143_58:                             ;   in Loop: Header=BB143_3 Depth=1
	s_or_b32 exec_lo, exec_lo, s28
	v_add_co_u32 v197, vcc_lo, v37, 26
	v_add_co_ci_u32_e64 v198, null, 0, v38, vcc_lo
	v_cmp_gt_i64_e32 vcc_lo, s[8:9], v[197:198]
	s_and_b32 s29, s1, vcc_lo
	s_and_saveexec_b32 s28, s29
	s_cbranch_execz .LBB143_60
; %bb.59:                               ;   in Loop: Header=BB143_3 Depth=1
	v_add_co_u32 v197, vcc_lo, v65, v35
	v_add_co_ci_u32_e64 v198, null, v66, v36, vcc_lo
	v_add_co_u32 v199, vcc_lo, v67, v35
	v_add_co_ci_u32_e64 v200, null, v68, v36, vcc_lo
	global_load_dword v29, v[197:198], off
	global_load_dword v195, v[199:200], off
.LBB143_60:                             ;   in Loop: Header=BB143_3 Depth=1
	s_or_b32 exec_lo, exec_lo, s28
	v_add_co_u32 v197, vcc_lo, v37, 27
	v_add_co_ci_u32_e64 v198, null, 0, v38, vcc_lo
	v_cmp_gt_i64_e32 vcc_lo, s[8:9], v[197:198]
	v_mov_b32_e32 v197, 0
	;; [unrolled: 32-line block ×3, first 2 shown]
	v_mov_b32_e32 v200, 0
	s_and_b32 s29, s1, vcc_lo
	s_and_saveexec_b32 s28, s29
	s_cbranch_execz .LBB143_66
; %bb.65:                               ;   in Loop: Header=BB143_3 Depth=1
	v_add_co_u32 v200, vcc_lo, v53, v35
	v_add_co_ci_u32_e64 v201, null, v54, v36, vcc_lo
	v_add_co_u32 v202, vcc_lo, v55, v35
	v_add_co_ci_u32_e64 v203, null, v56, v36, vcc_lo
	global_load_dword v32, v[200:201], off
	global_load_dword v200, v[202:203], off
.LBB143_66:                             ;   in Loop: Header=BB143_3 Depth=1
	s_or_b32 exec_lo, exec_lo, s28
	v_add_co_u32 v201, vcc_lo, v37, 30
	v_add_co_ci_u32_e64 v202, null, 0, v38, vcc_lo
	v_cmp_gt_i64_e32 vcc_lo, s[8:9], v[201:202]
	s_and_b32 s29, s1, vcc_lo
	s_and_saveexec_b32 s28, s29
	s_cbranch_execz .LBB143_68
; %bb.67:                               ;   in Loop: Header=BB143_3 Depth=1
	v_add_co_u32 v201, vcc_lo, v49, v35
	v_add_co_ci_u32_e64 v202, null, v50, v36, vcc_lo
	v_add_co_u32 v203, vcc_lo, v51, v35
	v_add_co_ci_u32_e64 v204, null, v52, v36, vcc_lo
	global_load_dword v33, v[201:202], off
	global_load_dword v199, v[203:204], off
.LBB143_68:                             ;   in Loop: Header=BB143_3 Depth=1
	s_or_b32 exec_lo, exec_lo, s28
	v_add_co_u32 v201, vcc_lo, v37, 31
	v_add_co_ci_u32_e64 v202, null, 0, v38, vcc_lo
	v_mov_b32_e32 v192, 0
	v_cmp_gt_i64_e32 vcc_lo, s[8:9], v[201:202]
	s_and_b32 s29, s1, vcc_lo
	s_and_saveexec_b32 s28, s29
	s_cbranch_execz .LBB143_70
; %bb.69:                               ;   in Loop: Header=BB143_3 Depth=1
	v_add_co_u32 v201, vcc_lo, v45, v35
	v_add_co_ci_u32_e64 v202, null, v46, v36, vcc_lo
	v_add_co_u32 v203, vcc_lo, v47, v35
	v_add_co_ci_u32_e64 v204, null, v48, v36, vcc_lo
	global_load_dword v34, v[201:202], off
	global_load_dword v192, v[203:204], off
.LBB143_70:                             ;   in Loop: Header=BB143_3 Depth=1
	s_or_b32 exec_lo, exec_lo, s28
	s_waitcnt vmcnt(0)
	ds_bpermute_b32 v201, v2, v168
	ds_bpermute_b32 v203, v2, v168 offset:4
	ds_bpermute_b32 v204, v2, v168 offset:8
	v_mul_f32_e32 v3, v169, v3
	ds_bpermute_b32 v169, v2, v168 offset:12
	v_mul_f32_e32 v4, v171, v4
	ds_bpermute_b32 v171, v2, v168 offset:16
	s_mov_b32 s28, 0
	s_waitcnt lgkmcnt(4)
	v_fma_f32 v202, v3, v201, v167
	v_mul_f32_e32 v3, v170, v5
	ds_bpermute_b32 v5, v2, v168 offset:20
	s_waitcnt lgkmcnt(4)
	v_fmac_f32_e32 v202, v4, v203
	v_mul_f32_e32 v4, v173, v6
	ds_bpermute_b32 v6, v2, v168 offset:24
	s_waitcnt lgkmcnt(4)
	v_fmac_f32_e32 v202, v3, v204
	;; [unrolled: 4-line block ×27, first 2 shown]
	v_mul_f32_e32 v4, v200, v32
	s_waitcnt lgkmcnt(3)
	v_fmac_f32_e32 v202, v6, v8
	s_waitcnt lgkmcnt(2)
	v_fmac_f32_e32 v202, v4, v9
	v_mul_f32_e32 v4, v199, v33
	s_waitcnt lgkmcnt(1)
	v_fmac_f32_e32 v202, v4, v5
.LBB143_71:                             ;   in Loop: Header=BB143_3 Depth=1
	s_and_b32 vcc_lo, exec_lo, s28
	s_cbranch_vccz .LBB143_137
; %bb.72:                               ;   in Loop: Header=BB143_3 Depth=1
	s_load_dword s28, s[20:21], 0x0
	s_waitcnt lgkmcnt(0)
	s_cmp_lt_u32 s6, s28
	s_cselect_b32 s28, 12, 18
	s_add_u32 s28, s20, s28
	s_addc_u32 s29, s21, 0
	global_load_ushort v3, v2, s[28:29]
	s_mov_b32 s28, exec_lo
	s_waitcnt vmcnt(0)
	v_mad_u32_u24 v3, v223, v3, v224
	v_and_b32_e32 v3, 31, v3
	v_add_co_u32 v3, vcc_lo, v37, v3
	v_add_co_ci_u32_e64 v4, null, 0, v38, vcc_lo
	v_mov_b32_e32 v38, 0
	v_mov_b32_e32 v37, 0
	v_cmpx_gt_i64_e64 s[8:9], v[3:4]
	s_cbranch_execz .LBB143_74
; %bb.73:                               ;   in Loop: Header=BB143_3 Depth=1
	v_lshlrev_b64 v[3:4], 2, v[3:4]
	v_add_co_u32 v3, vcc_lo, s16, v3
	v_add_co_ci_u32_e64 v4, null, s17, v4, vcc_lo
	global_load_dword v37, v[3:4], off
.LBB143_74:                             ;   in Loop: Header=BB143_3 Depth=1
	s_or_b32 exec_lo, exec_lo, s28
	v_mov_b32_e32 v33, v2
	v_mov_b32_e32 v3, v2
	v_mov_b32_e32 v4, v2
	v_mov_b32_e32 v5, v2
	v_mov_b32_e32 v6, v2
	v_mov_b32_e32 v7, v2
	v_mov_b32_e32 v8, v2
	v_mov_b32_e32 v9, v2
	v_mov_b32_e32 v10, v2
	v_mov_b32_e32 v11, v2
	v_mov_b32_e32 v12, v2
	v_mov_b32_e32 v13, v2
	v_mov_b32_e32 v14, v2
	v_mov_b32_e32 v15, v2
	v_mov_b32_e32 v16, v2
	v_mov_b32_e32 v17, v2
	v_mov_b32_e32 v18, v2
	v_mov_b32_e32 v19, v2
	v_mov_b32_e32 v20, v2
	v_mov_b32_e32 v21, v2
	v_mov_b32_e32 v22, v2
	v_mov_b32_e32 v23, v2
	v_mov_b32_e32 v24, v2
	v_mov_b32_e32 v25, v2
	v_mov_b32_e32 v26, v2
	v_mov_b32_e32 v27, v2
	v_mov_b32_e32 v28, v2
	v_mov_b32_e32 v29, v2
	v_mov_b32_e32 v30, v2
	v_mov_b32_e32 v31, v2
	v_mov_b32_e32 v32, v2
	v_mov_b32_e32 v34, v33
	v_mov_b32_e32 v33, v32
	v_mov_b32_e32 v32, v31
	v_mov_b32_e32 v31, v30
	v_mov_b32_e32 v30, v29
	v_mov_b32_e32 v29, v28
	v_mov_b32_e32 v28, v27
	v_mov_b32_e32 v27, v26
	v_mov_b32_e32 v26, v25
	v_mov_b32_e32 v25, v24
	v_mov_b32_e32 v24, v23
	v_mov_b32_e32 v23, v22
	v_mov_b32_e32 v22, v21
	v_mov_b32_e32 v21, v20
	v_mov_b32_e32 v20, v19
	v_mov_b32_e32 v19, v18
	v_mov_b32_e32 v18, v17
	v_mov_b32_e32 v17, v16
	v_mov_b32_e32 v16, v15
	v_mov_b32_e32 v15, v14
	v_mov_b32_e32 v14, v13
	v_mov_b32_e32 v13, v12
	v_mov_b32_e32 v12, v11
	v_mov_b32_e32 v11, v10
	v_mov_b32_e32 v10, v9
	v_mov_b32_e32 v9, v8
	v_mov_b32_e32 v8, v7
	v_mov_b32_e32 v7, v6
	v_mov_b32_e32 v6, v5
	v_mov_b32_e32 v5, v4
	v_mov_b32_e32 v4, v3
	v_mov_b32_e32 v3, v2
	s_and_saveexec_b32 s28, s1
	s_cbranch_execz .LBB143_76
; %bb.75:                               ;   in Loop: Header=BB143_3 Depth=1
	v_add_co_u32 v3, vcc_lo, v41, v35
	v_add_co_ci_u32_e64 v4, null, v42, v36, vcc_lo
	v_add_co_u32 v5, vcc_lo, v43, v35
	v_add_co_ci_u32_e64 v6, null, v44, v36, vcc_lo
	global_load_dword v3, v[3:4], off
	global_load_dword v38, v[5:6], off
	v_mov_b32_e32 v4, v2
	v_mov_b32_e32 v5, v2
	;; [unrolled: 1-line block ×31, first 2 shown]
.LBB143_76:                             ;   in Loop: Header=BB143_3 Depth=1
	s_or_b32 exec_lo, exec_lo, s28
	v_mov_b32_e32 v168, 0
	v_mov_b32_e32 v169, 0
	s_and_saveexec_b32 s28, s1
	s_cbranch_execz .LBB143_78
; %bb.77:                               ;   in Loop: Header=BB143_3 Depth=1
	v_add_co_u32 v169, vcc_lo, v163, v35
	v_add_co_ci_u32_e64 v170, null, v164, v36, vcc_lo
	v_add_co_u32 v171, vcc_lo, v165, v35
	v_add_co_ci_u32_e64 v172, null, v166, v36, vcc_lo
	global_load_dword v4, v[169:170], off
	global_load_dword v169, v[171:172], off
.LBB143_78:                             ;   in Loop: Header=BB143_3 Depth=1
	s_or_b32 exec_lo, exec_lo, s28
	s_and_saveexec_b32 s28, s1
	s_cbranch_execz .LBB143_80
; %bb.79:                               ;   in Loop: Header=BB143_3 Depth=1
	v_add_co_u32 v170, vcc_lo, v159, v35
	v_add_co_ci_u32_e64 v171, null, v160, v36, vcc_lo
	v_add_co_u32 v172, vcc_lo, v161, v35
	v_add_co_ci_u32_e64 v173, null, v162, v36, vcc_lo
	global_load_dword v5, v[170:171], off
	global_load_dword v168, v[172:173], off
.LBB143_80:                             ;   in Loop: Header=BB143_3 Depth=1
	s_or_b32 exec_lo, exec_lo, s28
	v_mov_b32_e32 v170, 0
	v_mov_b32_e32 v171, 0
	s_and_saveexec_b32 s28, s1
	s_cbranch_execz .LBB143_82
; %bb.81:                               ;   in Loop: Header=BB143_3 Depth=1
	v_add_co_u32 v171, vcc_lo, v155, v35
	v_add_co_ci_u32_e64 v172, null, v156, v36, vcc_lo
	v_add_co_u32 v173, vcc_lo, v157, v35
	v_add_co_ci_u32_e64 v174, null, v158, v36, vcc_lo
	global_load_dword v6, v[171:172], off
	global_load_dword v171, v[173:174], off
.LBB143_82:                             ;   in Loop: Header=BB143_3 Depth=1
	s_or_b32 exec_lo, exec_lo, s28
	s_and_saveexec_b32 s28, s1
	s_cbranch_execz .LBB143_84
; %bb.83:                               ;   in Loop: Header=BB143_3 Depth=1
	v_add_co_u32 v172, vcc_lo, v151, v35
	v_add_co_ci_u32_e64 v173, null, v152, v36, vcc_lo
	v_add_co_u32 v174, vcc_lo, v153, v35
	v_add_co_ci_u32_e64 v175, null, v154, v36, vcc_lo
	global_load_dword v7, v[172:173], off
	global_load_dword v170, v[174:175], off
.LBB143_84:                             ;   in Loop: Header=BB143_3 Depth=1
	s_or_b32 exec_lo, exec_lo, s28
	v_mov_b32_e32 v172, 0
	v_mov_b32_e32 v173, 0
	s_and_saveexec_b32 s28, s1
	s_cbranch_execz .LBB143_86
; %bb.85:                               ;   in Loop: Header=BB143_3 Depth=1
	v_add_co_u32 v173, vcc_lo, v147, v35
	v_add_co_ci_u32_e64 v174, null, v148, v36, vcc_lo
	v_add_co_u32 v175, vcc_lo, v149, v35
	v_add_co_ci_u32_e64 v176, null, v150, v36, vcc_lo
	global_load_dword v8, v[173:174], off
	global_load_dword v173, v[175:176], off
.LBB143_86:                             ;   in Loop: Header=BB143_3 Depth=1
	s_or_b32 exec_lo, exec_lo, s28
	s_and_saveexec_b32 s28, s1
	s_cbranch_execz .LBB143_88
; %bb.87:                               ;   in Loop: Header=BB143_3 Depth=1
	v_add_co_u32 v174, vcc_lo, v143, v35
	v_add_co_ci_u32_e64 v175, null, v144, v36, vcc_lo
	v_add_co_u32 v176, vcc_lo, v145, v35
	v_add_co_ci_u32_e64 v177, null, v146, v36, vcc_lo
	global_load_dword v9, v[174:175], off
	global_load_dword v172, v[176:177], off
.LBB143_88:                             ;   in Loop: Header=BB143_3 Depth=1
	s_or_b32 exec_lo, exec_lo, s28
	v_mov_b32_e32 v174, 0
	v_mov_b32_e32 v175, 0
	s_and_saveexec_b32 s28, s1
	s_cbranch_execz .LBB143_90
; %bb.89:                               ;   in Loop: Header=BB143_3 Depth=1
	v_add_co_u32 v175, vcc_lo, v139, v35
	v_add_co_ci_u32_e64 v176, null, v140, v36, vcc_lo
	v_add_co_u32 v177, vcc_lo, v141, v35
	v_add_co_ci_u32_e64 v178, null, v142, v36, vcc_lo
	global_load_dword v10, v[175:176], off
	global_load_dword v175, v[177:178], off
.LBB143_90:                             ;   in Loop: Header=BB143_3 Depth=1
	s_or_b32 exec_lo, exec_lo, s28
	s_and_saveexec_b32 s28, s1
	s_cbranch_execz .LBB143_92
; %bb.91:                               ;   in Loop: Header=BB143_3 Depth=1
	v_add_co_u32 v176, vcc_lo, v0, v35
	v_add_co_ci_u32_e64 v177, null, v1, v36, vcc_lo
	v_add_co_u32 v178, vcc_lo, v137, v35
	v_add_co_ci_u32_e64 v179, null, v138, v36, vcc_lo
	global_load_dword v11, v[176:177], off
	global_load_dword v174, v[178:179], off
.LBB143_92:                             ;   in Loop: Header=BB143_3 Depth=1
	s_or_b32 exec_lo, exec_lo, s28
	v_mov_b32_e32 v176, 0
	v_mov_b32_e32 v177, 0
	s_and_saveexec_b32 s28, s1
	s_cbranch_execz .LBB143_94
; %bb.93:                               ;   in Loop: Header=BB143_3 Depth=1
	v_add_co_u32 v177, vcc_lo, v133, v35
	v_add_co_ci_u32_e64 v178, null, v134, v36, vcc_lo
	v_add_co_u32 v179, vcc_lo, v135, v35
	v_add_co_ci_u32_e64 v180, null, v136, v36, vcc_lo
	global_load_dword v12, v[177:178], off
	global_load_dword v177, v[179:180], off
.LBB143_94:                             ;   in Loop: Header=BB143_3 Depth=1
	s_or_b32 exec_lo, exec_lo, s28
	s_and_saveexec_b32 s28, s1
	s_cbranch_execz .LBB143_96
; %bb.95:                               ;   in Loop: Header=BB143_3 Depth=1
	v_add_co_u32 v178, vcc_lo, v129, v35
	v_add_co_ci_u32_e64 v179, null, v130, v36, vcc_lo
	v_add_co_u32 v180, vcc_lo, v131, v35
	v_add_co_ci_u32_e64 v181, null, v132, v36, vcc_lo
	global_load_dword v13, v[178:179], off
	global_load_dword v176, v[180:181], off
.LBB143_96:                             ;   in Loop: Header=BB143_3 Depth=1
	s_or_b32 exec_lo, exec_lo, s28
	v_mov_b32_e32 v178, 0
	v_mov_b32_e32 v179, 0
	s_and_saveexec_b32 s28, s1
	s_cbranch_execz .LBB143_98
; %bb.97:                               ;   in Loop: Header=BB143_3 Depth=1
	v_add_co_u32 v179, vcc_lo, v125, v35
	v_add_co_ci_u32_e64 v180, null, v126, v36, vcc_lo
	v_add_co_u32 v181, vcc_lo, v127, v35
	v_add_co_ci_u32_e64 v182, null, v128, v36, vcc_lo
	global_load_dword v14, v[179:180], off
	global_load_dword v179, v[181:182], off
.LBB143_98:                             ;   in Loop: Header=BB143_3 Depth=1
	s_or_b32 exec_lo, exec_lo, s28
	s_and_saveexec_b32 s28, s1
	s_cbranch_execz .LBB143_100
; %bb.99:                               ;   in Loop: Header=BB143_3 Depth=1
	v_add_co_u32 v180, vcc_lo, v121, v35
	v_add_co_ci_u32_e64 v181, null, v122, v36, vcc_lo
	v_add_co_u32 v182, vcc_lo, v123, v35
	v_add_co_ci_u32_e64 v183, null, v124, v36, vcc_lo
	global_load_dword v15, v[180:181], off
	global_load_dword v178, v[182:183], off
.LBB143_100:                            ;   in Loop: Header=BB143_3 Depth=1
	s_or_b32 exec_lo, exec_lo, s28
	v_mov_b32_e32 v180, 0
	v_mov_b32_e32 v181, 0
	s_and_saveexec_b32 s28, s1
	s_cbranch_execz .LBB143_102
; %bb.101:                              ;   in Loop: Header=BB143_3 Depth=1
	v_add_co_u32 v181, vcc_lo, v117, v35
	v_add_co_ci_u32_e64 v182, null, v118, v36, vcc_lo
	v_add_co_u32 v183, vcc_lo, v119, v35
	v_add_co_ci_u32_e64 v184, null, v120, v36, vcc_lo
	global_load_dword v16, v[181:182], off
	global_load_dword v181, v[183:184], off
.LBB143_102:                            ;   in Loop: Header=BB143_3 Depth=1
	s_or_b32 exec_lo, exec_lo, s28
	s_and_saveexec_b32 s28, s1
	s_cbranch_execz .LBB143_104
; %bb.103:                              ;   in Loop: Header=BB143_3 Depth=1
	v_add_co_u32 v182, vcc_lo, v113, v35
	v_add_co_ci_u32_e64 v183, null, v114, v36, vcc_lo
	v_add_co_u32 v184, vcc_lo, v115, v35
	v_add_co_ci_u32_e64 v185, null, v116, v36, vcc_lo
	global_load_dword v17, v[182:183], off
	global_load_dword v180, v[184:185], off
.LBB143_104:                            ;   in Loop: Header=BB143_3 Depth=1
	s_or_b32 exec_lo, exec_lo, s28
	v_mov_b32_e32 v182, 0
	v_mov_b32_e32 v183, 0
	s_and_saveexec_b32 s28, s1
	s_cbranch_execz .LBB143_106
; %bb.105:                              ;   in Loop: Header=BB143_3 Depth=1
	v_add_co_u32 v183, vcc_lo, v109, v35
	v_add_co_ci_u32_e64 v184, null, v110, v36, vcc_lo
	v_add_co_u32 v185, vcc_lo, v111, v35
	v_add_co_ci_u32_e64 v186, null, v112, v36, vcc_lo
	global_load_dword v18, v[183:184], off
	global_load_dword v183, v[185:186], off
.LBB143_106:                            ;   in Loop: Header=BB143_3 Depth=1
	s_or_b32 exec_lo, exec_lo, s28
	s_and_saveexec_b32 s28, s1
	s_cbranch_execz .LBB143_108
; %bb.107:                              ;   in Loop: Header=BB143_3 Depth=1
	v_add_co_u32 v184, vcc_lo, v105, v35
	v_add_co_ci_u32_e64 v185, null, v106, v36, vcc_lo
	v_add_co_u32 v186, vcc_lo, v107, v35
	v_add_co_ci_u32_e64 v187, null, v108, v36, vcc_lo
	global_load_dword v19, v[184:185], off
	global_load_dword v182, v[186:187], off
.LBB143_108:                            ;   in Loop: Header=BB143_3 Depth=1
	;; [unrolled: 24-line block ×8, first 2 shown]
	s_or_b32 exec_lo, exec_lo, s28
	v_mov_b32_e32 v197, 0
	v_mov_b32_e32 v198, 0
	s_and_saveexec_b32 s28, s1
	s_cbranch_execnz .LBB143_139
; %bb.133:                              ;   in Loop: Header=BB143_3 Depth=1
	s_or_b32 exec_lo, exec_lo, s28
	s_and_saveexec_b32 s28, s1
	s_cbranch_execnz .LBB143_140
.LBB143_134:                            ;   in Loop: Header=BB143_3 Depth=1
	s_or_b32 exec_lo, exec_lo, s28
	v_mov_b32_e32 v192, 0
	s_and_saveexec_b32 s28, s1
	s_cbranch_execz .LBB143_136
.LBB143_135:                            ;   in Loop: Header=BB143_3 Depth=1
	v_add_co_u32 v199, vcc_lo, v45, v35
	v_add_co_ci_u32_e64 v200, null, v46, v36, vcc_lo
	v_add_co_u32 v201, vcc_lo, v47, v35
	v_add_co_ci_u32_e64 v202, null, v48, v36, vcc_lo
	global_load_dword v34, v[199:200], off
	global_load_dword v192, v[201:202], off
.LBB143_136:                            ;   in Loop: Header=BB143_3 Depth=1
	s_or_b32 exec_lo, exec_lo, s28
	s_waitcnt vmcnt(0)
	ds_bpermute_b32 v199, v2, v37
	ds_bpermute_b32 v200, v2, v37 offset:4
	ds_bpermute_b32 v201, v2, v37 offset:8
	v_mul_f32_e32 v3, v38, v3
	ds_bpermute_b32 v38, v2, v37 offset:12
	v_mul_f32_e32 v4, v169, v4
	ds_bpermute_b32 v169, v2, v37 offset:16
	s_waitcnt lgkmcnt(4)
	v_fmac_f32_e32 v167, v3, v199
	v_mul_f32_e32 v3, v168, v5
	ds_bpermute_b32 v5, v2, v37 offset:20
	s_waitcnt lgkmcnt(4)
	v_fmac_f32_e32 v167, v4, v200
	;; [unrolled: 4-line block ×27, first 2 shown]
	v_mul_f32_e32 v3, v195, v31
	s_waitcnt lgkmcnt(3)
	v_fmac_f32_e32 v167, v4, v7
	v_mul_f32_e32 v4, v198, v32
	s_waitcnt lgkmcnt(2)
	v_fmac_f32_e32 v167, v3, v8
	ds_bpermute_b32 v3, v2, v37 offset:124
	s_waitcnt lgkmcnt(2)
	v_fmac_f32_e32 v167, v4, v9
	v_mul_f32_e32 v4, v197, v33
	s_waitcnt lgkmcnt(1)
	v_fmac_f32_e32 v167, v4, v5
	v_mov_b32_e32 v202, v167
.LBB143_137:                            ;   in Loop: Header=BB143_3 Depth=1
	v_add_co_u32 v41, vcc_lo, v41, s2
	v_add_co_ci_u32_e64 v42, null, s3, v42, vcc_lo
	v_add_co_u32 v43, vcc_lo, v43, s2
	v_add_co_ci_u32_e64 v44, null, s3, v44, vcc_lo
	;; [unrolled: 2-line block ×61, first 2 shown]
	v_add_co_u32 v161, vcc_lo, v161, s2
	s_add_u32 s24, s24, s27
	v_add_co_ci_u32_e64 v162, null, s3, v162, vcc_lo
	v_add_co_u32 v163, vcc_lo, v163, s2
	v_mul_f32_e32 v4, v192, v34
	s_addc_u32 s25, s25, 0
	v_add_co_ci_u32_e64 v164, null, s3, v164, vcc_lo
	v_add_co_u32 v165, vcc_lo, v165, s2
	v_cmp_lt_i64_e64 s28, s[24:25], s[8:9]
	v_add_co_ci_u32_e64 v166, null, s3, v166, vcc_lo
	v_add_co_u32 v39, vcc_lo, v39, s27
	s_waitcnt lgkmcnt(0)
	v_fmac_f32_e32 v202, v4, v3
	v_add_co_ci_u32_e64 v40, null, 0, v40, vcc_lo
	s_add_u32 s22, s22, s27
	s_addc_u32 s23, 0, s23
	s_and_b32 vcc_lo, exec_lo, s28
	s_cbranch_vccz .LBB143_142
; %bb.138:                              ;   in Loop: Header=BB143_3 Depth=1
	v_mov_b32_e32 v167, v202
	s_branch .LBB143_3
.LBB143_139:                            ;   in Loop: Header=BB143_3 Depth=1
	v_add_co_u32 v198, vcc_lo, v53, v35
	v_add_co_ci_u32_e64 v199, null, v54, v36, vcc_lo
	v_add_co_u32 v200, vcc_lo, v55, v35
	v_add_co_ci_u32_e64 v201, null, v56, v36, vcc_lo
	global_load_dword v32, v[198:199], off
	global_load_dword v198, v[200:201], off
	s_or_b32 exec_lo, exec_lo, s28
	s_and_saveexec_b32 s28, s1
	s_cbranch_execz .LBB143_134
.LBB143_140:                            ;   in Loop: Header=BB143_3 Depth=1
	v_add_co_u32 v199, vcc_lo, v49, v35
	v_add_co_ci_u32_e64 v200, null, v50, v36, vcc_lo
	v_add_co_u32 v201, vcc_lo, v51, v35
	v_add_co_ci_u32_e64 v202, null, v52, v36, vcc_lo
	global_load_dword v33, v[199:200], off
	global_load_dword v197, v[201:202], off
	s_or_b32 exec_lo, exec_lo, s28
	v_mov_b32_e32 v192, 0
	s_and_saveexec_b32 s28, s1
	s_cbranch_execnz .LBB143_135
	s_branch .LBB143_136
.LBB143_141:
                                        ; implicit-def: $vgpr202
	s_load_dwordx2 s[2:3], s[4:5], 0x30
	s_branch .LBB143_143
.LBB143_142:
	s_load_dwordx2 s[2:3], s[4:5], 0x30
	s_cbranch_execnz .LBB143_219
.LBB143_143:
	v_mov_b32_e32 v202, 0
	s_andn2_b32 vcc_lo, exec_lo, s26
	s_cbranch_vccnz .LBB143_219
; %bb.144:
	v_lshlrev_b32_e32 v192, 5, v223
	v_lshlrev_b32_e32 v2, 7, v223
	s_add_u32 s20, s4, 64
	s_addc_u32 s21, s5, 0
	s_lshl_b64 s[22:23], s[18:19], 2
	v_add_co_u32 v0, s1, v192, s18
	v_add_co_ci_u32_e64 v1, null, 0, 0, s1
	v_add_co_u32 v4, s1, v2, s22
	v_add_co_ci_u32_e64 v5, null, 0, s23, s1
	v_mul_lo_u32 v6, s11, v0
	v_add_co_u32 v8, vcc_lo, v4, 4
	v_mul_lo_u32 v7, s10, v1
	v_add_co_ci_u32_e64 v9, null, 0, v5, vcc_lo
	v_mad_u64_u32 v[2:3], null, s10, v0, 0
	v_add_co_u32 v10, vcc_lo, v4, 8
	v_add_co_ci_u32_e64 v12, null, 0, v5, vcc_lo
	v_add_co_u32 v13, vcc_lo, v4, 12
	v_add_co_ci_u32_e64 v14, null, 0, v5, vcc_lo
	;; [unrolled: 2-line block ×4, first 2 shown]
	v_add3_u32 v3, v3, v7, v6
	v_add_co_u32 v6, vcc_lo, v4, 24
	v_mad_u64_u32 v[35:36], null, s10, v8, s[12:13]
	v_mul_lo_u32 v9, s10, v9
	v_mul_lo_u32 v11, s11, v8
	v_mad_u64_u32 v[49:50], null, s10, v8, s[14:15]
	v_add_co_ci_u32_e64 v7, null, 0, v5, vcc_lo
	v_add_co_u32 v23, vcc_lo, v4, 28
	v_mad_u64_u32 v[37:38], null, s10, v10, s[12:13]
	v_mul_lo_u32 v12, s10, v12
	v_mul_lo_u32 v15, s11, v10
	v_mad_u64_u32 v[53:54], null, s10, v10, s[14:15]
	v_add_co_ci_u32_e64 v24, null, 0, v5, vcc_lo
	v_add_co_u32 v26, vcc_lo, v4, 32
	v_add_co_ci_u32_e64 v27, null, 0, v5, vcc_lo
	v_mad_u64_u32 v[45:46], null, s10, v6, s[12:13]
	v_mul_lo_u32 v7, s10, v7
	v_mul_lo_u32 v25, s11, v6
	v_mad_u64_u32 v[63:64], null, s10, v6, s[14:15]
	v_add3_u32 v36, v11, v36, v9
	v_mad_u64_u32 v[47:48], null, s10, v23, s[12:13]
	v_mul_lo_u32 v24, s10, v24
	v_mul_lo_u32 v8, s11, v23
	v_add3_u32 v50, v11, v50, v9
	v_add_co_u32 v9, vcc_lo, v4, 36
	v_mad_u64_u32 v[65:66], null, s10, v23, s[14:15]
	v_add3_u32 v38, v15, v38, v12
	v_mad_u64_u32 v[51:52], null, s10, v26, s[12:13]
	v_add_co_ci_u32_e64 v10, null, 0, v5, vcc_lo
	v_mul_lo_u32 v11, s10, v27
	v_add3_u32 v54, v15, v54, v12
	v_mul_lo_u32 v12, s11, v26
	v_mad_u64_u32 v[67:68], null, s10, v26, s[14:15]
	v_add3_u32 v46, v25, v46, v7
	v_add3_u32 v64, v25, v64, v7
	v_add_co_u32 v7, vcc_lo, v4, 40
	v_mad_u64_u32 v[59:60], null, s10, v9, s[12:13]
	v_mul_lo_u32 v10, s10, v10
	v_mul_lo_u32 v6, s11, v9
	v_mad_u64_u32 v[69:70], null, s10, v9, s[14:15]
	v_add3_u32 v48, v8, v48, v24
	v_add3_u32 v66, v8, v66, v24
	v_add_co_ci_u32_e64 v8, null, 0, v5, vcc_lo
	v_add_co_u32 v9, vcc_lo, v4, 44
	v_add3_u32 v52, v12, v52, v11
	v_add3_u32 v68, v12, v68, v11
	v_add_co_ci_u32_e64 v11, null, 0, v5, vcc_lo
	v_mad_u64_u32 v[71:72], null, s10, v7, s[12:13]
	v_mul_lo_u32 v8, s10, v8
	v_mul_lo_u32 v12, s11, v7
	v_mad_u64_u32 v[73:74], null, s10, v7, s[14:15]
	v_add3_u32 v60, v6, v60, v10
	v_add3_u32 v70, v6, v70, v10
	v_mul_lo_u32 v6, s10, v11
	v_mul_lo_u32 v7, s11, v9
	v_mad_u64_u32 v[75:76], null, s10, v9, s[12:13]
	v_mad_u64_u32 v[77:78], null, s10, v9, s[14:15]
	v_add_co_u32 v9, vcc_lo, v4, 48
	v_add_co_ci_u32_e64 v10, null, 0, v5, vcc_lo
	v_add3_u32 v72, v12, v72, v8
	v_add3_u32 v74, v12, v74, v8
	v_add_co_u32 v8, vcc_lo, v4, 52
	v_add3_u32 v76, v7, v76, v6
	v_add3_u32 v78, v7, v78, v6
	v_mul_lo_u32 v6, s10, v10
	v_add_co_ci_u32_e64 v10, null, 0, v5, vcc_lo
	v_mul_lo_u32 v7, s11, v9
	v_mad_u64_u32 v[79:80], null, s10, v9, s[12:13]
	v_mad_u64_u32 v[81:82], null, s10, v9, s[14:15]
	v_mul_lo_u32 v9, s10, v10
	v_mul_lo_u32 v10, s11, v8
	v_mad_u64_u32 v[83:84], null, s10, v8, s[12:13]
	v_mad_u64_u32 v[85:86], null, s10, v8, s[14:15]
	v_add_co_u32 v8, vcc_lo, v4, 56
	v_add_co_ci_u32_e64 v11, null, 0, v5, vcc_lo
	v_add3_u32 v84, v10, v84, v9
	v_add3_u32 v80, v7, v80, v6
	;; [unrolled: 1-line block ×3, first 2 shown]
	v_add_co_u32 v9, vcc_lo, v4, 60
	v_add_co_ci_u32_e64 v10, null, 0, v5, vcc_lo
	v_add3_u32 v82, v7, v82, v6
	v_mul_lo_u32 v6, s10, v11
	v_mul_lo_u32 v7, s11, v8
	v_mad_u64_u32 v[87:88], null, s10, v8, s[12:13]
	v_mad_u64_u32 v[89:90], null, s10, v8, s[14:15]
	v_mul_lo_u32 v8, s10, v10
	v_mul_lo_u32 v10, s11, v9
	v_mad_u64_u32 v[91:92], null, s10, v9, s[12:13]
	v_mad_u64_u32 v[93:94], null, s10, v9, s[14:15]
	v_add_co_u32 v9, vcc_lo, v4, 64
	v_add_co_ci_u32_e64 v11, null, 0, v5, vcc_lo
	v_add3_u32 v88, v7, v88, v6
	v_add3_u32 v90, v7, v90, v6
	v_mul_lo_u32 v7, s11, v9
	v_mul_lo_u32 v6, s10, v11
	v_mad_u64_u32 v[95:96], null, s10, v9, s[12:13]
	v_mad_u64_u32 v[97:98], null, s10, v9, s[14:15]
	v_add3_u32 v92, v10, v92, v8
	v_add3_u32 v94, v10, v94, v8
	v_mad_u64_u32 v[39:40], null, s10, v13, s[12:13]
	v_add3_u32 v96, v7, v96, v6
	v_mul_lo_u32 v17, s11, v13
	v_add3_u32 v98, v7, v98, v6
	v_add_co_u32 v6, vcc_lo, 0x44, v4
	v_add_co_ci_u32_e64 v7, null, 0, v5, vcc_lo
	v_mad_u64_u32 v[55:56], null, s10, v13, s[14:15]
	v_mul_lo_u32 v8, s11, v6
	v_mul_lo_u32 v7, s10, v7
	v_mad_u64_u32 v[99:100], null, s10, v6, s[12:13]
	v_mad_u64_u32 v[101:102], null, s10, v6, s[14:15]
	v_add_co_u32 v6, vcc_lo, 0x48, v4
	v_mul_lo_u32 v14, s10, v14
	v_mad_u64_u32 v[41:42], null, s10, v16, s[12:13]
	v_add3_u32 v100, v8, v100, v7
	v_add3_u32 v102, v8, v102, v7
	v_add_co_ci_u32_e64 v7, null, 0, v5, vcc_lo
	v_mul_lo_u32 v8, s11, v6
	v_mad_u64_u32 v[103:104], null, s10, v6, s[12:13]
	v_mul_lo_u32 v7, s10, v7
	v_mad_u64_u32 v[105:106], null, s10, v6, s[14:15]
	v_add_co_u32 v6, vcc_lo, 0x4c, v4
	v_add3_u32 v40, v17, v40, v14
	v_add3_u32 v56, v17, v56, v14
	v_mul_lo_u32 v21, s11, v16
	v_add3_u32 v104, v8, v104, v7
	v_add3_u32 v106, v8, v106, v7
	v_add_co_ci_u32_e64 v7, null, 0, v5, vcc_lo
	v_mul_lo_u32 v8, s11, v6
	v_mad_u64_u32 v[107:108], null, s10, v6, s[12:13]
	v_mul_lo_u32 v7, s10, v7
	v_mad_u64_u32 v[109:110], null, s10, v6, s[14:15]
	v_add_co_u32 v6, vcc_lo, 0x50, v4
	v_mad_u64_u32 v[57:58], null, s10, v16, s[14:15]
	v_mul_lo_u32 v18, s10, v18
	v_add3_u32 v108, v8, v108, v7
	v_add3_u32 v110, v8, v110, v7
	v_add_co_ci_u32_e64 v7, null, 0, v5, vcc_lo
	v_mul_lo_u32 v8, s11, v6
	v_mad_u64_u32 v[111:112], null, s10, v6, s[12:13]
	v_mul_lo_u32 v7, s10, v7
	v_mad_u64_u32 v[113:114], null, s10, v6, s[14:15]
	v_add_co_u32 v6, vcc_lo, 0x54, v4
	v_mad_u64_u32 v[43:44], null, s10, v19, s[12:13]
	v_mul_lo_u32 v22, s11, v19
	v_add3_u32 v112, v8, v112, v7
	v_add3_u32 v114, v8, v114, v7
	v_add_co_ci_u32_e64 v7, null, 0, v5, vcc_lo
	v_mul_lo_u32 v8, s11, v6
	v_mad_u64_u32 v[115:116], null, s10, v6, s[12:13]
	v_mul_lo_u32 v7, s10, v7
	v_mad_u64_u32 v[117:118], null, s10, v6, s[14:15]
	v_add_co_u32 v6, vcc_lo, 0x58, v4
	v_add3_u32 v42, v21, v42, v18
	v_mad_u64_u32 v[61:62], null, s10, v19, s[14:15]
	v_add3_u32 v116, v8, v116, v7
	v_add3_u32 v118, v8, v118, v7
	v_add_co_ci_u32_e64 v7, null, 0, v5, vcc_lo
	v_mul_lo_u32 v8, s11, v6
	v_mad_u64_u32 v[119:120], null, s10, v6, s[12:13]
	v_mul_lo_u32 v7, s10, v7
	v_mad_u64_u32 v[121:122], null, s10, v6, s[14:15]
	v_add_co_u32 v6, vcc_lo, 0x5c, v4
	v_add3_u32 v58, v21, v58, v18
	v_mul_lo_u32 v20, s10, v20
	s_load_dword s1, s[4:5], 0x44
	v_add3_u32 v120, v8, v120, v7
	v_add3_u32 v122, v8, v122, v7
	v_add_co_ci_u32_e64 v7, null, 0, v5, vcc_lo
	v_mul_lo_u32 v8, s11, v6
	v_mad_u64_u32 v[123:124], null, s10, v6, s[12:13]
	v_mul_lo_u32 v7, s10, v7
	v_mad_u64_u32 v[125:126], null, s10, v6, s[14:15]
	v_add_co_u32 v6, vcc_lo, 0x60, v4
	v_add3_u32 v44, v22, v44, v20
	v_add3_u32 v62, v22, v62, v20
	v_mov_b32_e32 v203, 0
	v_add3_u32 v124, v8, v124, v7
	v_add3_u32 v126, v8, v126, v7
	v_add_co_ci_u32_e64 v7, null, 0, v5, vcc_lo
	v_mul_lo_u32 v8, s11, v6
	v_mad_u64_u32 v[127:128], null, s10, v6, s[12:13]
	v_mul_lo_u32 v7, s10, v7
	v_mad_u64_u32 v[129:130], null, s10, v6, s[14:15]
	v_add_co_u32 v6, vcc_lo, 0x64, v4
	s_waitcnt lgkmcnt(0)
	s_lshl_b32 s1, s1, 5
	s_mov_b64 s[22:23], s[18:19]
	v_add3_u32 v128, v8, v128, v7
	v_add3_u32 v130, v8, v130, v7
	v_add_co_ci_u32_e64 v7, null, 0, v5, vcc_lo
	v_mul_lo_u32 v8, s11, v6
	v_mad_u64_u32 v[131:132], null, s10, v6, s[12:13]
	v_mul_lo_u32 v7, s10, v7
	v_mad_u64_u32 v[133:134], null, s10, v6, s[14:15]
	v_add_co_u32 v6, vcc_lo, 0x68, v4
	v_add3_u32 v132, v8, v132, v7
	v_add3_u32 v134, v8, v134, v7
	v_add_co_ci_u32_e64 v7, null, 0, v5, vcc_lo
	v_mul_lo_u32 v8, s11, v6
	v_mad_u64_u32 v[135:136], null, s10, v6, s[12:13]
	v_mul_lo_u32 v7, s10, v7
	v_mad_u64_u32 v[137:138], null, s10, v6, s[14:15]
	v_add_co_u32 v6, vcc_lo, 0x6c, v4
	;; [unrolled: 8-line block ×5, first 2 shown]
	v_add3_u32 v148, v8, v148, v7
	v_add3_u32 v150, v8, v150, v7
	v_add_co_ci_u32_e64 v7, null, 0, v5, vcc_lo
	v_add_co_u32 v4, vcc_lo, 0x7c, v4
	v_add_co_ci_u32_e64 v5, null, 0, v5, vcc_lo
	v_mul_lo_u32 v8, s11, v6
	v_mad_u64_u32 v[151:152], null, s10, v6, s[12:13]
	v_mad_u64_u32 v[153:154], null, s10, v6, s[14:15]
	v_mul_lo_u32 v5, s10, v5
	v_mul_lo_u32 v6, s11, v4
	v_mad_u64_u32 v[155:156], null, s10, v4, s[12:13]
	v_mad_u64_u32 v[157:158], null, s10, v4, s[14:15]
	v_mul_lo_u32 v7, s10, v7
	v_add_co_u32 v4, vcc_lo, v0, 31
	v_add3_u32 v156, v6, v156, v5
	v_add3_u32 v158, v6, v158, v5
	v_add_co_ci_u32_e64 v5, null, 0, v1, vcc_lo
	v_add3_u32 v152, v8, v152, v7
	v_add3_u32 v154, v8, v154, v7
	v_mul_lo_u32 v7, s11, v4
	v_mul_lo_u32 v6, s10, v5
	v_mad_u64_u32 v[4:5], null, s10, v4, 0
	v_add3_u32 v5, v5, v6, v7
	v_add_co_u32 v6, vcc_lo, v0, 30
	v_add_co_ci_u32_e64 v7, null, 0, v1, vcc_lo
	v_mul_lo_u32 v9, s11, v6
	v_mul_lo_u32 v8, s10, v7
	v_mad_u64_u32 v[6:7], null, s10, v6, 0
	v_add3_u32 v7, v7, v8, v9
	v_add_co_u32 v8, vcc_lo, v0, 29
	v_add_co_ci_u32_e64 v9, null, 0, v1, vcc_lo
	v_mul_lo_u32 v11, s11, v8
	v_mul_lo_u32 v10, s10, v9
	v_mad_u64_u32 v[8:9], null, s10, v8, 0
	v_add3_u32 v9, v9, v10, v11
	v_add_co_u32 v10, vcc_lo, v0, 28
	v_add_co_ci_u32_e64 v11, null, 0, v1, vcc_lo
	v_mul_lo_u32 v13, s11, v10
	v_mul_lo_u32 v12, s10, v11
	v_mad_u64_u32 v[10:11], null, s10, v10, 0
	v_add3_u32 v11, v11, v12, v13
	v_add_co_u32 v12, vcc_lo, v0, 27
	v_add_co_ci_u32_e64 v13, null, 0, v1, vcc_lo
	v_mul_lo_u32 v15, s11, v12
	v_mul_lo_u32 v14, s10, v13
	v_mad_u64_u32 v[12:13], null, s10, v12, 0
	v_add3_u32 v13, v13, v14, v15
	v_add_co_u32 v14, vcc_lo, v0, 26
	v_add_co_ci_u32_e64 v15, null, 0, v1, vcc_lo
	v_mul_lo_u32 v17, s11, v14
	v_mul_lo_u32 v16, s10, v15
	v_mad_u64_u32 v[14:15], null, s10, v14, 0
	v_add3_u32 v15, v15, v16, v17
	v_add_co_u32 v16, vcc_lo, v0, 25
	v_add_co_ci_u32_e64 v17, null, 0, v1, vcc_lo
	v_mul_lo_u32 v19, s11, v16
	v_mul_lo_u32 v18, s10, v17
	v_mad_u64_u32 v[16:17], null, s10, v16, 0
	v_add3_u32 v17, v17, v18, v19
	v_add_co_u32 v18, vcc_lo, v0, 24
	v_add_co_ci_u32_e64 v19, null, 0, v1, vcc_lo
	v_mul_lo_u32 v21, s11, v18
	v_mul_lo_u32 v20, s10, v19
	v_mad_u64_u32 v[18:19], null, s10, v18, 0
	v_add3_u32 v19, v19, v20, v21
	v_add_co_u32 v20, vcc_lo, v0, 23
	v_add_co_ci_u32_e64 v21, null, 0, v1, vcc_lo
	v_mul_lo_u32 v23, s11, v20
	v_mul_lo_u32 v22, s10, v21
	v_mad_u64_u32 v[20:21], null, s10, v20, 0
	v_add3_u32 v21, v21, v22, v23
	v_add_co_u32 v22, vcc_lo, v0, 22
	v_add_co_ci_u32_e64 v23, null, 0, v1, vcc_lo
	v_mul_lo_u32 v25, s11, v22
	v_mul_lo_u32 v24, s10, v23
	v_mad_u64_u32 v[22:23], null, s10, v22, 0
	v_add3_u32 v23, v23, v24, v25
	v_add_co_u32 v24, vcc_lo, v0, 21
	v_add_co_ci_u32_e64 v25, null, 0, v1, vcc_lo
	v_mul_lo_u32 v27, s11, v24
	v_mul_lo_u32 v26, s10, v25
	v_mad_u64_u32 v[24:25], null, s10, v24, 0
	v_add3_u32 v25, v25, v26, v27
	v_add_co_u32 v26, vcc_lo, v0, 20
	v_add_co_ci_u32_e64 v27, null, 0, v1, vcc_lo
	v_mul_lo_u32 v29, s11, v26
	v_mul_lo_u32 v28, s10, v27
	v_mad_u64_u32 v[26:27], null, s10, v26, 0
	v_add3_u32 v27, v27, v28, v29
	v_add_co_u32 v28, vcc_lo, v0, 19
	v_add_co_ci_u32_e64 v29, null, 0, v1, vcc_lo
	v_mul_lo_u32 v31, s11, v28
	v_mul_lo_u32 v30, s10, v29
	v_mad_u64_u32 v[28:29], null, s10, v28, 0
	v_add3_u32 v29, v29, v30, v31
	v_add_co_u32 v30, vcc_lo, v0, 18
	v_add_co_ci_u32_e64 v31, null, 0, v1, vcc_lo
	v_mul_lo_u32 v33, s11, v30
	v_mul_lo_u32 v32, s10, v31
	v_mad_u64_u32 v[30:31], null, s10, v30, 0
	v_add3_u32 v31, v31, v32, v33
	v_add_co_u32 v32, vcc_lo, v0, 17
	v_add_co_ci_u32_e64 v33, null, 0, v1, vcc_lo
	v_mul_lo_u32 v159, s11, v32
	v_mul_lo_u32 v34, s10, v33
	v_mad_u64_u32 v[32:33], null, s10, v32, 0
	v_add3_u32 v33, v33, v34, v159
	v_add_co_u32 v34, vcc_lo, v0, 16
	v_add_co_ci_u32_e64 v159, null, 0, v1, vcc_lo
	v_mul_lo_u32 v162, s11, v34
	v_mul_lo_u32 v161, s10, v159
	v_mad_u64_u32 v[159:160], null, s10, v34, 0
	v_add_co_u32 v34, vcc_lo, v0, 15
	v_mul_lo_u32 v164, s11, v34
	v_add3_u32 v160, v160, v161, v162
	v_add_co_ci_u32_e64 v161, null, 0, v1, vcc_lo
	v_mul_lo_u32 v163, s10, v161
	v_mad_u64_u32 v[161:162], null, s10, v34, 0
	v_add_co_u32 v34, vcc_lo, v0, 14
	v_mad_u64_u32 v[168:169], null, s10, v34, 0
	v_add3_u32 v162, v162, v163, v164
	v_add_co_ci_u32_e64 v163, null, 0, v1, vcc_lo
	v_mul_lo_u32 v164, s11, v34
	v_add_co_u32 v34, vcc_lo, v0, 13
	v_mul_lo_u32 v163, s10, v163
	v_mad_u64_u32 v[170:171], null, s10, v34, 0
	v_add3_u32 v169, v169, v163, v164
	v_add_co_ci_u32_e64 v163, null, 0, v1, vcc_lo
	v_mul_lo_u32 v164, s11, v34
	v_add_co_u32 v34, vcc_lo, v0, 12
	v_mul_lo_u32 v163, s10, v163
	v_mad_u64_u32 v[172:173], null, s10, v34, 0
	v_add3_u32 v171, v171, v163, v164
	v_add_co_ci_u32_e64 v163, null, 0, v1, vcc_lo
	v_mul_lo_u32 v164, s11, v34
	v_add_co_u32 v34, vcc_lo, v0, 11
	v_mul_lo_u32 v163, s10, v163
	v_mad_u64_u32 v[174:175], null, s10, v34, 0
	v_add3_u32 v173, v173, v163, v164
	v_add_co_ci_u32_e64 v163, null, 0, v1, vcc_lo
	v_mul_lo_u32 v164, s11, v34
	v_add_co_u32 v34, vcc_lo, v0, 10
	v_mul_lo_u32 v163, s10, v163
	v_mad_u64_u32 v[176:177], null, s10, v34, 0
	v_add3_u32 v175, v175, v163, v164
	v_add_co_ci_u32_e64 v163, null, 0, v1, vcc_lo
	v_mul_lo_u32 v164, s11, v34
	v_add_co_u32 v34, vcc_lo, v0, 9
	v_mul_lo_u32 v163, s10, v163
	v_mad_u64_u32 v[178:179], null, s10, v34, 0
	v_add3_u32 v177, v177, v163, v164
	v_add_co_ci_u32_e64 v163, null, 0, v1, vcc_lo
	v_mul_lo_u32 v164, s11, v34
	v_add_co_u32 v34, vcc_lo, v0, 8
	v_mul_lo_u32 v163, s10, v163
	v_mad_u64_u32 v[180:181], null, s10, v34, 0
	v_add3_u32 v179, v179, v163, v164
	v_add_co_ci_u32_e64 v163, null, 0, v1, vcc_lo
	v_mul_lo_u32 v164, s11, v34
	v_add_co_u32 v34, vcc_lo, v0, 7
	v_mul_lo_u32 v163, s10, v163
	v_mad_u64_u32 v[182:183], null, s10, v34, 0
	v_add3_u32 v181, v181, v163, v164
	v_add_co_ci_u32_e64 v163, null, 0, v1, vcc_lo
	v_mul_lo_u32 v164, s11, v34
	v_add_co_u32 v34, vcc_lo, v0, 6
	v_mul_lo_u32 v163, s10, v163
	v_mad_u64_u32 v[184:185], null, s10, v34, 0
	v_add3_u32 v183, v183, v163, v164
	v_add_co_ci_u32_e64 v163, null, 0, v1, vcc_lo
	v_mul_lo_u32 v164, s11, v34
	v_add_co_u32 v34, vcc_lo, v0, 5
	v_mul_lo_u32 v163, s10, v163
	v_mad_u64_u32 v[186:187], null, s10, v34, 0
	v_add3_u32 v185, v185, v163, v164
	v_add_co_ci_u32_e64 v163, null, 0, v1, vcc_lo
	v_mul_lo_u32 v164, s11, v34
	v_add_co_u32 v34, vcc_lo, v0, 4
	v_mul_lo_u32 v163, s10, v163
	v_mad_u64_u32 v[188:189], null, s10, v34, 0
	v_add3_u32 v187, v187, v163, v164
	v_add_co_ci_u32_e64 v163, null, 0, v1, vcc_lo
	v_mul_lo_u32 v164, s11, v34
	v_add_co_u32 v34, vcc_lo, v0, 3
	v_mul_lo_u32 v163, s10, v163
	v_mad_u64_u32 v[190:191], null, s10, v34, 0
	v_add3_u32 v189, v189, v163, v164
	v_add_co_ci_u32_e64 v163, null, 0, v1, vcc_lo
	v_add_co_u32 v0, vcc_lo, v0, 2
	v_add_co_ci_u32_e64 v1, null, 0, v1, vcc_lo
	v_mul_lo_u32 v164, s11, v34
	v_mul_lo_u32 v34, s11, v0
	v_mad_u64_u32 v[193:194], null, s10, v0, 0
	v_mul_lo_u32 v1, s10, v1
	v_mul_lo_u32 v163, s10, v163
	v_add_co_u32 v197, vcc_lo, v2, s10
	v_add_co_ci_u32_e64 v198, null, s11, v3, vcc_lo
	v_add3_u32 v194, v194, v1, v34
	v_lshlrev_b64 v[0:1], 2, v[2:3]
	v_add3_u32 v191, v191, v163, v164
	v_add_co_u32 v164, vcc_lo, s12, v0
	v_add_co_ci_u32_e64 v165, null, s13, v1, vcc_lo
	v_add_co_u32 v166, vcc_lo, s14, v0
	v_add_co_ci_u32_e64 v167, null, s15, v1, vcc_lo
	v_lshlrev_b64 v[0:1], 2, v[4:5]
	v_mov_b32_e32 v5, v192
	v_add_co_u32 v2, vcc_lo, s12, v0
	buffer_store_dword v2, off, s[36:39], 0 ; 4-byte Folded Spill
	v_add_co_ci_u32_e64 v2, null, s13, v1, vcc_lo
	v_add_co_u32 v0, vcc_lo, s14, v0
	buffer_store_dword v2, off, s[36:39], 0 offset:4 ; 4-byte Folded Spill
	buffer_store_dword v0, off, s[36:39], 0 offset:8 ; 4-byte Folded Spill
	v_add_co_ci_u32_e64 v0, null, s15, v1, vcc_lo
	buffer_store_dword v0, off, s[36:39], 0 offset:12 ; 4-byte Folded Spill
	v_lshlrev_b64 v[0:1], 2, v[6:7]
	v_add_co_u32 v2, vcc_lo, s12, v0
	buffer_store_dword v2, off, s[36:39], 0 offset:16 ; 4-byte Folded Spill
	v_add_co_ci_u32_e64 v2, null, s13, v1, vcc_lo
	v_add_co_u32 v0, vcc_lo, s14, v0
	buffer_store_dword v2, off, s[36:39], 0 offset:20 ; 4-byte Folded Spill
	buffer_store_dword v0, off, s[36:39], 0 offset:24 ; 4-byte Folded Spill
	v_add_co_ci_u32_e64 v0, null, s15, v1, vcc_lo
	buffer_store_dword v0, off, s[36:39], 0 offset:28 ; 4-byte Folded Spill
	v_lshlrev_b64 v[0:1], 2, v[8:9]
	v_add_co_u32 v2, vcc_lo, s12, v0
	buffer_store_dword v2, off, s[36:39], 0 offset:32 ; 4-byte Folded Spill
	v_add_co_ci_u32_e64 v2, null, s13, v1, vcc_lo
	v_add_co_u32 v0, vcc_lo, s14, v0
	buffer_store_dword v2, off, s[36:39], 0 offset:36 ; 4-byte Folded Spill
	buffer_store_dword v0, off, s[36:39], 0 offset:40 ; 4-byte Folded Spill
	v_add_co_ci_u32_e64 v0, null, s15, v1, vcc_lo
	buffer_store_dword v0, off, s[36:39], 0 offset:44 ; 4-byte Folded Spill
	v_lshlrev_b64 v[0:1], 2, v[10:11]
	v_add_co_u32 v2, vcc_lo, s12, v0
	buffer_store_dword v2, off, s[36:39], 0 offset:48 ; 4-byte Folded Spill
	v_add_co_ci_u32_e64 v2, null, s13, v1, vcc_lo
	v_add_co_u32 v0, vcc_lo, s14, v0
	buffer_store_dword v2, off, s[36:39], 0 offset:52 ; 4-byte Folded Spill
	buffer_store_dword v0, off, s[36:39], 0 offset:56 ; 4-byte Folded Spill
	v_add_co_ci_u32_e64 v0, null, s15, v1, vcc_lo
	buffer_store_dword v0, off, s[36:39], 0 offset:60 ; 4-byte Folded Spill
	v_lshlrev_b64 v[0:1], 2, v[12:13]
	v_add_co_u32 v2, vcc_lo, s12, v0
	buffer_store_dword v2, off, s[36:39], 0 offset:64 ; 4-byte Folded Spill
	v_add_co_ci_u32_e64 v2, null, s13, v1, vcc_lo
	v_add_co_u32 v0, vcc_lo, s14, v0
	buffer_store_dword v2, off, s[36:39], 0 offset:68 ; 4-byte Folded Spill
	buffer_store_dword v0, off, s[36:39], 0 offset:72 ; 4-byte Folded Spill
	v_add_co_ci_u32_e64 v0, null, s15, v1, vcc_lo
	buffer_store_dword v0, off, s[36:39], 0 offset:76 ; 4-byte Folded Spill
	v_lshlrev_b64 v[0:1], 2, v[14:15]
	v_add_co_u32 v2, vcc_lo, s12, v0
	buffer_store_dword v2, off, s[36:39], 0 offset:80 ; 4-byte Folded Spill
	v_add_co_ci_u32_e64 v2, null, s13, v1, vcc_lo
	v_add_co_u32 v0, vcc_lo, s14, v0
	buffer_store_dword v2, off, s[36:39], 0 offset:84 ; 4-byte Folded Spill
	buffer_store_dword v0, off, s[36:39], 0 offset:88 ; 4-byte Folded Spill
	v_add_co_ci_u32_e64 v0, null, s15, v1, vcc_lo
	buffer_store_dword v0, off, s[36:39], 0 offset:92 ; 4-byte Folded Spill
	v_lshlrev_b64 v[0:1], 2, v[16:17]
	v_add_co_u32 v2, vcc_lo, s12, v0
	buffer_store_dword v2, off, s[36:39], 0 offset:96 ; 4-byte Folded Spill
	v_add_co_ci_u32_e64 v2, null, s13, v1, vcc_lo
	v_add_co_u32 v0, vcc_lo, s14, v0
	buffer_store_dword v2, off, s[36:39], 0 offset:100 ; 4-byte Folded Spill
	buffer_store_dword v0, off, s[36:39], 0 offset:104 ; 4-byte Folded Spill
	v_add_co_ci_u32_e64 v0, null, s15, v1, vcc_lo
	buffer_store_dword v0, off, s[36:39], 0 offset:108 ; 4-byte Folded Spill
	v_lshlrev_b64 v[0:1], 2, v[18:19]
	v_add_co_u32 v2, vcc_lo, s12, v0
	buffer_store_dword v2, off, s[36:39], 0 offset:112 ; 4-byte Folded Spill
	v_add_co_ci_u32_e64 v2, null, s13, v1, vcc_lo
	v_add_co_u32 v0, vcc_lo, s14, v0
	buffer_store_dword v2, off, s[36:39], 0 offset:116 ; 4-byte Folded Spill
	buffer_store_dword v0, off, s[36:39], 0 offset:120 ; 4-byte Folded Spill
	v_add_co_ci_u32_e64 v0, null, s15, v1, vcc_lo
	buffer_store_dword v0, off, s[36:39], 0 offset:124 ; 4-byte Folded Spill
	v_lshlrev_b64 v[0:1], 2, v[20:21]
	v_add_co_u32 v2, vcc_lo, s12, v0
	buffer_store_dword v2, off, s[36:39], 0 offset:128 ; 4-byte Folded Spill
	v_add_co_ci_u32_e64 v2, null, s13, v1, vcc_lo
	v_add_co_u32 v0, vcc_lo, s14, v0
	buffer_store_dword v2, off, s[36:39], 0 offset:132 ; 4-byte Folded Spill
	buffer_store_dword v0, off, s[36:39], 0 offset:136 ; 4-byte Folded Spill
	v_add_co_ci_u32_e64 v0, null, s15, v1, vcc_lo
	buffer_store_dword v0, off, s[36:39], 0 offset:140 ; 4-byte Folded Spill
	v_lshlrev_b64 v[0:1], 2, v[22:23]
	v_add_co_u32 v2, vcc_lo, s12, v0
	buffer_store_dword v2, off, s[36:39], 0 offset:144 ; 4-byte Folded Spill
	v_add_co_ci_u32_e64 v2, null, s13, v1, vcc_lo
	v_add_co_u32 v0, vcc_lo, s14, v0
	buffer_store_dword v2, off, s[36:39], 0 offset:148 ; 4-byte Folded Spill
	buffer_store_dword v0, off, s[36:39], 0 offset:152 ; 4-byte Folded Spill
	v_add_co_ci_u32_e64 v0, null, s15, v1, vcc_lo
	buffer_store_dword v0, off, s[36:39], 0 offset:156 ; 4-byte Folded Spill
	v_lshlrev_b64 v[0:1], 2, v[24:25]
	v_add_co_u32 v2, vcc_lo, s12, v0
	buffer_store_dword v2, off, s[36:39], 0 offset:160 ; 4-byte Folded Spill
	v_add_co_ci_u32_e64 v2, null, s13, v1, vcc_lo
	v_add_co_u32 v0, vcc_lo, s14, v0
	buffer_store_dword v2, off, s[36:39], 0 offset:164 ; 4-byte Folded Spill
	buffer_store_dword v0, off, s[36:39], 0 offset:168 ; 4-byte Folded Spill
	v_add_co_ci_u32_e64 v0, null, s15, v1, vcc_lo
	buffer_store_dword v0, off, s[36:39], 0 offset:172 ; 4-byte Folded Spill
	v_lshlrev_b64 v[0:1], 2, v[26:27]
	v_add_co_u32 v2, vcc_lo, s12, v0
	buffer_store_dword v2, off, s[36:39], 0 offset:176 ; 4-byte Folded Spill
	v_add_co_ci_u32_e64 v2, null, s13, v1, vcc_lo
	v_add_co_u32 v0, vcc_lo, s14, v0
	buffer_store_dword v2, off, s[36:39], 0 offset:180 ; 4-byte Folded Spill
	buffer_store_dword v0, off, s[36:39], 0 offset:184 ; 4-byte Folded Spill
	v_add_co_ci_u32_e64 v0, null, s15, v1, vcc_lo
	buffer_store_dword v0, off, s[36:39], 0 offset:188 ; 4-byte Folded Spill
	v_lshlrev_b64 v[0:1], 2, v[28:29]
	v_add_co_u32 v2, vcc_lo, s12, v0
	buffer_store_dword v2, off, s[36:39], 0 offset:192 ; 4-byte Folded Spill
	v_add_co_ci_u32_e64 v2, null, s13, v1, vcc_lo
	v_add_co_u32 v0, vcc_lo, s14, v0
	buffer_store_dword v2, off, s[36:39], 0 offset:196 ; 4-byte Folded Spill
	buffer_store_dword v0, off, s[36:39], 0 offset:200 ; 4-byte Folded Spill
	v_add_co_ci_u32_e64 v0, null, s15, v1, vcc_lo
	buffer_store_dword v0, off, s[36:39], 0 offset:204 ; 4-byte Folded Spill
	v_lshlrev_b64 v[0:1], 2, v[30:31]
	v_add_co_u32 v2, vcc_lo, s12, v0
	buffer_store_dword v2, off, s[36:39], 0 offset:208 ; 4-byte Folded Spill
	v_add_co_ci_u32_e64 v2, null, s13, v1, vcc_lo
	v_add_co_u32 v0, vcc_lo, s14, v0
	buffer_store_dword v2, off, s[36:39], 0 offset:212 ; 4-byte Folded Spill
	buffer_store_dword v0, off, s[36:39], 0 offset:216 ; 4-byte Folded Spill
	v_add_co_ci_u32_e64 v0, null, s15, v1, vcc_lo
	buffer_store_dword v0, off, s[36:39], 0 offset:220 ; 4-byte Folded Spill
	v_lshlrev_b64 v[0:1], 2, v[32:33]
	v_add_co_u32 v2, vcc_lo, s12, v0
	v_add_co_ci_u32_e64 v225, null, s13, v1, vcc_lo
	v_add_co_u32 v226, vcc_lo, s14, v0
	v_add_co_ci_u32_e64 v227, null, s15, v1, vcc_lo
	v_lshlrev_b64 v[0:1], 2, v[159:160]
	buffer_store_dword v2, off, s[36:39], 0 offset:224 ; 4-byte Folded Spill
	v_add_co_u32 v228, vcc_lo, s12, v0
	v_add_co_ci_u32_e64 v229, null, s13, v1, vcc_lo
	v_add_co_u32 v230, vcc_lo, s14, v0
	v_add_co_ci_u32_e64 v231, null, s15, v1, vcc_lo
	v_lshlrev_b64 v[0:1], 2, v[161:162]
	v_add_co_u32 v232, vcc_lo, s12, v0
	v_add_co_ci_u32_e64 v233, null, s13, v1, vcc_lo
	v_add_co_u32 v234, vcc_lo, s14, v0
	v_add_co_ci_u32_e64 v235, null, s15, v1, vcc_lo
	v_lshlrev_b64 v[0:1], 2, v[168:169]
	;; [unrolled: 5-line block ×15, first 2 shown]
	v_add_co_u32 v197, vcc_lo, s12, v2
	v_add_co_ci_u32_e64 v198, null, s13, v3, vcc_lo
	v_add_co_u32 v199, vcc_lo, s14, v2
	v_mov_b32_e32 v2, 0
	v_add_co_ci_u32_e64 v200, null, s15, v3, vcc_lo
	v_add_nc_u32_e32 v3, s7, v224
	s_mul_i32 s7, s11, s1
	v_mov_b32_e32 v4, v2
	s_mul_hi_u32 s12, s10, s1
	v_mov_b32_e32 v201, v2
	s_add_i32 s13, s12, s7
	s_mul_i32 s12, s10, s1
	v_lshlrev_b64 v[159:160], 2, v[3:4]
	s_lshl_b64 s[12:13], s[12:13], 2
	s_mov_b64 s[14:15], 31
.LBB143_145:                            ; =>This Inner Loop Header: Depth=1
	s_add_u32 s24, s18, s14
	s_addc_u32 s25, 0, s15
	v_add_co_u32 v161, vcc_lo, s18, v5
	v_cmp_ge_i64_e64 s7, s[24:25], s[8:9]
	v_add_co_ci_u32_e64 v162, null, 0, v201, vcc_lo
	buffer_store_dword v5, off, s[36:39], 0 offset:228 ; 4-byte Folded Spill
                                        ; implicit-def: $vgpr202
	s_and_b32 vcc_lo, exec_lo, s7
	s_mov_b32 s7, -1
	s_cbranch_vccz .LBB143_213
; %bb.146:                              ;   in Loop: Header=BB143_145 Depth=1
	s_load_dword s7, s[20:21], 0xc
	v_mov_b32_e32 v202, 0
	v_mov_b32_e32 v204, 0
	s_waitcnt lgkmcnt(0)
	s_and_b32 s7, s7, 0xffff
	v_mad_u32_u24 v3, v223, s7, v224
	s_mov_b32 s7, exec_lo
	v_and_b32_e32 v3, 31, v3
	v_add_co_u32 v3, vcc_lo, v161, v3
	v_add_co_ci_u32_e64 v4, null, 0, v162, vcc_lo
	v_cmpx_gt_i64_e64 s[8:9], v[3:4]
	s_cbranch_execz .LBB143_148
; %bb.147:                              ;   in Loop: Header=BB143_145 Depth=1
	v_lshlrev_b64 v[3:4], 2, v[3:4]
	v_add_co_u32 v3, vcc_lo, s16, v3
	v_add_co_ci_u32_e64 v4, null, s17, v4, vcc_lo
	global_load_dword v204, v[3:4], off
.LBB143_148:                            ;   in Loop: Header=BB143_145 Depth=1
	s_or_b32 exec_lo, exec_lo, s7
	v_mov_b32_e32 v33, v2
	v_mov_b32_e32 v3, v2
	;; [unrolled: 1-line block ×63, first 2 shown]
	s_mov_b32 s7, exec_lo
	v_cmpx_gt_i64_e64 s[8:9], v[161:162]
	s_cbranch_execz .LBB143_150
; %bb.149:                              ;   in Loop: Header=BB143_145 Depth=1
	v_add_co_u32 v3, vcc_lo, v166, v159
	v_add_co_ci_u32_e64 v4, null, v167, v160, vcc_lo
	v_add_co_u32 v5, vcc_lo, v164, v159
	v_add_co_ci_u32_e64 v6, null, v165, v160, vcc_lo
	global_load_dword v202, v[3:4], off
	global_load_dword v3, v[5:6], off
	v_mov_b32_e32 v4, v2
	v_mov_b32_e32 v5, v2
	;; [unrolled: 1-line block ×31, first 2 shown]
.LBB143_150:                            ;   in Loop: Header=BB143_145 Depth=1
	s_or_b32 exec_lo, exec_lo, s7
	v_add_co_u32 v205, vcc_lo, v161, 1
	v_add_co_ci_u32_e64 v206, null, 0, v162, vcc_lo
	v_cmp_gt_i64_e32 vcc_lo, s[8:9], v[205:206]
	v_mov_b32_e32 v205, 0
	buffer_store_dword v205, off, s[36:39], 0 offset:232 ; 4-byte Folded Spill
	v_mov_b32_e32 v205, 0
	buffer_store_dword v205, off, s[36:39], 0 offset:236 ; 4-byte Folded Spill
	s_and_saveexec_b32 s7, vcc_lo
	s_cbranch_execz .LBB143_152
; %bb.151:                              ;   in Loop: Header=BB143_145 Depth=1
	v_add_co_u32 v205, vcc_lo, v197, v159
	v_add_co_ci_u32_e64 v206, null, v198, v160, vcc_lo
	v_add_co_u32 v207, vcc_lo, v199, v159
	v_add_co_ci_u32_e64 v208, null, v200, v160, vcc_lo
	global_load_dword v4, v[205:206], off
	global_load_dword v205, v[207:208], off
	s_waitcnt vmcnt(0)
	buffer_store_dword v205, off, s[36:39], 0 offset:236 ; 4-byte Folded Spill
.LBB143_152:                            ;   in Loop: Header=BB143_145 Depth=1
	s_or_b32 exec_lo, exec_lo, s7
	v_add_co_u32 v205, vcc_lo, v161, 2
	v_add_co_ci_u32_e64 v206, null, 0, v162, vcc_lo
	s_mov_b32 s7, exec_lo
	v_cmpx_gt_i64_e64 s[8:9], v[205:206]
	s_cbranch_execz .LBB143_154
; %bb.153:                              ;   in Loop: Header=BB143_145 Depth=1
	v_add_co_u32 v205, vcc_lo, v193, v159
	v_add_co_ci_u32_e64 v206, null, v194, v160, vcc_lo
	v_add_co_u32 v207, vcc_lo, v195, v159
	v_add_co_ci_u32_e64 v208, null, v196, v160, vcc_lo
	global_load_dword v5, v[205:206], off
	global_load_dword v205, v[207:208], off
	s_waitcnt vmcnt(0)
	buffer_store_dword v205, off, s[36:39], 0 offset:232 ; 4-byte Folded Spill
.LBB143_154:                            ;   in Loop: Header=BB143_145 Depth=1
	s_or_b32 exec_lo, exec_lo, s7
	v_add_co_u32 v205, vcc_lo, v161, 3
	v_add_co_ci_u32_e64 v206, null, 0, v162, vcc_lo
	v_cmp_gt_i64_e32 vcc_lo, s[8:9], v[205:206]
	v_mov_b32_e32 v205, 0
	buffer_store_dword v205, off, s[36:39], 0 offset:240 ; 4-byte Folded Spill
	v_mov_b32_e32 v205, 0
	buffer_store_dword v205, off, s[36:39], 0 offset:244 ; 4-byte Folded Spill
	s_and_saveexec_b32 s7, vcc_lo
	s_cbranch_execz .LBB143_156
; %bb.155:                              ;   in Loop: Header=BB143_145 Depth=1
	v_add_co_u32 v205, vcc_lo, v189, v159
	v_add_co_ci_u32_e64 v206, null, v190, v160, vcc_lo
	v_add_co_u32 v207, vcc_lo, v191, v159
	v_add_co_ci_u32_e64 v208, null, v192, v160, vcc_lo
	global_load_dword v6, v[205:206], off
	global_load_dword v205, v[207:208], off
	s_waitcnt vmcnt(0)
	buffer_store_dword v205, off, s[36:39], 0 offset:244 ; 4-byte Folded Spill
.LBB143_156:                            ;   in Loop: Header=BB143_145 Depth=1
	s_or_b32 exec_lo, exec_lo, s7
	v_add_co_u32 v205, vcc_lo, v161, 4
	v_add_co_ci_u32_e64 v206, null, 0, v162, vcc_lo
	s_mov_b32 s7, exec_lo
	v_cmpx_gt_i64_e64 s[8:9], v[205:206]
	s_cbranch_execz .LBB143_158
; %bb.157:                              ;   in Loop: Header=BB143_145 Depth=1
	v_add_co_u32 v205, vcc_lo, v185, v159
	v_add_co_ci_u32_e64 v206, null, v186, v160, vcc_lo
	v_add_co_u32 v207, vcc_lo, v187, v159
	v_add_co_ci_u32_e64 v208, null, v188, v160, vcc_lo
	global_load_dword v7, v[205:206], off
	global_load_dword v205, v[207:208], off
	s_waitcnt vmcnt(0)
	buffer_store_dword v205, off, s[36:39], 0 offset:240 ; 4-byte Folded Spill
.LBB143_158:                            ;   in Loop: Header=BB143_145 Depth=1
	;; [unrolled: 36-line block ×8, first 2 shown]
	s_or_b32 exec_lo, exec_lo, s7
	v_add_co_u32 v205, vcc_lo, v161, 17
	v_add_co_ci_u32_e64 v206, null, 0, v162, vcc_lo
	v_cmp_gt_i64_e32 vcc_lo, s[8:9], v[205:206]
	v_mov_b32_e32 v205, 0
	v_mov_b32_e32 v206, 0
	s_and_saveexec_b32 s7, vcc_lo
	s_cbranch_execz .LBB143_184
; %bb.183:                              ;   in Loop: Header=BB143_145 Depth=1
	buffer_load_dword v20, off, s[36:39], 0 offset:224 ; 4-byte Folded Reload
	s_waitcnt vmcnt(0)
	v_add_co_u32 v206, vcc_lo, v20, v159
	v_add_co_ci_u32_e64 v207, null, v225, v160, vcc_lo
	v_add_co_u32 v208, vcc_lo, v226, v159
	v_add_co_ci_u32_e64 v209, null, v227, v160, vcc_lo
	global_load_dword v20, v[206:207], off
	global_load_dword v206, v[208:209], off
.LBB143_184:                            ;   in Loop: Header=BB143_145 Depth=1
	s_or_b32 exec_lo, exec_lo, s7
	v_add_co_u32 v207, vcc_lo, v161, 18
	v_add_co_ci_u32_e64 v208, null, 0, v162, vcc_lo
	s_mov_b32 s7, exec_lo
	v_cmpx_gt_i64_e64 s[8:9], v[207:208]
	s_cbranch_execz .LBB143_186
; %bb.185:                              ;   in Loop: Header=BB143_145 Depth=1
	buffer_load_dword v21, off, s[36:39], 0 offset:208 ; 4-byte Folded Reload
	s_waitcnt vmcnt(0)
	v_add_co_u32 v207, vcc_lo, v21, v159
	buffer_load_dword v21, off, s[36:39], 0 offset:212 ; 4-byte Folded Reload
	s_waitcnt vmcnt(0)
	v_add_co_ci_u32_e64 v208, null, v21, v160, vcc_lo
	buffer_load_dword v21, off, s[36:39], 0 offset:216 ; 4-byte Folded Reload
	s_waitcnt vmcnt(0)
	v_add_co_u32 v209, vcc_lo, v21, v159
	buffer_load_dword v21, off, s[36:39], 0 offset:220 ; 4-byte Folded Reload
	s_waitcnt vmcnt(0)
	v_add_co_ci_u32_e64 v210, null, v21, v160, vcc_lo
	global_load_dword v21, v[207:208], off
	global_load_dword v205, v[209:210], off
.LBB143_186:                            ;   in Loop: Header=BB143_145 Depth=1
	s_or_b32 exec_lo, exec_lo, s7
	v_add_co_u32 v207, vcc_lo, v161, 19
	v_add_co_ci_u32_e64 v208, null, 0, v162, vcc_lo
	v_cmp_gt_i64_e32 vcc_lo, s[8:9], v[207:208]
	v_mov_b32_e32 v207, 0
	v_mov_b32_e32 v208, 0
	s_and_saveexec_b32 s7, vcc_lo
	s_cbranch_execz .LBB143_188
; %bb.187:                              ;   in Loop: Header=BB143_145 Depth=1
	buffer_load_dword v22, off, s[36:39], 0 offset:192 ; 4-byte Folded Reload
	s_waitcnt vmcnt(0)
	v_add_co_u32 v208, vcc_lo, v22, v159
	buffer_load_dword v22, off, s[36:39], 0 offset:196 ; 4-byte Folded Reload
	s_waitcnt vmcnt(0)
	v_add_co_ci_u32_e64 v209, null, v22, v160, vcc_lo
	buffer_load_dword v22, off, s[36:39], 0 offset:200 ; 4-byte Folded Reload
	s_waitcnt vmcnt(0)
	v_add_co_u32 v210, vcc_lo, v22, v159
	buffer_load_dword v22, off, s[36:39], 0 offset:204 ; 4-byte Folded Reload
	s_waitcnt vmcnt(0)
	v_add_co_ci_u32_e64 v211, null, v22, v160, vcc_lo
	global_load_dword v22, v[208:209], off
	global_load_dword v208, v[210:211], off
.LBB143_188:                            ;   in Loop: Header=BB143_145 Depth=1
	s_or_b32 exec_lo, exec_lo, s7
	v_add_co_u32 v209, vcc_lo, v161, 20
	v_add_co_ci_u32_e64 v210, null, 0, v162, vcc_lo
	s_mov_b32 s7, exec_lo
	v_cmpx_gt_i64_e64 s[8:9], v[209:210]
	s_cbranch_execz .LBB143_190
; %bb.189:                              ;   in Loop: Header=BB143_145 Depth=1
	buffer_load_dword v23, off, s[36:39], 0 offset:176 ; 4-byte Folded Reload
	s_waitcnt vmcnt(0)
	v_add_co_u32 v209, vcc_lo, v23, v159
	buffer_load_dword v23, off, s[36:39], 0 offset:180 ; 4-byte Folded Reload
	s_waitcnt vmcnt(0)
	v_add_co_ci_u32_e64 v210, null, v23, v160, vcc_lo
	buffer_load_dword v23, off, s[36:39], 0 offset:184 ; 4-byte Folded Reload
	s_waitcnt vmcnt(0)
	v_add_co_u32 v211, vcc_lo, v23, v159
	buffer_load_dword v23, off, s[36:39], 0 offset:188 ; 4-byte Folded Reload
	s_waitcnt vmcnt(0)
	v_add_co_ci_u32_e64 v212, null, v23, v160, vcc_lo
	global_load_dword v23, v[209:210], off
	global_load_dword v207, v[211:212], off
.LBB143_190:                            ;   in Loop: Header=BB143_145 Depth=1
	s_or_b32 exec_lo, exec_lo, s7
	v_add_co_u32 v209, vcc_lo, v161, 21
	v_add_co_ci_u32_e64 v210, null, 0, v162, vcc_lo
	v_cmp_gt_i64_e32 vcc_lo, s[8:9], v[209:210]
	v_mov_b32_e32 v209, 0
	v_mov_b32_e32 v210, 0
	s_and_saveexec_b32 s7, vcc_lo
	s_cbranch_execz .LBB143_192
; %bb.191:                              ;   in Loop: Header=BB143_145 Depth=1
	buffer_load_dword v24, off, s[36:39], 0 offset:160 ; 4-byte Folded Reload
	s_waitcnt vmcnt(0)
	v_add_co_u32 v210, vcc_lo, v24, v159
	buffer_load_dword v24, off, s[36:39], 0 offset:164 ; 4-byte Folded Reload
	s_waitcnt vmcnt(0)
	v_add_co_ci_u32_e64 v211, null, v24, v160, vcc_lo
	buffer_load_dword v24, off, s[36:39], 0 offset:168 ; 4-byte Folded Reload
	s_waitcnt vmcnt(0)
	v_add_co_u32 v212, vcc_lo, v24, v159
	buffer_load_dword v24, off, s[36:39], 0 offset:172 ; 4-byte Folded Reload
	s_waitcnt vmcnt(0)
	v_add_co_ci_u32_e64 v213, null, v24, v160, vcc_lo
	global_load_dword v24, v[210:211], off
	global_load_dword v210, v[212:213], off
.LBB143_192:                            ;   in Loop: Header=BB143_145 Depth=1
	;; [unrolled: 46-line block ×6, first 2 shown]
	s_or_b32 exec_lo, exec_lo, s7
	v_add_co_u32 v219, vcc_lo, v161, 30
	v_add_co_ci_u32_e64 v220, null, 0, v162, vcc_lo
	s_mov_b32 s7, exec_lo
	v_cmpx_gt_i64_e64 s[8:9], v[219:220]
	s_cbranch_execz .LBB143_210
; %bb.209:                              ;   in Loop: Header=BB143_145 Depth=1
	buffer_load_dword v33, off, s[36:39], 0 offset:16 ; 4-byte Folded Reload
	s_waitcnt vmcnt(0)
	v_add_co_u32 v219, vcc_lo, v33, v159
	buffer_load_dword v33, off, s[36:39], 0 offset:20 ; 4-byte Folded Reload
	s_waitcnt vmcnt(0)
	v_add_co_ci_u32_e64 v220, null, v33, v160, vcc_lo
	buffer_load_dword v33, off, s[36:39], 0 offset:24 ; 4-byte Folded Reload
	s_waitcnt vmcnt(0)
	v_add_co_u32 v221, vcc_lo, v33, v159
	buffer_load_dword v33, off, s[36:39], 0 offset:28 ; 4-byte Folded Reload
	s_waitcnt vmcnt(0)
	v_add_co_ci_u32_e64 v222, null, v33, v160, vcc_lo
	global_load_dword v33, v[219:220], off
	global_load_dword v217, v[221:222], off
.LBB143_210:                            ;   in Loop: Header=BB143_145 Depth=1
	s_or_b32 exec_lo, exec_lo, s7
	v_add_co_u32 v219, vcc_lo, v161, 31
	v_add_co_ci_u32_e64 v220, null, 0, v162, vcc_lo
	v_cmp_gt_i64_e32 vcc_lo, s[8:9], v[219:220]
	v_mov_b32_e32 v219, 0
	s_and_saveexec_b32 s7, vcc_lo
	s_cbranch_execz .LBB143_212
; %bb.211:                              ;   in Loop: Header=BB143_145 Depth=1
	buffer_load_dword v34, off, s[36:39], 0 ; 4-byte Folded Reload
	s_waitcnt vmcnt(0)
	v_add_co_u32 v219, vcc_lo, v34, v159
	buffer_load_dword v34, off, s[36:39], 0 offset:4 ; 4-byte Folded Reload
	s_waitcnt vmcnt(0)
	v_add_co_ci_u32_e64 v220, null, v34, v160, vcc_lo
	buffer_load_dword v34, off, s[36:39], 0 offset:8 ; 4-byte Folded Reload
	s_waitcnt vmcnt(0)
	v_add_co_u32 v221, vcc_lo, v34, v159
	buffer_load_dword v34, off, s[36:39], 0 offset:12 ; 4-byte Folded Reload
	s_waitcnt vmcnt(0)
	v_add_co_ci_u32_e64 v222, null, v34, v160, vcc_lo
	global_load_dword v34, v[219:220], off
	global_load_dword v219, v[221:222], off
.LBB143_212:                            ;   in Loop: Header=BB143_145 Depth=1
	s_or_b32 exec_lo, exec_lo, s7
	s_waitcnt vmcnt(0)
	v_mul_f32_e32 v3, v202, v3
	ds_bpermute_b32 v202, v2, v204
	s_mov_b32 s7, 0
	s_waitcnt lgkmcnt(0)
	v_fma_f32 v202, v3, v202, v203
	buffer_load_dword v3, off, s[36:39], 0 offset:236 ; 4-byte Folded Reload
	s_waitcnt vmcnt(0)
	v_mul_f32_e32 v3, v3, v4
	ds_bpermute_b32 v4, v2, v204 offset:4
	s_waitcnt lgkmcnt(0)
	v_fmac_f32_e32 v202, v3, v4
	buffer_load_dword v3, off, s[36:39], 0 offset:232 ; 4-byte Folded Reload
	ds_bpermute_b32 v4, v2, v204 offset:8
	s_waitcnt vmcnt(0)
	v_mul_f32_e32 v3, v3, v5
	v_mul_f32_e32 v5, v214, v28
	s_waitcnt lgkmcnt(0)
	v_fmac_f32_e32 v202, v3, v4
	buffer_load_dword v3, off, s[36:39], 0 offset:244 ; 4-byte Folded Reload
	ds_bpermute_b32 v4, v2, v204 offset:12
	s_waitcnt vmcnt(0)
	v_mul_f32_e32 v3, v3, v6
	ds_bpermute_b32 v6, v2, v204 offset:112
	s_waitcnt lgkmcnt(1)
	v_fmac_f32_e32 v202, v3, v4
	buffer_load_dword v3, off, s[36:39], 0 offset:240 ; 4-byte Folded Reload
	ds_bpermute_b32 v4, v2, v204 offset:16
	s_waitcnt vmcnt(0)
	v_mul_f32_e32 v3, v3, v7
	ds_bpermute_b32 v7, v2, v204 offset:120
	s_waitcnt lgkmcnt(1)
	v_fmac_f32_e32 v202, v3, v4
	buffer_load_dword v3, off, s[36:39], 0 offset:252 ; 4-byte Folded Reload
	ds_bpermute_b32 v4, v2, v204 offset:20
	s_waitcnt vmcnt(0)
	v_mul_f32_e32 v3, v3, v8
	v_mul_f32_e32 v8, v215, v31
	s_waitcnt lgkmcnt(0)
	v_fmac_f32_e32 v202, v3, v4
	buffer_load_dword v3, off, s[36:39], 0 offset:248 ; 4-byte Folded Reload
	ds_bpermute_b32 v4, v2, v204 offset:24
	s_waitcnt vmcnt(0)
	v_mul_f32_e32 v3, v3, v9
	s_waitcnt lgkmcnt(0)
	v_fmac_f32_e32 v202, v3, v4
	buffer_load_dword v3, off, s[36:39], 0 offset:260 ; 4-byte Folded Reload
	ds_bpermute_b32 v4, v2, v204 offset:28
	s_waitcnt vmcnt(0)
	v_mul_f32_e32 v3, v3, v10
	s_waitcnt lgkmcnt(0)
	v_fmac_f32_e32 v202, v3, v4
	buffer_load_dword v3, off, s[36:39], 0 offset:256 ; 4-byte Folded Reload
	ds_bpermute_b32 v4, v2, v204 offset:32
	s_waitcnt vmcnt(0)
	v_mul_f32_e32 v3, v3, v11
	s_waitcnt lgkmcnt(0)
	v_fmac_f32_e32 v202, v3, v4
	buffer_load_dword v3, off, s[36:39], 0 offset:268 ; 4-byte Folded Reload
	ds_bpermute_b32 v4, v2, v204 offset:36
	s_waitcnt vmcnt(0)
	v_mul_f32_e32 v3, v3, v12
	s_waitcnt lgkmcnt(0)
	v_fmac_f32_e32 v202, v3, v4
	buffer_load_dword v3, off, s[36:39], 0 offset:264 ; 4-byte Folded Reload
	ds_bpermute_b32 v4, v2, v204 offset:40
	s_waitcnt vmcnt(0)
	v_mul_f32_e32 v3, v3, v13
	s_waitcnt lgkmcnt(0)
	v_fmac_f32_e32 v202, v3, v4
	buffer_load_dword v3, off, s[36:39], 0 offset:276 ; 4-byte Folded Reload
	ds_bpermute_b32 v4, v2, v204 offset:44
	s_waitcnt vmcnt(0)
	v_mul_f32_e32 v3, v3, v14
	s_waitcnt lgkmcnt(0)
	v_fmac_f32_e32 v202, v3, v4
	buffer_load_dword v3, off, s[36:39], 0 offset:272 ; 4-byte Folded Reload
	ds_bpermute_b32 v4, v2, v204 offset:48
	s_waitcnt vmcnt(0)
	v_mul_f32_e32 v3, v3, v15
	s_waitcnt lgkmcnt(0)
	v_fmac_f32_e32 v202, v3, v4
	buffer_load_dword v3, off, s[36:39], 0 offset:284 ; 4-byte Folded Reload
	ds_bpermute_b32 v4, v2, v204 offset:52
	s_waitcnt vmcnt(0)
	v_mul_f32_e32 v3, v3, v16
	s_waitcnt lgkmcnt(0)
	v_fmac_f32_e32 v202, v3, v4
	buffer_load_dword v3, off, s[36:39], 0 offset:280 ; 4-byte Folded Reload
	ds_bpermute_b32 v4, v2, v204 offset:56
	s_waitcnt vmcnt(0)
	v_mul_f32_e32 v3, v3, v17
	s_waitcnt lgkmcnt(0)
	v_fmac_f32_e32 v202, v3, v4
	buffer_load_dword v3, off, s[36:39], 0 offset:292 ; 4-byte Folded Reload
	ds_bpermute_b32 v4, v2, v204 offset:60
	s_waitcnt vmcnt(0)
	v_mul_f32_e32 v3, v3, v18
	s_waitcnt lgkmcnt(0)
	v_fmac_f32_e32 v202, v3, v4
	buffer_load_dword v3, off, s[36:39], 0 offset:288 ; 4-byte Folded Reload
	ds_bpermute_b32 v4, v2, v204 offset:64
	s_waitcnt vmcnt(0)
	v_mul_f32_e32 v3, v3, v19
	s_waitcnt lgkmcnt(0)
	v_fmac_f32_e32 v202, v3, v4
	ds_bpermute_b32 v4, v2, v204 offset:68
	v_mul_f32_e32 v3, v206, v20
	s_waitcnt lgkmcnt(0)
	v_fmac_f32_e32 v202, v3, v4
	ds_bpermute_b32 v4, v2, v204 offset:72
	;; [unrolled: 4-line block ×9, first 2 shown]
	ds_bpermute_b32 v4, v2, v204 offset:104
	s_waitcnt lgkmcnt(1)
	v_fmac_f32_e32 v202, v5, v3
	ds_bpermute_b32 v3, v2, v204 offset:108
	v_mul_f32_e32 v5, v213, v29
	s_waitcnt lgkmcnt(1)
	v_fmac_f32_e32 v202, v5, v4
	ds_bpermute_b32 v4, v2, v204 offset:116
	v_mul_f32_e32 v5, v216, v30
	;; [unrolled: 4-line block ×3, first 2 shown]
	v_fmac_f32_e32 v202, v8, v6
	v_mul_f32_e32 v6, v217, v33
	s_waitcnt lgkmcnt(1)
	v_fmac_f32_e32 v202, v5, v4
	v_mul_f32_e32 v4, v219, v34
	v_fmac_f32_e32 v202, v6, v7
	s_waitcnt lgkmcnt(0)
	v_fmac_f32_e32 v202, v4, v3
.LBB143_213:                            ;   in Loop: Header=BB143_145 Depth=1
	s_and_b32 vcc_lo, exec_lo, s7
	s_cbranch_vccz .LBB143_217
; %bb.214:                              ;   in Loop: Header=BB143_145 Depth=1
	s_load_dword s7, s[20:21], 0x0
	v_mov_b32_e32 v5, 0
	s_waitcnt lgkmcnt(0)
	s_cmp_lt_u32 s6, s7
	s_cselect_b32 s7, 12, 18
	s_add_u32 s24, s20, s7
	s_addc_u32 s25, s21, 0
	s_mov_b32 s7, exec_lo
	global_load_ushort v3, v2, s[24:25]
	s_waitcnt vmcnt(0)
	v_mad_u32_u24 v3, v223, v3, v224
	v_and_b32_e32 v3, 31, v3
	v_add_co_u32 v3, vcc_lo, v161, v3
	v_add_co_ci_u32_e64 v4, null, 0, v162, vcc_lo
	v_cmpx_gt_i64_e64 s[8:9], v[3:4]
	s_cbranch_execz .LBB143_216
; %bb.215:                              ;   in Loop: Header=BB143_145 Depth=1
	v_lshlrev_b64 v[3:4], 2, v[3:4]
	v_add_co_u32 v3, vcc_lo, s16, v3
	v_add_co_ci_u32_e64 v4, null, s17, v4, vcc_lo
	global_load_dword v5, v[3:4], off
.LBB143_216:                            ;   in Loop: Header=BB143_145 Depth=1
	s_or_b32 exec_lo, exec_lo, s7
	v_add_co_u32 v3, vcc_lo, v164, v159
	v_add_co_ci_u32_e64 v4, null, v165, v160, vcc_lo
	global_load_dword v6, v[3:4], off
	v_add_co_u32 v3, vcc_lo, v166, v159
	v_add_co_ci_u32_e64 v4, null, v167, v160, vcc_lo
	global_load_dword v3, v[3:4], off
	s_waitcnt vmcnt(2)
	ds_bpermute_b32 v4, v2, v5
	s_waitcnt vmcnt(0)
	v_mul_f32_e32 v3, v6, v3
	s_waitcnt lgkmcnt(0)
	v_fmac_f32_e32 v203, v3, v4
	v_add_co_u32 v3, vcc_lo, v35, v159
	v_add_co_ci_u32_e64 v4, null, v36, v160, vcc_lo
	global_load_dword v6, v[3:4], off
	v_add_co_u32 v3, vcc_lo, v49, v159
	v_add_co_ci_u32_e64 v4, null, v50, v160, vcc_lo
	global_load_dword v3, v[3:4], off
	ds_bpermute_b32 v4, v2, v5 offset:4
	s_waitcnt vmcnt(0)
	v_mul_f32_e32 v3, v6, v3
	s_waitcnt lgkmcnt(0)
	v_fmac_f32_e32 v203, v3, v4
	v_add_co_u32 v3, vcc_lo, v37, v159
	v_add_co_ci_u32_e64 v4, null, v38, v160, vcc_lo
	global_load_dword v6, v[3:4], off
	v_add_co_u32 v3, vcc_lo, v53, v159
	v_add_co_ci_u32_e64 v4, null, v54, v160, vcc_lo
	global_load_dword v3, v[3:4], off
	ds_bpermute_b32 v4, v2, v5 offset:8
	;; [unrolled: 11-line block ×31, first 2 shown]
	s_waitcnt vmcnt(0)
	v_mul_f32_e32 v3, v6, v3
	s_waitcnt lgkmcnt(0)
	v_fmac_f32_e32 v203, v3, v4
	v_mov_b32_e32 v202, v203
.LBB143_217:                            ;   in Loop: Header=BB143_145 Depth=1
	s_clause 0x1
	buffer_load_dword v5, off, s[36:39], 0 offset:228
	buffer_load_dword v3, off, s[36:39], 0
	v_add_co_u32 v164, vcc_lo, v164, s12
	v_add_co_ci_u32_e64 v165, null, s13, v165, vcc_lo
	v_add_co_u32 v166, vcc_lo, v166, s12
	v_add_co_ci_u32_e64 v167, null, s13, v167, vcc_lo
	;; [unrolled: 2-line block ×64, first 2 shown]
	s_add_u32 s22, s22, s1
	s_addc_u32 s23, s23, 0
	s_add_u32 s14, s14, s1
	v_cmp_ge_i64_e64 s7, s[22:23], s[8:9]
	s_addc_u32 s15, 0, s15
	s_waitcnt vmcnt(1)
	v_add_co_u32 v5, vcc_lo, v5, s1
	v_add_co_ci_u32_e64 v201, null, 0, v201, vcc_lo
	s_waitcnt vmcnt(0)
	v_add_co_u32 v3, vcc_lo, v3, s12
	buffer_store_dword v3, off, s[36:39], 0 ; 4-byte Folded Spill
	buffer_load_dword v3, off, s[36:39], 0 offset:4 ; 4-byte Folded Reload
	s_waitcnt vmcnt(0)
	v_add_co_ci_u32_e64 v3, null, s13, v3, vcc_lo
	buffer_store_dword v3, off, s[36:39], 0 offset:4 ; 4-byte Folded Spill
	buffer_load_dword v3, off, s[36:39], 0 offset:8 ; 4-byte Folded Reload
	s_waitcnt vmcnt(0)
	v_add_co_u32 v3, vcc_lo, v3, s12
	buffer_store_dword v3, off, s[36:39], 0 offset:8 ; 4-byte Folded Spill
	buffer_load_dword v3, off, s[36:39], 0 offset:12 ; 4-byte Folded Reload
	s_waitcnt vmcnt(0)
	v_add_co_ci_u32_e64 v3, null, s13, v3, vcc_lo
	buffer_store_dword v3, off, s[36:39], 0 offset:12 ; 4-byte Folded Spill
	buffer_load_dword v3, off, s[36:39], 0 offset:16 ; 4-byte Folded Reload
	s_waitcnt vmcnt(0)
	v_add_co_u32 v3, vcc_lo, v3, s12
	buffer_store_dword v3, off, s[36:39], 0 offset:16 ; 4-byte Folded Spill
	;; [unrolled: 8-line block ×27, first 2 shown]
	buffer_load_dword v3, off, s[36:39], 0 offset:220 ; 4-byte Folded Reload
	s_waitcnt vmcnt(0)
	v_add_co_ci_u32_e64 v3, null, s13, v3, vcc_lo
	buffer_store_dword v3, off, s[36:39], 0 offset:220 ; 4-byte Folded Spill
	buffer_load_dword v3, off, s[36:39], 0 offset:224 ; 4-byte Folded Reload
	s_waitcnt vmcnt(0)
	v_add_co_u32 v3, vcc_lo, v3, s12
	v_add_co_ci_u32_e64 v225, null, s13, v225, vcc_lo
	v_add_co_u32 v226, vcc_lo, v226, s12
	v_add_co_ci_u32_e64 v227, null, s13, v227, vcc_lo
	;; [unrolled: 2-line block ×34, first 2 shown]
	s_and_b32 vcc_lo, exec_lo, s7
	buffer_store_dword v3, off, s[36:39], 0 offset:224 ; 4-byte Folded Spill
	s_cbranch_vccnz .LBB143_219
; %bb.218:                              ;   in Loop: Header=BB143_145 Depth=1
	v_mov_b32_e32 v203, v202
	s_branch .LBB143_145
.LBB143_219:
	s_mov_b32 s7, 0
	s_lshl_b64 s[6:7], s[6:7], 6
	s_waitcnt lgkmcnt(0)
	s_cmp_lg_u64 s[2:3], 0
	v_or_b32_e32 v3, s6, v224
	v_mov_b32_e32 v4, s7
	s_cselect_b32 s1, -1, 0
	v_cmp_gt_i64_e32 vcc_lo, s[10:11], v[3:4]
	s_and_b32 s1, vcc_lo, s1
	s_and_saveexec_b32 s6, s1
	s_cbranch_execz .LBB143_221
; %bb.220:
	s_load_dword s1, s[4:5], 0x4c
	v_mov_b32_e32 v224, 0
	s_waitcnt lgkmcnt(0)
	s_lshr_b32 s1, s1, 16
	v_mad_u64_u32 v[0:1], null, s1, s0, v[223:224]
	v_mul_lo_u32 v2, v1, s10
	v_mul_lo_u32 v5, v0, s11
	v_mad_u64_u32 v[0:1], null, v0, s10, 0
	v_add3_u32 v1, v1, v5, v2
	v_lshlrev_b64 v[2:3], 2, v[3:4]
	v_lshlrev_b64 v[0:1], 2, v[0:1]
	v_add_co_u32 v0, vcc_lo, s2, v0
	v_add_co_ci_u32_e64 v1, null, s3, v1, vcc_lo
	v_add_co_u32 v0, vcc_lo, v0, v2
	v_add_co_ci_u32_e64 v1, null, v1, v3, vcc_lo
	global_store_dword v[0:1], v202, off
.LBB143_221:
	s_endpgm
	.section	.rodata,"a",@progbits
	.p2align	6, 0x0
	.amdhsa_kernel _ZN2at6native12_GLOBAL__N_135GammaBetaBackwardCUDAKernelTemplateIffLj64ELj1ELj32ELb1ELb0ELb1EEEvllPKT_S5_PKT0_S8_PS3_S9_
		.amdhsa_group_segment_fixed_size 0
		.amdhsa_private_segment_fixed_size 300
		.amdhsa_kernarg_size 320
		.amdhsa_user_sgpr_count 6
		.amdhsa_user_sgpr_private_segment_buffer 1
		.amdhsa_user_sgpr_dispatch_ptr 0
		.amdhsa_user_sgpr_queue_ptr 0
		.amdhsa_user_sgpr_kernarg_segment_ptr 1
		.amdhsa_user_sgpr_dispatch_id 0
		.amdhsa_user_sgpr_flat_scratch_init 0
		.amdhsa_user_sgpr_private_segment_size 0
		.amdhsa_wavefront_size32 1
		.amdhsa_uses_dynamic_stack 0
		.amdhsa_system_sgpr_private_segment_wavefront_offset 1
		.amdhsa_system_sgpr_workgroup_id_x 1
		.amdhsa_system_sgpr_workgroup_id_y 1
		.amdhsa_system_sgpr_workgroup_id_z 0
		.amdhsa_system_sgpr_workgroup_info 0
		.amdhsa_system_vgpr_workitem_id 1
		.amdhsa_next_free_vgpr 256
		.amdhsa_next_free_sgpr 40
		.amdhsa_reserve_vcc 1
		.amdhsa_reserve_flat_scratch 0
		.amdhsa_float_round_mode_32 0
		.amdhsa_float_round_mode_16_64 0
		.amdhsa_float_denorm_mode_32 3
		.amdhsa_float_denorm_mode_16_64 3
		.amdhsa_dx10_clamp 1
		.amdhsa_ieee_mode 1
		.amdhsa_fp16_overflow 0
		.amdhsa_workgroup_processor_mode 1
		.amdhsa_memory_ordered 1
		.amdhsa_forward_progress 1
		.amdhsa_shared_vgpr_count 0
		.amdhsa_exception_fp_ieee_invalid_op 0
		.amdhsa_exception_fp_denorm_src 0
		.amdhsa_exception_fp_ieee_div_zero 0
		.amdhsa_exception_fp_ieee_overflow 0
		.amdhsa_exception_fp_ieee_underflow 0
		.amdhsa_exception_fp_ieee_inexact 0
		.amdhsa_exception_int_div_zero 0
	.end_amdhsa_kernel
	.section	.text._ZN2at6native12_GLOBAL__N_135GammaBetaBackwardCUDAKernelTemplateIffLj64ELj1ELj32ELb1ELb0ELb1EEEvllPKT_S5_PKT0_S8_PS3_S9_,"axG",@progbits,_ZN2at6native12_GLOBAL__N_135GammaBetaBackwardCUDAKernelTemplateIffLj64ELj1ELj32ELb1ELb0ELb1EEEvllPKT_S5_PKT0_S8_PS3_S9_,comdat
.Lfunc_end143:
	.size	_ZN2at6native12_GLOBAL__N_135GammaBetaBackwardCUDAKernelTemplateIffLj64ELj1ELj32ELb1ELb0ELb1EEEvllPKT_S5_PKT0_S8_PS3_S9_, .Lfunc_end143-_ZN2at6native12_GLOBAL__N_135GammaBetaBackwardCUDAKernelTemplateIffLj64ELj1ELj32ELb1ELb0ELb1EEEvllPKT_S5_PKT0_S8_PS3_S9_
                                        ; -- End function
	.set _ZN2at6native12_GLOBAL__N_135GammaBetaBackwardCUDAKernelTemplateIffLj64ELj1ELj32ELb1ELb0ELb1EEEvllPKT_S5_PKT0_S8_PS3_S9_.num_vgpr, 256
	.set _ZN2at6native12_GLOBAL__N_135GammaBetaBackwardCUDAKernelTemplateIffLj64ELj1ELj32ELb1ELb0ELb1EEEvllPKT_S5_PKT0_S8_PS3_S9_.num_agpr, 0
	.set _ZN2at6native12_GLOBAL__N_135GammaBetaBackwardCUDAKernelTemplateIffLj64ELj1ELj32ELb1ELb0ELb1EEEvllPKT_S5_PKT0_S8_PS3_S9_.numbered_sgpr, 40
	.set _ZN2at6native12_GLOBAL__N_135GammaBetaBackwardCUDAKernelTemplateIffLj64ELj1ELj32ELb1ELb0ELb1EEEvllPKT_S5_PKT0_S8_PS3_S9_.num_named_barrier, 0
	.set _ZN2at6native12_GLOBAL__N_135GammaBetaBackwardCUDAKernelTemplateIffLj64ELj1ELj32ELb1ELb0ELb1EEEvllPKT_S5_PKT0_S8_PS3_S9_.private_seg_size, 300
	.set _ZN2at6native12_GLOBAL__N_135GammaBetaBackwardCUDAKernelTemplateIffLj64ELj1ELj32ELb1ELb0ELb1EEEvllPKT_S5_PKT0_S8_PS3_S9_.uses_vcc, 1
	.set _ZN2at6native12_GLOBAL__N_135GammaBetaBackwardCUDAKernelTemplateIffLj64ELj1ELj32ELb1ELb0ELb1EEEvllPKT_S5_PKT0_S8_PS3_S9_.uses_flat_scratch, 0
	.set _ZN2at6native12_GLOBAL__N_135GammaBetaBackwardCUDAKernelTemplateIffLj64ELj1ELj32ELb1ELb0ELb1EEEvllPKT_S5_PKT0_S8_PS3_S9_.has_dyn_sized_stack, 0
	.set _ZN2at6native12_GLOBAL__N_135GammaBetaBackwardCUDAKernelTemplateIffLj64ELj1ELj32ELb1ELb0ELb1EEEvllPKT_S5_PKT0_S8_PS3_S9_.has_recursion, 0
	.set _ZN2at6native12_GLOBAL__N_135GammaBetaBackwardCUDAKernelTemplateIffLj64ELj1ELj32ELb1ELb0ELb1EEEvllPKT_S5_PKT0_S8_PS3_S9_.has_indirect_call, 0
	.section	.AMDGPU.csdata,"",@progbits
; Kernel info:
; codeLenInByte = 27652
; TotalNumSgprs: 42
; NumVgprs: 256
; ScratchSize: 300
; MemoryBound: 0
; FloatMode: 240
; IeeeMode: 1
; LDSByteSize: 0 bytes/workgroup (compile time only)
; SGPRBlocks: 0
; VGPRBlocks: 31
; NumSGPRsForWavesPerEU: 42
; NumVGPRsForWavesPerEU: 256
; Occupancy: 4
; WaveLimiterHint : 0
; COMPUTE_PGM_RSRC2:SCRATCH_EN: 1
; COMPUTE_PGM_RSRC2:USER_SGPR: 6
; COMPUTE_PGM_RSRC2:TRAP_HANDLER: 0
; COMPUTE_PGM_RSRC2:TGID_X_EN: 1
; COMPUTE_PGM_RSRC2:TGID_Y_EN: 1
; COMPUTE_PGM_RSRC2:TGID_Z_EN: 0
; COMPUTE_PGM_RSRC2:TIDIG_COMP_CNT: 1
	.section	.text._ZN2at6native12_GLOBAL__N_135GammaBetaBackwardCUDAKernelTemplateIffLj64ELj1ELj8ELb1ELb1ELb1EEEvllPKT_S5_PKT0_S8_PS3_S9_,"axG",@progbits,_ZN2at6native12_GLOBAL__N_135GammaBetaBackwardCUDAKernelTemplateIffLj64ELj1ELj8ELb1ELb1ELb1EEEvllPKT_S5_PKT0_S8_PS3_S9_,comdat
	.globl	_ZN2at6native12_GLOBAL__N_135GammaBetaBackwardCUDAKernelTemplateIffLj64ELj1ELj8ELb1ELb1ELb1EEEvllPKT_S5_PKT0_S8_PS3_S9_ ; -- Begin function _ZN2at6native12_GLOBAL__N_135GammaBetaBackwardCUDAKernelTemplateIffLj64ELj1ELj8ELb1ELb1ELb1EEEvllPKT_S5_PKT0_S8_PS3_S9_
	.p2align	8
	.type	_ZN2at6native12_GLOBAL__N_135GammaBetaBackwardCUDAKernelTemplateIffLj64ELj1ELj8ELb1ELb1ELb1EEEvllPKT_S5_PKT0_S8_PS3_S9_,@function
_ZN2at6native12_GLOBAL__N_135GammaBetaBackwardCUDAKernelTemplateIffLj64ELj1ELj8ELb1ELb1ELb1EEEvllPKT_S5_PKT0_S8_PS3_S9_: ; @_ZN2at6native12_GLOBAL__N_135GammaBetaBackwardCUDAKernelTemplateIffLj64ELj1ELj8ELb1ELb1ELb1EEEvllPKT_S5_PKT0_S8_PS3_S9_
; %bb.0:
	s_clause 0x1
	s_load_dwordx4 s[8:11], s[4:5], 0x0
	s_load_dwordx2 s[2:3], s[4:5], 0x30
	s_lshl_b32 s16, s7, 3
	s_mov_b32 s17, 0
	v_mov_b32_e32 v13, 0
	s_waitcnt lgkmcnt(0)
	v_cmp_le_i64_e64 s0, s[8:9], s[16:17]
	s_and_b32 vcc_lo, exec_lo, s0
	s_cbranch_vccnz .LBB144_7
; %bb.1:
	s_clause 0x3
	s_load_dword s0, s[4:5], 0x4c
	s_load_dword s1, s[4:5], 0x44
	s_load_dwordx4 s[12:15], s[4:5], 0x10
	s_load_dwordx2 s[20:21], s[4:5], 0x28
	v_lshlrev_b32_e32 v4, 3, v1
	v_mov_b32_e32 v3, 0
	v_lshl_or_b32 v2, s6, 6, v0
	v_mov_b32_e32 v8, 8
	v_mov_b32_e32 v9, 4
	v_add_co_u32 v4, s18, v4, s16
	v_add_co_ci_u32_e64 v5, null, 0, 0, s18
	v_lshlrev_b64 v[16:17], 2, v[2:3]
	v_mul_lo_u32 v13, s11, v4
	v_mov_b32_e32 v10, 12
	v_mul_lo_u32 v18, s10, v5
	v_mov_b32_e32 v11, 16
	v_mov_b32_e32 v12, 20
	;; [unrolled: 1-line block ×3, first 2 shown]
	s_waitcnt lgkmcnt(0)
	s_and_b32 s0, s0, 0xffff
	s_lshl_b32 s18, s1, 3
	v_mad_u32_u24 v6, v1, s0, v0
	s_mul_i32 s1, s11, s18
	s_mul_hi_u32 s22, s10, s18
	v_mov_b32_e32 v15, 28
	s_mov_b32 s19, s17
	v_and_b32_e32 v22, 31, v6
	v_mad_u64_u32 v[6:7], null, s10, v4, 0
	s_add_i32 s23, s22, s1
	s_mul_i32 s22, s10, s18
	v_add_co_u32 v4, vcc_lo, v4, v22
	v_add_co_ci_u32_e64 v5, null, 0, v5, vcc_lo
	v_add3_u32 v7, v7, v18, v13
	v_cmp_gt_u32_e64 s0, 8, v22
	v_mov_b32_e32 v13, 0
	v_lshlrev_b64 v[18:19], 2, v[4:5]
	s_lshl_b64 s[22:23], s[22:23], 2
	v_lshlrev_b64 v[20:21], 2, v[6:7]
	s_lshl_b64 s[24:25], s[10:11], 2
	v_add_co_u32 v6, vcc_lo, s20, v18
	v_add_co_ci_u32_e64 v7, null, s21, v19, vcc_lo
	v_add_co_u32 v2, vcc_lo, v20, v16
	v_add_co_ci_u32_e64 v16, null, v21, v17, vcc_lo
	s_lshl_b64 s[20:21], s[18:19], 2
	s_branch .LBB144_4
.LBB144_2:                              ;   in Loop: Header=BB144_4 Depth=1
	s_or_b32 exec_lo, exec_lo, s19
.LBB144_3:                              ;   in Loop: Header=BB144_4 Depth=1
	s_or_b32 exec_lo, exec_lo, s1
	v_add_co_u32 v18, vcc_lo, s12, v2
	v_add_co_ci_u32_e64 v19, null, s13, v16, vcc_lo
	v_add_co_u32 v20, vcc_lo, s14, v2
	v_add_co_ci_u32_e64 v21, null, s15, v16, vcc_lo
	;; [unrolled: 2-line block ×5, first 2 shown]
	global_load_dword v28, v[18:19], off
	global_load_dword v29, v[20:21], off
	;; [unrolled: 1-line block ×5, first 2 shown]
	v_add_co_u32 v18, vcc_lo, v24, s24
	v_add_co_ci_u32_e64 v19, null, s25, v25, vcc_lo
	v_add_co_u32 v20, vcc_lo, v26, s24
	v_add_co_ci_u32_e64 v21, null, s25, v27, vcc_lo
	v_add_co_u32 v22, vcc_lo, v18, s24
	v_add_co_ci_u32_e64 v23, null, s25, v19, vcc_lo
	v_add_co_u32 v24, vcc_lo, v20, s24
	v_add_co_ci_u32_e64 v25, null, s25, v21, vcc_lo
	v_add_co_u32 v26, vcc_lo, v22, s24
	v_add_co_ci_u32_e64 v27, null, s25, v23, vcc_lo
	global_load_dword v33, v[18:19], off
	global_load_dword v34, v[20:21], off
	;; [unrolled: 1-line block ×5, first 2 shown]
	v_add_co_u32 v18, vcc_lo, v24, s24
	v_add_co_ci_u32_e64 v19, null, s25, v25, vcc_lo
	v_add_co_u32 v20, vcc_lo, v26, s24
	v_add_co_ci_u32_e64 v21, null, s25, v27, vcc_lo
	v_add_co_u32 v22, vcc_lo, v18, s24
	v_add_co_ci_u32_e64 v23, null, s25, v19, vcc_lo
	v_add_co_u32 v24, vcc_lo, v20, s24
	v_add_co_ci_u32_e64 v25, null, s25, v21, vcc_lo
	global_load_dword v26, v[18:19], off
	global_load_dword v27, v[20:21], off
	;; [unrolled: 1-line block ×4, first 2 shown]
	v_add_co_u32 v18, vcc_lo, v22, s24
	v_add_co_ci_u32_e64 v19, null, s25, v23, vcc_lo
	v_add_co_u32 v20, vcc_lo, v24, s24
	v_add_co_ci_u32_e64 v21, null, s25, v25, vcc_lo
	global_load_dword v18, v[18:19], off
	global_load_dword v19, v[20:21], off
	s_waitcnt vmcnt(16)
	ds_bpermute_b32 v20, v3, v17
	ds_bpermute_b32 v21, v9, v17
	;; [unrolled: 1-line block ×4, first 2 shown]
	s_add_u32 s16, s16, s18
	v_add_co_u32 v6, vcc_lo, v6, s20
	s_addc_u32 s17, s17, 0
	v_add_co_ci_u32_e64 v7, null, s21, v7, vcc_lo
	v_add_co_u32 v4, vcc_lo, v4, s18
	v_cmp_lt_i64_e64 s1, s[16:17], s[8:9]
	v_add_co_ci_u32_e64 v5, null, 0, v5, vcc_lo
	v_add_co_u32 v2, vcc_lo, v2, s22
	v_add_co_ci_u32_e64 v16, null, s23, v16, vcc_lo
	s_and_b32 vcc_lo, exec_lo, s1
	s_waitcnt vmcnt(14)
	v_mul_f32_e32 v23, v28, v29
	s_waitcnt lgkmcnt(3)
	v_fmac_f32_e32 v13, v23, v20
	s_waitcnt vmcnt(12)
	v_mul_f32_e32 v20, v30, v31
	ds_bpermute_b32 v23, v11, v17
	s_waitcnt lgkmcnt(3)
	v_fmac_f32_e32 v13, v20, v21
	ds_bpermute_b32 v21, v12, v17
	s_waitcnt vmcnt(10)
	v_mul_f32_e32 v20, v32, v33
	s_waitcnt lgkmcnt(3)
	v_fmac_f32_e32 v13, v20, v22
	s_waitcnt vmcnt(8)
	v_mul_f32_e32 v20, v34, v35
	ds_bpermute_b32 v22, v14, v17
	ds_bpermute_b32 v17, v15, v17
	s_waitcnt lgkmcnt(4)
	v_fmac_f32_e32 v13, v20, v24
	s_waitcnt vmcnt(6)
	v_mul_f32_e32 v20, v36, v37
	s_waitcnt lgkmcnt(3)
	v_fmac_f32_e32 v13, v20, v23
	s_waitcnt vmcnt(4)
	v_mul_f32_e32 v20, v26, v27
	;; [unrolled: 4-line block ×4, first 2 shown]
	s_waitcnt lgkmcnt(0)
	v_fmac_f32_e32 v13, v18, v17
	s_cbranch_vccz .LBB144_7
.LBB144_4:                              ; =>This Inner Loop Header: Depth=1
	v_mov_b32_e32 v17, 0
	s_and_saveexec_b32 s1, s0
	s_cbranch_execz .LBB144_3
; %bb.5:                                ;   in Loop: Header=BB144_4 Depth=1
	v_mov_b32_e32 v17, 0
	s_mov_b32 s19, exec_lo
	v_cmpx_gt_i64_e64 s[8:9], v[4:5]
	s_cbranch_execz .LBB144_2
; %bb.6:                                ;   in Loop: Header=BB144_4 Depth=1
	global_load_dword v17, v[6:7], off
	s_branch .LBB144_2
.LBB144_7:
	s_cmp_eq_u64 s[2:3], 0
	s_cbranch_scc1 .LBB144_9
; %bb.8:
	s_load_dword s0, s[4:5], 0x4c
	v_mov_b32_e32 v2, 0
	v_lshlrev_b32_e32 v0, 2, v0
	s_waitcnt lgkmcnt(0)
	s_lshr_b32 s0, s0, 16
	v_mad_u64_u32 v[1:2], null, s0, s7, v[1:2]
	s_mov_b32 s7, 0
	s_lshl_b64 s[0:1], s[6:7], 8
	v_mul_lo_u32 v3, v2, s10
	v_mul_lo_u32 v4, v1, s11
	v_mad_u64_u32 v[1:2], null, v1, s10, 0
	v_add3_u32 v2, v2, v4, v3
	v_lshlrev_b64 v[1:2], 2, v[1:2]
	v_add_co_u32 v1, vcc_lo, s2, v1
	v_add_co_ci_u32_e64 v2, null, s3, v2, vcc_lo
	v_add_co_u32 v1, vcc_lo, v1, s0
	v_add_co_ci_u32_e64 v2, null, s1, v2, vcc_lo
	;; [unrolled: 2-line block ×3, first 2 shown]
	global_store_dword v[0:1], v13, off
.LBB144_9:
	s_endpgm
	.section	.rodata,"a",@progbits
	.p2align	6, 0x0
	.amdhsa_kernel _ZN2at6native12_GLOBAL__N_135GammaBetaBackwardCUDAKernelTemplateIffLj64ELj1ELj8ELb1ELb1ELb1EEEvllPKT_S5_PKT0_S8_PS3_S9_
		.amdhsa_group_segment_fixed_size 0
		.amdhsa_private_segment_fixed_size 0
		.amdhsa_kernarg_size 320
		.amdhsa_user_sgpr_count 6
		.amdhsa_user_sgpr_private_segment_buffer 1
		.amdhsa_user_sgpr_dispatch_ptr 0
		.amdhsa_user_sgpr_queue_ptr 0
		.amdhsa_user_sgpr_kernarg_segment_ptr 1
		.amdhsa_user_sgpr_dispatch_id 0
		.amdhsa_user_sgpr_flat_scratch_init 0
		.amdhsa_user_sgpr_private_segment_size 0
		.amdhsa_wavefront_size32 1
		.amdhsa_uses_dynamic_stack 0
		.amdhsa_system_sgpr_private_segment_wavefront_offset 0
		.amdhsa_system_sgpr_workgroup_id_x 1
		.amdhsa_system_sgpr_workgroup_id_y 1
		.amdhsa_system_sgpr_workgroup_id_z 0
		.amdhsa_system_sgpr_workgroup_info 0
		.amdhsa_system_vgpr_workitem_id 1
		.amdhsa_next_free_vgpr 40
		.amdhsa_next_free_sgpr 26
		.amdhsa_reserve_vcc 1
		.amdhsa_reserve_flat_scratch 0
		.amdhsa_float_round_mode_32 0
		.amdhsa_float_round_mode_16_64 0
		.amdhsa_float_denorm_mode_32 3
		.amdhsa_float_denorm_mode_16_64 3
		.amdhsa_dx10_clamp 1
		.amdhsa_ieee_mode 1
		.amdhsa_fp16_overflow 0
		.amdhsa_workgroup_processor_mode 1
		.amdhsa_memory_ordered 1
		.amdhsa_forward_progress 1
		.amdhsa_shared_vgpr_count 0
		.amdhsa_exception_fp_ieee_invalid_op 0
		.amdhsa_exception_fp_denorm_src 0
		.amdhsa_exception_fp_ieee_div_zero 0
		.amdhsa_exception_fp_ieee_overflow 0
		.amdhsa_exception_fp_ieee_underflow 0
		.amdhsa_exception_fp_ieee_inexact 0
		.amdhsa_exception_int_div_zero 0
	.end_amdhsa_kernel
	.section	.text._ZN2at6native12_GLOBAL__N_135GammaBetaBackwardCUDAKernelTemplateIffLj64ELj1ELj8ELb1ELb1ELb1EEEvllPKT_S5_PKT0_S8_PS3_S9_,"axG",@progbits,_ZN2at6native12_GLOBAL__N_135GammaBetaBackwardCUDAKernelTemplateIffLj64ELj1ELj8ELb1ELb1ELb1EEEvllPKT_S5_PKT0_S8_PS3_S9_,comdat
.Lfunc_end144:
	.size	_ZN2at6native12_GLOBAL__N_135GammaBetaBackwardCUDAKernelTemplateIffLj64ELj1ELj8ELb1ELb1ELb1EEEvllPKT_S5_PKT0_S8_PS3_S9_, .Lfunc_end144-_ZN2at6native12_GLOBAL__N_135GammaBetaBackwardCUDAKernelTemplateIffLj64ELj1ELj8ELb1ELb1ELb1EEEvllPKT_S5_PKT0_S8_PS3_S9_
                                        ; -- End function
	.set _ZN2at6native12_GLOBAL__N_135GammaBetaBackwardCUDAKernelTemplateIffLj64ELj1ELj8ELb1ELb1ELb1EEEvllPKT_S5_PKT0_S8_PS3_S9_.num_vgpr, 40
	.set _ZN2at6native12_GLOBAL__N_135GammaBetaBackwardCUDAKernelTemplateIffLj64ELj1ELj8ELb1ELb1ELb1EEEvllPKT_S5_PKT0_S8_PS3_S9_.num_agpr, 0
	.set _ZN2at6native12_GLOBAL__N_135GammaBetaBackwardCUDAKernelTemplateIffLj64ELj1ELj8ELb1ELb1ELb1EEEvllPKT_S5_PKT0_S8_PS3_S9_.numbered_sgpr, 26
	.set _ZN2at6native12_GLOBAL__N_135GammaBetaBackwardCUDAKernelTemplateIffLj64ELj1ELj8ELb1ELb1ELb1EEEvllPKT_S5_PKT0_S8_PS3_S9_.num_named_barrier, 0
	.set _ZN2at6native12_GLOBAL__N_135GammaBetaBackwardCUDAKernelTemplateIffLj64ELj1ELj8ELb1ELb1ELb1EEEvllPKT_S5_PKT0_S8_PS3_S9_.private_seg_size, 0
	.set _ZN2at6native12_GLOBAL__N_135GammaBetaBackwardCUDAKernelTemplateIffLj64ELj1ELj8ELb1ELb1ELb1EEEvllPKT_S5_PKT0_S8_PS3_S9_.uses_vcc, 1
	.set _ZN2at6native12_GLOBAL__N_135GammaBetaBackwardCUDAKernelTemplateIffLj64ELj1ELj8ELb1ELb1ELb1EEEvllPKT_S5_PKT0_S8_PS3_S9_.uses_flat_scratch, 0
	.set _ZN2at6native12_GLOBAL__N_135GammaBetaBackwardCUDAKernelTemplateIffLj64ELj1ELj8ELb1ELb1ELb1EEEvllPKT_S5_PKT0_S8_PS3_S9_.has_dyn_sized_stack, 0
	.set _ZN2at6native12_GLOBAL__N_135GammaBetaBackwardCUDAKernelTemplateIffLj64ELj1ELj8ELb1ELb1ELb1EEEvllPKT_S5_PKT0_S8_PS3_S9_.has_recursion, 0
	.set _ZN2at6native12_GLOBAL__N_135GammaBetaBackwardCUDAKernelTemplateIffLj64ELj1ELj8ELb1ELb1ELb1EEEvllPKT_S5_PKT0_S8_PS3_S9_.has_indirect_call, 0
	.section	.AMDGPU.csdata,"",@progbits
; Kernel info:
; codeLenInByte = 1180
; TotalNumSgprs: 28
; NumVgprs: 40
; ScratchSize: 0
; MemoryBound: 0
; FloatMode: 240
; IeeeMode: 1
; LDSByteSize: 0 bytes/workgroup (compile time only)
; SGPRBlocks: 0
; VGPRBlocks: 4
; NumSGPRsForWavesPerEU: 28
; NumVGPRsForWavesPerEU: 40
; Occupancy: 16
; WaveLimiterHint : 0
; COMPUTE_PGM_RSRC2:SCRATCH_EN: 0
; COMPUTE_PGM_RSRC2:USER_SGPR: 6
; COMPUTE_PGM_RSRC2:TRAP_HANDLER: 0
; COMPUTE_PGM_RSRC2:TGID_X_EN: 1
; COMPUTE_PGM_RSRC2:TGID_Y_EN: 1
; COMPUTE_PGM_RSRC2:TGID_Z_EN: 0
; COMPUTE_PGM_RSRC2:TIDIG_COMP_CNT: 1
	.section	.text._ZN2at6native12_GLOBAL__N_135GammaBetaBackwardCUDAKernelTemplateIffLj64ELj1ELj8ELb1ELb0ELb1EEEvllPKT_S5_PKT0_S8_PS3_S9_,"axG",@progbits,_ZN2at6native12_GLOBAL__N_135GammaBetaBackwardCUDAKernelTemplateIffLj64ELj1ELj8ELb1ELb0ELb1EEEvllPKT_S5_PKT0_S8_PS3_S9_,comdat
	.globl	_ZN2at6native12_GLOBAL__N_135GammaBetaBackwardCUDAKernelTemplateIffLj64ELj1ELj8ELb1ELb0ELb1EEEvllPKT_S5_PKT0_S8_PS3_S9_ ; -- Begin function _ZN2at6native12_GLOBAL__N_135GammaBetaBackwardCUDAKernelTemplateIffLj64ELj1ELj8ELb1ELb0ELb1EEEvllPKT_S5_PKT0_S8_PS3_S9_
	.p2align	8
	.type	_ZN2at6native12_GLOBAL__N_135GammaBetaBackwardCUDAKernelTemplateIffLj64ELj1ELj8ELb1ELb0ELb1EEEvllPKT_S5_PKT0_S8_PS3_S9_,@function
_ZN2at6native12_GLOBAL__N_135GammaBetaBackwardCUDAKernelTemplateIffLj64ELj1ELj8ELb1ELb0ELb1EEEvllPKT_S5_PKT0_S8_PS3_S9_: ; @_ZN2at6native12_GLOBAL__N_135GammaBetaBackwardCUDAKernelTemplateIffLj64ELj1ELj8ELb1ELb0ELb1EEEvllPKT_S5_PKT0_S8_PS3_S9_
; %bb.0:
	s_clause 0x1
	s_load_dwordx8 s[8:15], s[4:5], 0x0
	s_load_dwordx2 s[16:17], s[4:5], 0x28
	s_mov_b32 s0, s7
	s_lshl_b32 s7, s6, 6
	s_mov_b32 s19, 0
	s_or_b32 s18, s7, 63
	s_waitcnt lgkmcnt(0)
	v_cmp_le_i64_e64 s1, s[10:11], s[18:19]
	s_lshl_b32 s18, s0, 3
	v_cmp_gt_i64_e64 s26, s[8:9], s[18:19]
	s_and_b32 vcc_lo, exec_lo, s1
	v_cndmask_b32_e64 v2, 0, 1, s26
	v_cmp_ne_u32_e64 s1, 1, v2
	s_cbranch_vccz .LBB145_49
; %bb.1:
	v_mov_b32_e32 v86, 0
	s_and_b32 vcc_lo, exec_lo, s1
	s_cbranch_vccnz .LBB145_50
; %bb.2:
	v_lshlrev_b32_e32 v23, 3, v1
	v_mov_b32_e32 v2, 0
	v_add_nc_u32_e32 v3, s7, v0
	s_load_dword s2, s[4:5], 0x44
	s_add_u32 s20, s4, 64
	v_add_co_u32 v11, s1, v23, s18
	v_add_co_ci_u32_e64 v12, null, 0, 0, s1
	v_mov_b32_e32 v4, v2
	v_mul_lo_u32 v7, s11, v11
	v_mad_u64_u32 v[5:6], null, s10, v11, 0
	v_mul_lo_u32 v8, s10, v12
	v_cmp_gt_i64_e64 s1, s[10:11], v[3:4]
	v_lshlrev_b64 v[19:20], 2, v[3:4]
	s_addc_u32 s21, s5, 0
	v_mov_b32_e32 v24, v2
	v_mov_b32_e32 v57, 0
	s_mov_b64 s[24:25], s[18:19]
	v_add3_u32 v6, v6, v8, v7
	v_add_co_u32 v7, vcc_lo, v11, 7
	v_add_co_ci_u32_e64 v8, null, 0, v12, vcc_lo
	v_add_co_u32 v9, vcc_lo, v11, 6
	v_add_co_ci_u32_e64 v10, null, 0, v12, vcc_lo
	v_lshlrev_b64 v[3:4], 2, v[5:6]
	v_mul_lo_u32 v13, s11, v7
	v_mul_lo_u32 v14, s10, v8
	v_mad_u64_u32 v[7:8], null, s10, v7, 0
	v_mul_lo_u32 v15, s11, v9
	v_mul_lo_u32 v16, s10, v10
	v_mad_u64_u32 v[9:10], null, s10, v9, 0
	v_add_co_u32 v25, vcc_lo, s12, v3
	v_add_co_ci_u32_e64 v26, null, s13, v4, vcc_lo
	v_add_co_u32 v27, vcc_lo, s14, v3
	v_add3_u32 v8, v8, v14, v13
	v_add_co_ci_u32_e64 v28, null, s15, v4, vcc_lo
	v_add_co_u32 v13, vcc_lo, v11, 5
	v_add3_u32 v10, v10, v16, v15
	v_add_co_ci_u32_e64 v14, null, 0, v12, vcc_lo
	v_lshlrev_b64 v[3:4], 2, v[7:8]
	v_mul_lo_u32 v15, s11, v13
	v_lshlrev_b64 v[7:8], 2, v[9:10]
	v_mul_lo_u32 v14, s10, v14
	v_mad_u64_u32 v[9:10], null, s10, v13, 0
	v_add_co_u32 v29, vcc_lo, s12, v3
	v_add_co_ci_u32_e64 v30, null, s13, v4, vcc_lo
	v_add_co_u32 v31, vcc_lo, s14, v3
	s_waitcnt lgkmcnt(0)
	s_lshl_b32 s27, s2, 3
	v_add_co_ci_u32_e64 v32, null, s15, v4, vcc_lo
	v_add_co_u32 v33, vcc_lo, s12, v7
	v_add3_u32 v10, v10, v14, v15
	s_mul_i32 s2, s11, s27
	s_mul_hi_u32 s3, s10, s27
	v_add_co_ci_u32_e64 v34, null, s13, v8, vcc_lo
	v_add_co_u32 v13, vcc_lo, v11, 4
	s_add_i32 s23, s3, s2
	v_add_co_u32 v35, s2, s14, v7
	v_add_co_ci_u32_e64 v7, null, 0, v12, vcc_lo
	v_lshlrev_b64 v[3:4], 2, v[9:10]
	v_add_co_u32 v9, vcc_lo, v11, 3
	v_add_co_ci_u32_e64 v10, null, 0, v12, vcc_lo
	v_add_co_ci_u32_e64 v36, null, s15, v8, s2
	v_mul_lo_u32 v14, s11, v13
	v_mul_lo_u32 v15, s10, v7
	v_mad_u64_u32 v[7:8], null, s10, v13, 0
	v_mul_lo_u32 v13, s11, v9
	v_mul_lo_u32 v16, s10, v10
	v_mad_u64_u32 v[9:10], null, s10, v9, 0
	v_add_co_u32 v37, vcc_lo, s12, v3
	v_add_co_ci_u32_e64 v38, null, s13, v4, vcc_lo
	v_add3_u32 v8, v8, v15, v14
	v_add_co_u32 v39, vcc_lo, s14, v3
	v_add_co_ci_u32_e64 v40, null, s15, v4, vcc_lo
	v_add_co_u32 v11, vcc_lo, v11, 2
	v_add3_u32 v10, v10, v16, v13
	v_add_co_ci_u32_e64 v12, null, 0, v12, vcc_lo
	v_lshlrev_b64 v[3:4], 2, v[7:8]
	v_mul_lo_u32 v13, s11, v11
	v_lshlrev_b64 v[7:8], 2, v[9:10]
	v_mul_lo_u32 v12, s10, v12
	v_mad_u64_u32 v[9:10], null, s10, v11, 0
	v_add_co_u32 v41, vcc_lo, s12, v3
	v_add_co_ci_u32_e64 v42, null, s13, v4, vcc_lo
	v_add_co_u32 v43, vcc_lo, s14, v3
	v_add_co_ci_u32_e64 v44, null, s15, v4, vcc_lo
	;; [unrolled: 2-line block ×3, first 2 shown]
	v_add3_u32 v10, v10, v12, v13
	v_add_co_u32 v47, vcc_lo, s14, v7
	v_add_co_ci_u32_e64 v48, null, s15, v8, vcc_lo
	v_add_co_u32 v5, vcc_lo, v5, s10
	v_add_co_ci_u32_e64 v6, null, s11, v6, vcc_lo
	v_lshlrev_b64 v[3:4], 2, v[9:10]
	s_mul_i32 s22, s10, s27
	v_lshlrev_b64 v[5:6], 2, v[5:6]
	s_lshl_b64 s[2:3], s[22:23], 2
	s_mov_b64 s[22:23], 7
	v_add_co_u32 v49, vcc_lo, s12, v3
	v_add_co_ci_u32_e64 v50, null, s13, v4, vcc_lo
	v_add_co_u32 v51, vcc_lo, s14, v3
	v_add_co_ci_u32_e64 v52, null, s15, v4, vcc_lo
	;; [unrolled: 2-line block ×4, first 2 shown]
.LBB145_3:                              ; =>This Inner Loop Header: Depth=1
	s_add_u32 s28, s18, s22
	s_addc_u32 s29, 0, s23
	v_add_co_u32 v21, vcc_lo, s18, v23
	v_cmp_ge_i64_e64 s28, s[28:29], s[8:9]
	v_add_co_ci_u32_e64 v22, null, 0, v24, vcc_lo
                                        ; implicit-def: $vgpr3_vgpr4_vgpr5_vgpr6_vgpr7_vgpr8_vgpr9_vgpr10
                                        ; implicit-def: $vgpr86
                                        ; implicit-def: $vgpr11_vgpr12_vgpr13_vgpr14_vgpr15_vgpr16_vgpr17_vgpr18
                                        ; implicit-def: $vgpr3
	s_and_b32 vcc_lo, exec_lo, s28
	s_mov_b32 s28, -1
	s_cbranch_vccz .LBB145_25
; %bb.4:                                ;   in Loop: Header=BB145_3 Depth=1
	s_load_dword s28, s[20:21], 0xc
	v_mov_b32_e32 v58, 0
	s_waitcnt lgkmcnt(0)
	s_and_b32 s28, s28, 0xffff
	v_mad_u32_u24 v3, v1, s28, v0
	s_mov_b32 s28, exec_lo
	v_and_b32_e32 v3, 31, v3
	v_cmpx_gt_u32_e32 8, v3
	s_cbranch_execz .LBB145_8
; %bb.5:                                ;   in Loop: Header=BB145_3 Depth=1
	v_add_co_u32 v3, vcc_lo, v21, v3
	v_add_co_ci_u32_e64 v4, null, 0, v22, vcc_lo
	v_mov_b32_e32 v58, 0
	s_mov_b32 s29, exec_lo
	v_cmpx_gt_i64_e64 s[8:9], v[3:4]
	s_cbranch_execz .LBB145_7
; %bb.6:                                ;   in Loop: Header=BB145_3 Depth=1
	v_lshlrev_b64 v[3:4], 2, v[3:4]
	v_add_co_u32 v3, vcc_lo, s16, v3
	v_add_co_ci_u32_e64 v4, null, s17, v4, vcc_lo
	global_load_dword v58, v[3:4], off
.LBB145_7:                              ;   in Loop: Header=BB145_3 Depth=1
	s_or_b32 exec_lo, exec_lo, s29
.LBB145_8:                              ;   in Loop: Header=BB145_3 Depth=1
	s_or_b32 exec_lo, exec_lo, s28
	v_mov_b32_e32 v9, v2
	v_mov_b32_e32 v3, v2
	;; [unrolled: 1-line block ×7, first 2 shown]
	v_cmp_gt_i64_e32 vcc_lo, s[8:9], v[21:22]
	v_mov_b32_e32 v18, v9
	v_mov_b32_e32 v15, v6
	;; [unrolled: 1-line block ×16, first 2 shown]
	s_and_b32 s29, s1, vcc_lo
	s_and_saveexec_b32 s28, s29
	s_cbranch_execz .LBB145_10
; %bb.9:                                ;   in Loop: Header=BB145_3 Depth=1
	v_add_co_u32 v3, vcc_lo, v25, v19
	v_add_co_ci_u32_e64 v4, null, v26, v20, vcc_lo
	v_add_co_u32 v5, vcc_lo, v27, v19
	v_add_co_ci_u32_e64 v6, null, v28, v20, vcc_lo
	global_load_dword v3, v[3:4], off
	global_load_dword v11, v[5:6], off
	v_mov_b32_e32 v4, v2
	v_mov_b32_e32 v5, v2
	v_mov_b32_e32 v6, v2
	v_mov_b32_e32 v7, v2
	v_mov_b32_e32 v8, v2
	v_mov_b32_e32 v9, v2
	v_mov_b32_e32 v10, v2
	v_mov_b32_e32 v12, v2
	v_mov_b32_e32 v13, v2
	v_mov_b32_e32 v14, v2
	v_mov_b32_e32 v15, v2
	v_mov_b32_e32 v16, v2
	v_mov_b32_e32 v17, v2
	v_mov_b32_e32 v18, v2
.LBB145_10:                             ;   in Loop: Header=BB145_3 Depth=1
	s_or_b32 exec_lo, exec_lo, s28
	v_add_co_u32 v59, vcc_lo, v21, 1
	v_add_co_ci_u32_e64 v60, null, 0, v22, vcc_lo
	v_cmp_gt_i64_e32 vcc_lo, s[8:9], v[59:60]
	s_and_b32 s29, s1, vcc_lo
	s_and_saveexec_b32 s28, s29
	s_cbranch_execz .LBB145_12
; %bb.11:                               ;   in Loop: Header=BB145_3 Depth=1
	v_add_co_u32 v59, vcc_lo, v53, v19
	v_add_co_ci_u32_e64 v60, null, v54, v20, vcc_lo
	v_add_co_u32 v61, vcc_lo, v55, v19
	v_add_co_ci_u32_e64 v62, null, v56, v20, vcc_lo
	global_load_dword v4, v[59:60], off
	global_load_dword v12, v[61:62], off
.LBB145_12:                             ;   in Loop: Header=BB145_3 Depth=1
	s_or_b32 exec_lo, exec_lo, s28
	v_add_co_u32 v59, vcc_lo, v21, 2
	v_add_co_ci_u32_e64 v60, null, 0, v22, vcc_lo
	v_cmp_gt_i64_e32 vcc_lo, s[8:9], v[59:60]
	s_and_b32 s29, s1, vcc_lo
	s_and_saveexec_b32 s28, s29
	s_cbranch_execz .LBB145_14
; %bb.13:                               ;   in Loop: Header=BB145_3 Depth=1
	v_add_co_u32 v59, vcc_lo, v49, v19
	v_add_co_ci_u32_e64 v60, null, v50, v20, vcc_lo
	v_add_co_u32 v61, vcc_lo, v51, v19
	v_add_co_ci_u32_e64 v62, null, v52, v20, vcc_lo
	global_load_dword v5, v[59:60], off
	global_load_dword v13, v[61:62], off
.LBB145_14:                             ;   in Loop: Header=BB145_3 Depth=1
	;; [unrolled: 15-line block ×7, first 2 shown]
	s_or_b32 exec_lo, exec_lo, s28
	s_waitcnt vmcnt(0)
	ds_bpermute_b32 v59, v2, v58
	ds_bpermute_b32 v60, v2, v58 offset:4
	ds_bpermute_b32 v61, v2, v58 offset:8
	v_mul_f32_e32 v3, v11, v3
	ds_bpermute_b32 v11, v2, v58 offset:12
	v_mul_f32_e32 v4, v12, v4
	;; [unrolled: 2-line block ×3, first 2 shown]
	s_mov_b32 s28, 0
	s_waitcnt lgkmcnt(4)
	v_fma_f32 v86, v3, v59, v57
	v_mul_f32_e32 v3, v13, v5
	ds_bpermute_b32 v5, v2, v58 offset:20
	s_waitcnt lgkmcnt(4)
	v_fmac_f32_e32 v86, v4, v60
	v_mul_f32_e32 v4, v14, v6
	ds_bpermute_b32 v6, v2, v58 offset:24
	s_waitcnt lgkmcnt(4)
	v_fmac_f32_e32 v86, v3, v61
	ds_bpermute_b32 v3, v2, v58 offset:28
	s_waitcnt lgkmcnt(4)
	v_fmac_f32_e32 v86, v4, v11
	v_mul_f32_e32 v4, v16, v8
	s_waitcnt lgkmcnt(3)
	v_fmac_f32_e32 v86, v7, v12
	s_waitcnt lgkmcnt(2)
	v_fmac_f32_e32 v86, v4, v5
	v_mul_f32_e32 v4, v17, v9
	s_waitcnt lgkmcnt(1)
	v_fmac_f32_e32 v86, v4, v6
.LBB145_25:                             ;   in Loop: Header=BB145_3 Depth=1
	s_and_b32 vcc_lo, exec_lo, s28
	s_cbranch_vccz .LBB145_40
; %bb.26:                               ;   in Loop: Header=BB145_3 Depth=1
	s_load_dword s28, s[20:21], 0x0
	v_mov_b32_e32 v58, 0
	s_waitcnt lgkmcnt(0)
	s_cmp_lt_u32 s6, s28
	s_cselect_b32 s28, 12, 18
	s_add_u32 s28, s20, s28
	s_addc_u32 s29, s21, 0
	global_load_ushort v3, v2, s[28:29]
	s_mov_b32 s28, exec_lo
	s_waitcnt vmcnt(0)
	v_mad_u32_u24 v3, v1, v3, v0
	v_and_b32_e32 v3, 31, v3
	v_cmpx_gt_u32_e32 8, v3
	s_cbranch_execz .LBB145_30
; %bb.27:                               ;   in Loop: Header=BB145_3 Depth=1
	v_add_co_u32 v3, vcc_lo, v21, v3
	v_add_co_ci_u32_e64 v4, null, 0, v22, vcc_lo
	v_mov_b32_e32 v58, 0
	s_mov_b32 s29, exec_lo
	v_cmpx_gt_i64_e64 s[8:9], v[3:4]
	s_cbranch_execz .LBB145_29
; %bb.28:                               ;   in Loop: Header=BB145_3 Depth=1
	v_lshlrev_b64 v[3:4], 2, v[3:4]
	v_add_co_u32 v3, vcc_lo, s16, v3
	v_add_co_ci_u32_e64 v4, null, s17, v4, vcc_lo
	global_load_dword v58, v[3:4], off
.LBB145_29:                             ;   in Loop: Header=BB145_3 Depth=1
	s_or_b32 exec_lo, exec_lo, s29
.LBB145_30:                             ;   in Loop: Header=BB145_3 Depth=1
	s_or_b32 exec_lo, exec_lo, s28
	v_mov_b32_e32 v9, v2
	v_mov_b32_e32 v3, v2
	;; [unrolled: 1-line block ×23, first 2 shown]
	s_and_saveexec_b32 s28, s1
	s_cbranch_execnz .LBB145_42
; %bb.31:                               ;   in Loop: Header=BB145_3 Depth=1
	s_or_b32 exec_lo, exec_lo, s28
	s_and_saveexec_b32 s28, s1
	s_cbranch_execnz .LBB145_43
.LBB145_32:                             ;   in Loop: Header=BB145_3 Depth=1
	s_or_b32 exec_lo, exec_lo, s28
	s_and_saveexec_b32 s28, s1
	s_cbranch_execnz .LBB145_44
.LBB145_33:                             ;   in Loop: Header=BB145_3 Depth=1
	s_or_b32 exec_lo, exec_lo, s28
	s_and_saveexec_b32 s28, s1
	s_cbranch_execnz .LBB145_45
.LBB145_34:                             ;   in Loop: Header=BB145_3 Depth=1
	s_or_b32 exec_lo, exec_lo, s28
	s_and_saveexec_b32 s28, s1
	s_cbranch_execnz .LBB145_46
.LBB145_35:                             ;   in Loop: Header=BB145_3 Depth=1
	s_or_b32 exec_lo, exec_lo, s28
	s_and_saveexec_b32 s28, s1
	s_cbranch_execnz .LBB145_47
.LBB145_36:                             ;   in Loop: Header=BB145_3 Depth=1
	s_or_b32 exec_lo, exec_lo, s28
	s_and_saveexec_b32 s28, s1
	s_cbranch_execnz .LBB145_48
.LBB145_37:                             ;   in Loop: Header=BB145_3 Depth=1
	s_or_b32 exec_lo, exec_lo, s28
	s_and_saveexec_b32 s28, s1
	s_cbranch_execz .LBB145_39
.LBB145_38:                             ;   in Loop: Header=BB145_3 Depth=1
	v_add_co_u32 v21, vcc_lo, v29, v19
	v_add_co_ci_u32_e64 v22, null, v30, v20, vcc_lo
	v_add_co_u32 v59, vcc_lo, v31, v19
	v_add_co_ci_u32_e64 v60, null, v32, v20, vcc_lo
	global_load_dword v10, v[21:22], off
	global_load_dword v18, v[59:60], off
.LBB145_39:                             ;   in Loop: Header=BB145_3 Depth=1
	s_or_b32 exec_lo, exec_lo, s28
	s_waitcnt vmcnt(0)
	ds_bpermute_b32 v21, v2, v58
	ds_bpermute_b32 v22, v2, v58 offset:4
	ds_bpermute_b32 v59, v2, v58 offset:8
	v_mul_f32_e32 v3, v11, v3
	ds_bpermute_b32 v11, v2, v58 offset:12
	v_mul_f32_e32 v4, v12, v4
	ds_bpermute_b32 v12, v2, v58 offset:16
	s_waitcnt lgkmcnt(4)
	v_fmac_f32_e32 v57, v3, v21
	v_mul_f32_e32 v3, v13, v5
	ds_bpermute_b32 v5, v2, v58 offset:20
	s_waitcnt lgkmcnt(4)
	v_fmac_f32_e32 v57, v4, v22
	v_mul_f32_e32 v4, v14, v6
	ds_bpermute_b32 v6, v2, v58 offset:24
	s_waitcnt lgkmcnt(4)
	v_fmac_f32_e32 v57, v3, v59
	v_mul_f32_e32 v3, v15, v7
	s_waitcnt lgkmcnt(3)
	v_fmac_f32_e32 v57, v4, v11
	v_mul_f32_e32 v4, v16, v8
	s_waitcnt lgkmcnt(2)
	v_fmac_f32_e32 v57, v3, v12
	ds_bpermute_b32 v3, v2, v58 offset:28
	s_waitcnt lgkmcnt(2)
	v_fmac_f32_e32 v57, v4, v5
	v_mul_f32_e32 v4, v17, v9
	s_waitcnt lgkmcnt(1)
	v_fmac_f32_e32 v57, v4, v6
	v_mov_b32_e32 v86, v57
.LBB145_40:                             ;   in Loop: Header=BB145_3 Depth=1
	v_add_co_u32 v25, vcc_lo, v25, s2
	v_add_co_ci_u32_e64 v26, null, s3, v26, vcc_lo
	v_add_co_u32 v27, vcc_lo, v27, s2
	v_add_co_ci_u32_e64 v28, null, s3, v28, vcc_lo
	;; [unrolled: 2-line block ×13, first 2 shown]
	v_add_co_u32 v51, vcc_lo, v51, s2
	s_add_u32 s24, s24, s27
	v_add_co_ci_u32_e64 v52, null, s3, v52, vcc_lo
	v_add_co_u32 v53, vcc_lo, v53, s2
	v_mul_f32_e32 v4, v10, v18
	s_addc_u32 s25, s25, 0
	v_add_co_ci_u32_e64 v54, null, s3, v54, vcc_lo
	v_add_co_u32 v55, vcc_lo, v55, s2
	v_cmp_lt_i64_e64 s28, s[24:25], s[8:9]
	v_add_co_ci_u32_e64 v56, null, s3, v56, vcc_lo
	v_add_co_u32 v23, vcc_lo, v23, s27
	s_waitcnt lgkmcnt(0)
	v_fmac_f32_e32 v86, v4, v3
	v_add_co_ci_u32_e64 v24, null, 0, v24, vcc_lo
	s_add_u32 s22, s22, s27
	s_addc_u32 s23, 0, s23
	s_and_b32 vcc_lo, exec_lo, s28
	s_cbranch_vccz .LBB145_50
; %bb.41:                               ;   in Loop: Header=BB145_3 Depth=1
	v_mov_b32_e32 v57, v86
	s_branch .LBB145_3
.LBB145_42:                             ;   in Loop: Header=BB145_3 Depth=1
	v_add_co_u32 v3, vcc_lo, v25, v19
	v_add_co_ci_u32_e64 v4, null, v26, v20, vcc_lo
	v_add_co_u32 v5, vcc_lo, v27, v19
	v_add_co_ci_u32_e64 v6, null, v28, v20, vcc_lo
	global_load_dword v3, v[3:4], off
	global_load_dword v11, v[5:6], off
	v_mov_b32_e32 v4, v2
	v_mov_b32_e32 v5, v2
	;; [unrolled: 1-line block ×14, first 2 shown]
	s_or_b32 exec_lo, exec_lo, s28
	s_and_saveexec_b32 s28, s1
	s_cbranch_execz .LBB145_32
.LBB145_43:                             ;   in Loop: Header=BB145_3 Depth=1
	v_add_co_u32 v21, vcc_lo, v53, v19
	v_add_co_ci_u32_e64 v22, null, v54, v20, vcc_lo
	v_add_co_u32 v59, vcc_lo, v55, v19
	v_add_co_ci_u32_e64 v60, null, v56, v20, vcc_lo
	global_load_dword v4, v[21:22], off
	global_load_dword v12, v[59:60], off
	s_or_b32 exec_lo, exec_lo, s28
	s_and_saveexec_b32 s28, s1
	s_cbranch_execz .LBB145_33
.LBB145_44:                             ;   in Loop: Header=BB145_3 Depth=1
	v_add_co_u32 v21, vcc_lo, v49, v19
	v_add_co_ci_u32_e64 v22, null, v50, v20, vcc_lo
	v_add_co_u32 v59, vcc_lo, v51, v19
	v_add_co_ci_u32_e64 v60, null, v52, v20, vcc_lo
	global_load_dword v5, v[21:22], off
	global_load_dword v13, v[59:60], off
	s_or_b32 exec_lo, exec_lo, s28
	s_and_saveexec_b32 s28, s1
	s_cbranch_execz .LBB145_34
.LBB145_45:                             ;   in Loop: Header=BB145_3 Depth=1
	v_add_co_u32 v21, vcc_lo, v45, v19
	v_add_co_ci_u32_e64 v22, null, v46, v20, vcc_lo
	v_add_co_u32 v59, vcc_lo, v47, v19
	v_add_co_ci_u32_e64 v60, null, v48, v20, vcc_lo
	global_load_dword v6, v[21:22], off
	global_load_dword v14, v[59:60], off
	s_or_b32 exec_lo, exec_lo, s28
	s_and_saveexec_b32 s28, s1
	s_cbranch_execz .LBB145_35
.LBB145_46:                             ;   in Loop: Header=BB145_3 Depth=1
	v_add_co_u32 v21, vcc_lo, v41, v19
	v_add_co_ci_u32_e64 v22, null, v42, v20, vcc_lo
	v_add_co_u32 v59, vcc_lo, v43, v19
	v_add_co_ci_u32_e64 v60, null, v44, v20, vcc_lo
	global_load_dword v7, v[21:22], off
	global_load_dword v15, v[59:60], off
	s_or_b32 exec_lo, exec_lo, s28
	s_and_saveexec_b32 s28, s1
	s_cbranch_execz .LBB145_36
.LBB145_47:                             ;   in Loop: Header=BB145_3 Depth=1
	v_add_co_u32 v21, vcc_lo, v37, v19
	v_add_co_ci_u32_e64 v22, null, v38, v20, vcc_lo
	v_add_co_u32 v59, vcc_lo, v39, v19
	v_add_co_ci_u32_e64 v60, null, v40, v20, vcc_lo
	global_load_dword v8, v[21:22], off
	global_load_dword v16, v[59:60], off
	s_or_b32 exec_lo, exec_lo, s28
	s_and_saveexec_b32 s28, s1
	s_cbranch_execz .LBB145_37
.LBB145_48:                             ;   in Loop: Header=BB145_3 Depth=1
	v_add_co_u32 v21, vcc_lo, v33, v19
	v_add_co_ci_u32_e64 v22, null, v34, v20, vcc_lo
	v_add_co_u32 v59, vcc_lo, v35, v19
	v_add_co_ci_u32_e64 v60, null, v36, v20, vcc_lo
	global_load_dword v9, v[21:22], off
	global_load_dword v17, v[59:60], off
	s_or_b32 exec_lo, exec_lo, s28
	s_and_saveexec_b32 s28, s1
	s_cbranch_execnz .LBB145_38
	s_branch .LBB145_39
.LBB145_49:
                                        ; implicit-def: $vgpr86
	s_load_dwordx2 s[2:3], s[4:5], 0x30
	s_branch .LBB145_51
.LBB145_50:
	s_load_dwordx2 s[2:3], s[4:5], 0x30
	s_cbranch_execnz .LBB145_83
.LBB145_51:
	v_mov_b32_e32 v86, 0
	s_andn2_b32 vcc_lo, exec_lo, s26
	s_cbranch_vccnz .LBB145_83
; %bb.52:
	v_lshlrev_b32_e32 v51, 3, v1
	v_lshlrev_b32_e32 v4, 5, v1
	s_add_u32 s20, s4, 64
	s_addc_u32 s21, s5, 0
	s_lshl_b64 s[22:23], s[18:19], 2
	v_add_co_u32 v10, s1, v51, s18
	v_add_co_ci_u32_e64 v11, null, 0, 0, s1
	v_add_co_u32 v7, s1, v4, s22
	v_mul_lo_u32 v5, s11, v10
	v_mul_lo_u32 v6, s10, v11
	v_mad_u64_u32 v[2:3], null, s10, v10, 0
	v_add_co_ci_u32_e64 v8, null, 0, s23, s1
	v_mov_b32_e32 v85, 0
	s_mov_b64 s[22:23], s[18:19]
	v_add3_u32 v3, v3, v6, v5
	v_add_co_u32 v6, vcc_lo, v7, 4
	v_add_co_ci_u32_e64 v9, null, 0, v8, vcc_lo
	v_lshlrev_b64 v[4:5], 2, v[2:3]
	v_mad_u64_u32 v[19:20], null, s10, v6, s[12:13]
	v_mul_lo_u32 v9, s10, v9
	v_mul_lo_u32 v12, s11, v6
	v_mad_u64_u32 v[33:34], null, s10, v6, s[14:15]
	v_add_co_u32 v52, vcc_lo, s12, v4
	v_add_co_ci_u32_e64 v53, null, s13, v5, vcc_lo
	v_add_co_u32 v54, vcc_lo, s14, v4
	v_add_co_ci_u32_e64 v55, null, s15, v5, vcc_lo
	;; [unrolled: 2-line block ×4, first 2 shown]
	v_add_co_u32 v16, vcc_lo, v7, 16
	v_mad_u64_u32 v[21:22], null, s10, v4, s[12:13]
	v_mul_lo_u32 v5, s10, v5
	v_mul_lo_u32 v15, s11, v4
	v_add_co_ci_u32_e64 v18, null, 0, v8, vcc_lo
	v_add_co_u32 v41, vcc_lo, v7, 20
	v_mad_u64_u32 v[35:36], null, s10, v4, s[14:15]
	v_add_co_ci_u32_e64 v29, null, 0, v8, vcc_lo
	v_add_co_u32 v44, vcc_lo, v7, 24
	v_add_co_ci_u32_e64 v31, null, 0, v8, vcc_lo
	v_add_co_u32 v7, vcc_lo, v7, 28
	;; [unrolled: 2-line block ×3, first 2 shown]
	v_add3_u32 v22, v15, v22, v5
	v_add3_u32 v36, v15, v36, v5
	v_add_co_ci_u32_e64 v5, null, 0, v11, vcc_lo
	v_add3_u32 v20, v12, v20, v9
	v_add3_u32 v34, v12, v34, v9
	v_mul_lo_u32 v6, s11, v4
	v_mul_lo_u32 v9, s10, v5
	v_mad_u64_u32 v[4:5], null, s10, v4, 0
	v_mul_lo_u32 v49, s10, v31
	v_mad_u64_u32 v[31:32], null, s10, v7, s[12:13]
	v_mul_lo_u32 v8, s10, v8
	v_mul_lo_u32 v56, s11, v7
	v_mad_u64_u32 v[45:46], null, s10, v7, s[14:15]
	v_add3_u32 v5, v5, v9, v6
	v_add_co_u32 v6, vcc_lo, v10, 6
	v_add_co_ci_u32_e64 v7, null, 0, v11, vcc_lo
	v_mad_u64_u32 v[23:24], null, s10, v13, s[12:13]
	v_mul_lo_u32 v14, s10, v14
	v_mul_lo_u32 v17, s11, v13
	v_add3_u32 v32, v56, v32, v8
	v_mad_u64_u32 v[37:38], null, s10, v13, s[14:15]
	v_add3_u32 v46, v56, v46, v8
	v_mul_lo_u32 v8, s11, v6
	v_mul_lo_u32 v9, s10, v7
	v_mad_u64_u32 v[6:7], null, s10, v6, 0
	v_lshlrev_b64 v[4:5], 2, v[4:5]
	v_add_co_u32 v12, vcc_lo, v10, 5
	v_add_co_ci_u32_e64 v13, null, 0, v11, vcc_lo
	v_add3_u32 v24, v17, v24, v14
	v_add_co_u32 v56, vcc_lo, s12, v4
	v_add3_u32 v38, v17, v38, v14
	v_add3_u32 v7, v7, v9, v8
	v_mul_lo_u32 v14, s11, v12
	v_mul_lo_u32 v13, s10, v13
	v_mad_u64_u32 v[8:9], null, s10, v12, 0
	v_add_co_ci_u32_e64 v57, null, s13, v5, vcc_lo
	v_add_co_u32 v12, vcc_lo, v10, 4
	v_add_co_ci_u32_e64 v15, null, 0, v11, vcc_lo
	v_add_co_u32 v58, vcc_lo, s14, v4
	v_add_co_ci_u32_e64 v59, null, s15, v5, vcc_lo
	v_lshlrev_b64 v[4:5], 2, v[6:7]
	v_add3_u32 v9, v9, v13, v14
	v_mul_lo_u32 v13, s11, v12
	v_mul_lo_u32 v14, s10, v15
	v_mad_u64_u32 v[6:7], null, s10, v12, 0
	v_lshlrev_b64 v[8:9], 2, v[8:9]
	v_add_co_u32 v60, vcc_lo, s12, v4
	v_add_co_ci_u32_e64 v61, null, s13, v5, vcc_lo
	v_add_co_u32 v62, vcc_lo, s14, v4
	v_add3_u32 v7, v7, v14, v13
	v_add_co_ci_u32_e64 v63, null, s15, v5, vcc_lo
	v_add_co_u32 v64, vcc_lo, s12, v8
	v_add_co_ci_u32_e64 v65, null, s13, v9, vcc_lo
	v_lshlrev_b64 v[4:5], 2, v[6:7]
	v_add_co_u32 v6, vcc_lo, v10, 3
	v_add_co_ci_u32_e64 v7, null, 0, v11, vcc_lo
	v_add_co_u32 v66, s1, s14, v8
	v_add_co_u32 v8, vcc_lo, v10, 2
	v_add_co_ci_u32_e64 v67, null, s15, v9, s1
	v_mul_lo_u32 v12, s11, v6
	v_add_co_ci_u32_e64 v9, null, 0, v11, vcc_lo
	v_mul_lo_u32 v10, s10, v7
	v_mad_u64_u32 v[6:7], null, s10, v6, 0
	v_mul_lo_u32 v11, s11, v8
	v_mul_lo_u32 v13, s10, v9
	v_mad_u64_u32 v[8:9], null, s10, v8, 0
	v_add_co_u32 v68, vcc_lo, s12, v4
	v_add3_u32 v7, v7, v10, v12
	s_load_dword s1, s[4:5], 0x44
	v_add_co_ci_u32_e64 v69, null, s13, v5, vcc_lo
	v_add_co_u32 v70, vcc_lo, s14, v4
	v_add_co_ci_u32_e64 v71, null, s15, v5, vcc_lo
	v_lshlrev_b64 v[4:5], 2, v[6:7]
	v_add3_u32 v9, v9, v13, v11
	v_add_co_u32 v2, vcc_lo, v2, s10
	v_mad_u64_u32 v[25:26], null, s10, v16, s[12:13]
	v_mul_lo_u32 v18, s10, v18
	v_mul_lo_u32 v43, s11, v16
	v_mad_u64_u32 v[39:40], null, s10, v16, s[14:15]
	v_add_co_ci_u32_e64 v3, null, s11, v3, vcc_lo
	v_lshlrev_b64 v[6:7], 2, v[8:9]
	v_add_co_u32 v72, vcc_lo, s12, v4
	v_add_co_ci_u32_e64 v73, null, s13, v5, vcc_lo
	v_add_co_u32 v74, vcc_lo, s14, v4
	v_lshlrev_b64 v[3:4], 2, v[2:3]
	v_mov_b32_e32 v2, 0
	v_mad_u64_u32 v[27:28], null, s10, v41, s[12:13]
	v_mul_lo_u32 v47, s10, v29
	v_mul_lo_u32 v48, s11, v41
	v_mad_u64_u32 v[41:42], null, s10, v41, s[14:15]
	v_mad_u64_u32 v[29:30], null, s10, v44, s[12:13]
	v_mul_lo_u32 v50, s11, v44
	v_add3_u32 v26, v43, v26, v18
	v_add3_u32 v40, v43, v40, v18
	v_mad_u64_u32 v[43:44], null, s10, v44, s[14:15]
	v_add_co_ci_u32_e64 v75, null, s15, v5, vcc_lo
	v_add_co_u32 v76, vcc_lo, s12, v6
	v_add_co_ci_u32_e64 v77, null, s13, v7, vcc_lo
	v_add_co_u32 v78, vcc_lo, s14, v6
	v_add_nc_u32_e32 v5, s7, v0
	v_mov_b32_e32 v6, v2
	v_add_co_ci_u32_e64 v79, null, s15, v7, vcc_lo
	v_add_co_u32 v80, vcc_lo, s12, v3
	s_waitcnt lgkmcnt(0)
	s_lshl_b32 s1, s1, 3
	v_add_co_ci_u32_e64 v81, null, s13, v4, vcc_lo
	v_add_co_u32 v82, vcc_lo, s14, v3
	v_add3_u32 v28, v48, v28, v47
	v_add3_u32 v42, v48, v42, v47
	s_mul_i32 s7, s11, s1
	s_mul_hi_u32 s12, s10, s1
	v_lshlrev_b64 v[47:48], 2, v[5:6]
	v_add3_u32 v30, v50, v30, v49
	v_add3_u32 v44, v50, v44, v49
	v_add_co_ci_u32_e64 v83, null, s15, v4, vcc_lo
	v_mov_b32_e32 v84, v2
	s_add_i32 s13, s12, s7
	s_mul_i32 s12, s10, s1
	s_mov_b64 s[14:15], 7
	s_lshl_b64 s[12:13], s[12:13], 2
.LBB145_53:                             ; =>This Inner Loop Header: Depth=1
	s_add_u32 s24, s18, s14
	s_addc_u32 s25, 0, s15
	v_add_co_u32 v49, vcc_lo, s18, v51
	v_cmp_ge_i64_e64 s7, s[24:25], s[8:9]
	v_add_co_ci_u32_e64 v50, null, 0, v84, vcc_lo
                                        ; implicit-def: $vgpr86
	s_and_b32 vcc_lo, exec_lo, s7
	s_mov_b32 s7, -1
	s_cbranch_vccz .LBB145_75
; %bb.54:                               ;   in Loop: Header=BB145_53 Depth=1
	s_load_dword s7, s[20:21], 0xc
	v_mov_b32_e32 v87, 0
	s_waitcnt lgkmcnt(0)
	s_and_b32 s7, s7, 0xffff
	v_mad_u32_u24 v3, v1, s7, v0
	s_mov_b32 s7, exec_lo
	v_and_b32_e32 v3, 31, v3
	v_cmpx_gt_u32_e32 8, v3
	s_cbranch_execz .LBB145_58
; %bb.55:                               ;   in Loop: Header=BB145_53 Depth=1
	v_add_co_u32 v3, vcc_lo, v49, v3
	v_add_co_ci_u32_e64 v4, null, 0, v50, vcc_lo
	v_mov_b32_e32 v87, 0
	s_mov_b32 s19, exec_lo
	v_cmpx_gt_i64_e64 s[8:9], v[3:4]
	s_cbranch_execz .LBB145_57
; %bb.56:                               ;   in Loop: Header=BB145_53 Depth=1
	v_lshlrev_b64 v[3:4], 2, v[3:4]
	v_add_co_u32 v3, vcc_lo, s16, v3
	v_add_co_ci_u32_e64 v4, null, s17, v4, vcc_lo
	global_load_dword v87, v[3:4], off
.LBB145_57:                             ;   in Loop: Header=BB145_53 Depth=1
	s_or_b32 exec_lo, exec_lo, s19
.LBB145_58:                             ;   in Loop: Header=BB145_53 Depth=1
	s_or_b32 exec_lo, exec_lo, s7
	v_mov_b32_e32 v9, v2
	v_mov_b32_e32 v3, v2
	;; [unrolled: 1-line block ×23, first 2 shown]
	s_mov_b32 s7, exec_lo
	v_cmpx_gt_i64_e64 s[8:9], v[49:50]
	s_cbranch_execz .LBB145_60
; %bb.59:                               ;   in Loop: Header=BB145_53 Depth=1
	v_add_co_u32 v3, vcc_lo, v52, v47
	v_add_co_ci_u32_e64 v4, null, v53, v48, vcc_lo
	v_add_co_u32 v5, vcc_lo, v54, v47
	v_add_co_ci_u32_e64 v6, null, v55, v48, vcc_lo
	global_load_dword v3, v[3:4], off
	global_load_dword v11, v[5:6], off
	v_mov_b32_e32 v4, v2
	v_mov_b32_e32 v5, v2
	;; [unrolled: 1-line block ×14, first 2 shown]
.LBB145_60:                             ;   in Loop: Header=BB145_53 Depth=1
	s_or_b32 exec_lo, exec_lo, s7
	v_add_co_u32 v88, vcc_lo, v49, 1
	v_add_co_ci_u32_e64 v89, null, 0, v50, vcc_lo
	s_mov_b32 s7, exec_lo
	v_cmpx_gt_i64_e64 s[8:9], v[88:89]
	s_cbranch_execz .LBB145_62
; %bb.61:                               ;   in Loop: Header=BB145_53 Depth=1
	v_add_co_u32 v88, vcc_lo, v80, v47
	v_add_co_ci_u32_e64 v89, null, v81, v48, vcc_lo
	v_add_co_u32 v90, vcc_lo, v82, v47
	v_add_co_ci_u32_e64 v91, null, v83, v48, vcc_lo
	global_load_dword v4, v[88:89], off
	global_load_dword v12, v[90:91], off
.LBB145_62:                             ;   in Loop: Header=BB145_53 Depth=1
	s_or_b32 exec_lo, exec_lo, s7
	v_add_co_u32 v88, vcc_lo, v49, 2
	v_add_co_ci_u32_e64 v89, null, 0, v50, vcc_lo
	s_mov_b32 s7, exec_lo
	v_cmpx_gt_i64_e64 s[8:9], v[88:89]
	s_cbranch_execz .LBB145_64
; %bb.63:                               ;   in Loop: Header=BB145_53 Depth=1
	v_add_co_u32 v88, vcc_lo, v76, v47
	v_add_co_ci_u32_e64 v89, null, v77, v48, vcc_lo
	v_add_co_u32 v90, vcc_lo, v78, v47
	v_add_co_ci_u32_e64 v91, null, v79, v48, vcc_lo
	global_load_dword v5, v[88:89], off
	global_load_dword v13, v[90:91], off
.LBB145_64:                             ;   in Loop: Header=BB145_53 Depth=1
	;; [unrolled: 14-line block ×7, first 2 shown]
	s_or_b32 exec_lo, exec_lo, s7
	s_waitcnt vmcnt(0)
	ds_bpermute_b32 v86, v2, v87
	ds_bpermute_b32 v88, v2, v87 offset:4
	ds_bpermute_b32 v89, v2, v87 offset:8
	v_mul_f32_e32 v3, v11, v3
	ds_bpermute_b32 v11, v2, v87 offset:12
	v_mul_f32_e32 v4, v12, v4
	ds_bpermute_b32 v12, v2, v87 offset:16
	s_mov_b32 s7, 0
	s_waitcnt lgkmcnt(4)
	v_fma_f32 v86, v3, v86, v85
	v_mul_f32_e32 v3, v13, v5
	ds_bpermute_b32 v5, v2, v87 offset:20
	s_waitcnt lgkmcnt(4)
	v_fmac_f32_e32 v86, v4, v88
	v_mul_f32_e32 v4, v14, v6
	ds_bpermute_b32 v6, v2, v87 offset:24
	s_waitcnt lgkmcnt(4)
	v_fmac_f32_e32 v86, v3, v89
	v_mul_f32_e32 v3, v15, v7
	v_mul_f32_e32 v7, v16, v8
	s_waitcnt lgkmcnt(3)
	v_fmac_f32_e32 v86, v4, v11
	ds_bpermute_b32 v4, v2, v87 offset:28
	s_waitcnt lgkmcnt(3)
	v_fmac_f32_e32 v86, v3, v12
	v_mul_f32_e32 v3, v17, v9
	s_waitcnt lgkmcnt(2)
	v_fmac_f32_e32 v86, v7, v5
	s_waitcnt lgkmcnt(1)
	v_fmac_f32_e32 v86, v3, v6
	v_mul_f32_e32 v3, v18, v10
	s_waitcnt lgkmcnt(0)
	v_fmac_f32_e32 v86, v3, v4
.LBB145_75:                             ;   in Loop: Header=BB145_53 Depth=1
	s_and_b32 vcc_lo, exec_lo, s7
	s_cbranch_vccz .LBB145_81
; %bb.76:                               ;   in Loop: Header=BB145_53 Depth=1
	s_load_dword s7, s[20:21], 0x0
	v_mov_b32_e32 v5, 0
	s_waitcnt lgkmcnt(0)
	s_cmp_lt_u32 s6, s7
	s_cselect_b32 s7, 12, 18
	s_add_u32 s24, s20, s7
	s_addc_u32 s25, s21, 0
	s_mov_b32 s7, exec_lo
	global_load_ushort v3, v2, s[24:25]
	s_waitcnt vmcnt(0)
	v_mad_u32_u24 v3, v1, v3, v0
	v_and_b32_e32 v3, 31, v3
	v_cmpx_gt_u32_e32 8, v3
	s_cbranch_execz .LBB145_80
; %bb.77:                               ;   in Loop: Header=BB145_53 Depth=1
	v_add_co_u32 v3, vcc_lo, v49, v3
	v_add_co_ci_u32_e64 v4, null, 0, v50, vcc_lo
	v_mov_b32_e32 v5, 0
	s_mov_b32 s19, exec_lo
	v_cmpx_gt_i64_e64 s[8:9], v[3:4]
	s_cbranch_execz .LBB145_79
; %bb.78:                               ;   in Loop: Header=BB145_53 Depth=1
	v_lshlrev_b64 v[3:4], 2, v[3:4]
	v_add_co_u32 v3, vcc_lo, s16, v3
	v_add_co_ci_u32_e64 v4, null, s17, v4, vcc_lo
	global_load_dword v5, v[3:4], off
.LBB145_79:                             ;   in Loop: Header=BB145_53 Depth=1
	s_or_b32 exec_lo, exec_lo, s19
.LBB145_80:                             ;   in Loop: Header=BB145_53 Depth=1
	s_or_b32 exec_lo, exec_lo, s7
	v_add_co_u32 v3, vcc_lo, v52, v47
	v_add_co_ci_u32_e64 v4, null, v53, v48, vcc_lo
	v_add_co_u32 v6, vcc_lo, v54, v47
	v_add_co_ci_u32_e64 v7, null, v55, v48, vcc_lo
	;; [unrolled: 2-line block ×4, first 2 shown]
	global_load_dword v14, v[3:4], off
	global_load_dword v15, v[6:7], off
	;; [unrolled: 1-line block ×4, first 2 shown]
	v_add_co_u32 v3, vcc_lo, v21, v47
	v_add_co_ci_u32_e64 v4, null, v22, v48, vcc_lo
	v_add_co_u32 v6, vcc_lo, v35, v47
	v_add_co_ci_u32_e64 v7, null, v36, v48, vcc_lo
	;; [unrolled: 2-line block ×5, first 2 shown]
	global_load_dword v18, v[3:4], off
	global_load_dword v49, v[6:7], off
	;; [unrolled: 1-line block ×5, first 2 shown]
	v_add_co_u32 v3, vcc_lo, v39, v47
	v_add_co_ci_u32_e64 v4, null, v40, v48, vcc_lo
	v_add_co_u32 v6, vcc_lo, v27, v47
	v_add_co_ci_u32_e64 v7, null, v28, v48, vcc_lo
	v_add_co_u32 v8, vcc_lo, v41, v47
	v_add_co_ci_u32_e64 v9, null, v42, v48, vcc_lo
	v_add_co_u32 v10, vcc_lo, v29, v47
	v_add_co_ci_u32_e64 v11, null, v30, v48, vcc_lo
	v_add_co_u32 v12, vcc_lo, v43, v47
	v_add_co_ci_u32_e64 v13, null, v44, v48, vcc_lo
	global_load_dword v88, v[3:4], off
	global_load_dword v89, v[6:7], off
	;; [unrolled: 1-line block ×5, first 2 shown]
	v_add_co_u32 v3, vcc_lo, v31, v47
	v_add_co_ci_u32_e64 v4, null, v32, v48, vcc_lo
	v_add_co_u32 v6, vcc_lo, v45, v47
	v_add_co_ci_u32_e64 v7, null, v46, v48, vcc_lo
	global_load_dword v3, v[3:4], off
	global_load_dword v4, v[6:7], off
	s_waitcnt vmcnt(16)
	ds_bpermute_b32 v6, v2, v5
	ds_bpermute_b32 v7, v2, v5 offset:4
	ds_bpermute_b32 v11, v2, v5 offset:8
	;; [unrolled: 1-line block ×3, first 2 shown]
	s_waitcnt vmcnt(14)
	v_mul_f32_e32 v13, v14, v15
	ds_bpermute_b32 v14, v2, v5 offset:16
	s_waitcnt vmcnt(12)
	v_mul_f32_e32 v15, v16, v17
	s_waitcnt lgkmcnt(4)
	v_fmac_f32_e32 v85, v13, v6
	ds_bpermute_b32 v6, v2, v5 offset:20
	s_waitcnt lgkmcnt(4)
	v_fmac_f32_e32 v85, v15, v7
	ds_bpermute_b32 v7, v2, v5 offset:24
	ds_bpermute_b32 v5, v2, v5 offset:28
	s_waitcnt vmcnt(10)
	v_mul_f32_e32 v13, v18, v49
	s_waitcnt vmcnt(8)
	v_mul_f32_e32 v15, v50, v86
	s_waitcnt lgkmcnt(5)
	v_fmac_f32_e32 v85, v13, v11
	s_waitcnt lgkmcnt(4)
	v_fmac_f32_e32 v85, v15, v12
	s_waitcnt vmcnt(6)
	v_mul_f32_e32 v11, v87, v88
	s_waitcnt vmcnt(4)
	v_mul_f32_e32 v8, v89, v8
	;; [unrolled: 2-line block ×3, first 2 shown]
	s_waitcnt lgkmcnt(3)
	v_fmac_f32_e32 v85, v11, v14
	s_waitcnt lgkmcnt(2)
	v_fmac_f32_e32 v85, v8, v6
	;; [unrolled: 2-line block ×3, first 2 shown]
	s_waitcnt vmcnt(0)
	v_mul_f32_e32 v3, v3, v4
	s_waitcnt lgkmcnt(0)
	v_fmac_f32_e32 v85, v3, v5
	v_mov_b32_e32 v86, v85
.LBB145_81:                             ;   in Loop: Header=BB145_53 Depth=1
	v_add_co_u32 v52, vcc_lo, v52, s12
	v_add_co_ci_u32_e64 v53, null, s13, v53, vcc_lo
	v_add_co_u32 v54, vcc_lo, v54, s12
	v_add_co_ci_u32_e64 v55, null, s13, v55, vcc_lo
	;; [unrolled: 2-line block ×27, first 2 shown]
	v_add_co_u32 v76, vcc_lo, v76, s12
	s_add_u32 s22, s22, s1
	v_add_co_ci_u32_e64 v77, null, s13, v77, vcc_lo
	v_add_co_u32 v78, vcc_lo, v78, s12
	s_addc_u32 s23, s23, 0
	v_add_co_ci_u32_e64 v79, null, s13, v79, vcc_lo
	v_add_co_u32 v80, vcc_lo, v80, s12
	v_cmp_ge_i64_e64 s7, s[22:23], s[8:9]
	v_add_co_ci_u32_e64 v81, null, s13, v81, vcc_lo
	v_add_co_u32 v82, vcc_lo, v82, s12
	v_add_co_ci_u32_e64 v83, null, s13, v83, vcc_lo
	s_add_u32 s14, s14, s1
	s_addc_u32 s15, 0, s15
	s_and_b32 vcc_lo, exec_lo, s7
	s_cbranch_vccnz .LBB145_83
; %bb.82:                               ;   in Loop: Header=BB145_53 Depth=1
	v_mov_b32_e32 v85, v86
	s_branch .LBB145_53
.LBB145_83:
	s_mov_b32 s7, 0
	s_lshl_b64 s[6:7], s[6:7], 6
	s_waitcnt lgkmcnt(0)
	s_cmp_lg_u64 s[2:3], 0
	v_or_b32_e32 v3, s6, v0
	v_mov_b32_e32 v4, s7
	s_cselect_b32 s1, -1, 0
	v_cmp_gt_i64_e32 vcc_lo, s[10:11], v[3:4]
	s_and_b32 s1, vcc_lo, s1
	s_and_saveexec_b32 s6, s1
	s_cbranch_execz .LBB145_85
; %bb.84:
	s_load_dword s1, s[4:5], 0x4c
	v_mov_b32_e32 v2, 0
	s_waitcnt lgkmcnt(0)
	s_lshr_b32 s1, s1, 16
	v_mad_u64_u32 v[0:1], null, s1, s0, v[1:2]
	v_mul_lo_u32 v2, v1, s10
	v_mul_lo_u32 v5, v0, s11
	v_mad_u64_u32 v[0:1], null, v0, s10, 0
	v_add3_u32 v1, v1, v5, v2
	v_lshlrev_b64 v[2:3], 2, v[3:4]
	v_lshlrev_b64 v[0:1], 2, v[0:1]
	v_add_co_u32 v0, vcc_lo, s2, v0
	v_add_co_ci_u32_e64 v1, null, s3, v1, vcc_lo
	v_add_co_u32 v0, vcc_lo, v0, v2
	v_add_co_ci_u32_e64 v1, null, v1, v3, vcc_lo
	global_store_dword v[0:1], v86, off
.LBB145_85:
	s_endpgm
	.section	.rodata,"a",@progbits
	.p2align	6, 0x0
	.amdhsa_kernel _ZN2at6native12_GLOBAL__N_135GammaBetaBackwardCUDAKernelTemplateIffLj64ELj1ELj8ELb1ELb0ELb1EEEvllPKT_S5_PKT0_S8_PS3_S9_
		.amdhsa_group_segment_fixed_size 0
		.amdhsa_private_segment_fixed_size 0
		.amdhsa_kernarg_size 320
		.amdhsa_user_sgpr_count 6
		.amdhsa_user_sgpr_private_segment_buffer 1
		.amdhsa_user_sgpr_dispatch_ptr 0
		.amdhsa_user_sgpr_queue_ptr 0
		.amdhsa_user_sgpr_kernarg_segment_ptr 1
		.amdhsa_user_sgpr_dispatch_id 0
		.amdhsa_user_sgpr_flat_scratch_init 0
		.amdhsa_user_sgpr_private_segment_size 0
		.amdhsa_wavefront_size32 1
		.amdhsa_uses_dynamic_stack 0
		.amdhsa_system_sgpr_private_segment_wavefront_offset 0
		.amdhsa_system_sgpr_workgroup_id_x 1
		.amdhsa_system_sgpr_workgroup_id_y 1
		.amdhsa_system_sgpr_workgroup_id_z 0
		.amdhsa_system_sgpr_workgroup_info 0
		.amdhsa_system_vgpr_workitem_id 1
		.amdhsa_next_free_vgpr 92
		.amdhsa_next_free_sgpr 30
		.amdhsa_reserve_vcc 1
		.amdhsa_reserve_flat_scratch 0
		.amdhsa_float_round_mode_32 0
		.amdhsa_float_round_mode_16_64 0
		.amdhsa_float_denorm_mode_32 3
		.amdhsa_float_denorm_mode_16_64 3
		.amdhsa_dx10_clamp 1
		.amdhsa_ieee_mode 1
		.amdhsa_fp16_overflow 0
		.amdhsa_workgroup_processor_mode 1
		.amdhsa_memory_ordered 1
		.amdhsa_forward_progress 1
		.amdhsa_shared_vgpr_count 0
		.amdhsa_exception_fp_ieee_invalid_op 0
		.amdhsa_exception_fp_denorm_src 0
		.amdhsa_exception_fp_ieee_div_zero 0
		.amdhsa_exception_fp_ieee_overflow 0
		.amdhsa_exception_fp_ieee_underflow 0
		.amdhsa_exception_fp_ieee_inexact 0
		.amdhsa_exception_int_div_zero 0
	.end_amdhsa_kernel
	.section	.text._ZN2at6native12_GLOBAL__N_135GammaBetaBackwardCUDAKernelTemplateIffLj64ELj1ELj8ELb1ELb0ELb1EEEvllPKT_S5_PKT0_S8_PS3_S9_,"axG",@progbits,_ZN2at6native12_GLOBAL__N_135GammaBetaBackwardCUDAKernelTemplateIffLj64ELj1ELj8ELb1ELb0ELb1EEEvllPKT_S5_PKT0_S8_PS3_S9_,comdat
.Lfunc_end145:
	.size	_ZN2at6native12_GLOBAL__N_135GammaBetaBackwardCUDAKernelTemplateIffLj64ELj1ELj8ELb1ELb0ELb1EEEvllPKT_S5_PKT0_S8_PS3_S9_, .Lfunc_end145-_ZN2at6native12_GLOBAL__N_135GammaBetaBackwardCUDAKernelTemplateIffLj64ELj1ELj8ELb1ELb0ELb1EEEvllPKT_S5_PKT0_S8_PS3_S9_
                                        ; -- End function
	.set _ZN2at6native12_GLOBAL__N_135GammaBetaBackwardCUDAKernelTemplateIffLj64ELj1ELj8ELb1ELb0ELb1EEEvllPKT_S5_PKT0_S8_PS3_S9_.num_vgpr, 92
	.set _ZN2at6native12_GLOBAL__N_135GammaBetaBackwardCUDAKernelTemplateIffLj64ELj1ELj8ELb1ELb0ELb1EEEvllPKT_S5_PKT0_S8_PS3_S9_.num_agpr, 0
	.set _ZN2at6native12_GLOBAL__N_135GammaBetaBackwardCUDAKernelTemplateIffLj64ELj1ELj8ELb1ELb0ELb1EEEvllPKT_S5_PKT0_S8_PS3_S9_.numbered_sgpr, 30
	.set _ZN2at6native12_GLOBAL__N_135GammaBetaBackwardCUDAKernelTemplateIffLj64ELj1ELj8ELb1ELb0ELb1EEEvllPKT_S5_PKT0_S8_PS3_S9_.num_named_barrier, 0
	.set _ZN2at6native12_GLOBAL__N_135GammaBetaBackwardCUDAKernelTemplateIffLj64ELj1ELj8ELb1ELb0ELb1EEEvllPKT_S5_PKT0_S8_PS3_S9_.private_seg_size, 0
	.set _ZN2at6native12_GLOBAL__N_135GammaBetaBackwardCUDAKernelTemplateIffLj64ELj1ELj8ELb1ELb0ELb1EEEvllPKT_S5_PKT0_S8_PS3_S9_.uses_vcc, 1
	.set _ZN2at6native12_GLOBAL__N_135GammaBetaBackwardCUDAKernelTemplateIffLj64ELj1ELj8ELb1ELb0ELb1EEEvllPKT_S5_PKT0_S8_PS3_S9_.uses_flat_scratch, 0
	.set _ZN2at6native12_GLOBAL__N_135GammaBetaBackwardCUDAKernelTemplateIffLj64ELj1ELj8ELb1ELb0ELb1EEEvllPKT_S5_PKT0_S8_PS3_S9_.has_dyn_sized_stack, 0
	.set _ZN2at6native12_GLOBAL__N_135GammaBetaBackwardCUDAKernelTemplateIffLj64ELj1ELj8ELb1ELb0ELb1EEEvllPKT_S5_PKT0_S8_PS3_S9_.has_recursion, 0
	.set _ZN2at6native12_GLOBAL__N_135GammaBetaBackwardCUDAKernelTemplateIffLj64ELj1ELj8ELb1ELb0ELb1EEEvllPKT_S5_PKT0_S8_PS3_S9_.has_indirect_call, 0
	.section	.AMDGPU.csdata,"",@progbits
; Kernel info:
; codeLenInByte = 7184
; TotalNumSgprs: 32
; NumVgprs: 92
; ScratchSize: 0
; MemoryBound: 0
; FloatMode: 240
; IeeeMode: 1
; LDSByteSize: 0 bytes/workgroup (compile time only)
; SGPRBlocks: 0
; VGPRBlocks: 11
; NumSGPRsForWavesPerEU: 32
; NumVGPRsForWavesPerEU: 92
; Occupancy: 10
; WaveLimiterHint : 0
; COMPUTE_PGM_RSRC2:SCRATCH_EN: 0
; COMPUTE_PGM_RSRC2:USER_SGPR: 6
; COMPUTE_PGM_RSRC2:TRAP_HANDLER: 0
; COMPUTE_PGM_RSRC2:TGID_X_EN: 1
; COMPUTE_PGM_RSRC2:TGID_Y_EN: 1
; COMPUTE_PGM_RSRC2:TGID_Z_EN: 0
; COMPUTE_PGM_RSRC2:TIDIG_COMP_CNT: 1
	.section	.text._ZN2at6native12_GLOBAL__N_135GammaBetaBackwardCUDAKernelTemplateIffLj64ELj8ELj64ELb0ELb1ELb1EEEvllPKT_S5_PKT0_S8_PS3_S9_,"axG",@progbits,_ZN2at6native12_GLOBAL__N_135GammaBetaBackwardCUDAKernelTemplateIffLj64ELj8ELj64ELb0ELb1ELb1EEEvllPKT_S5_PKT0_S8_PS3_S9_,comdat
	.globl	_ZN2at6native12_GLOBAL__N_135GammaBetaBackwardCUDAKernelTemplateIffLj64ELj8ELj64ELb0ELb1ELb1EEEvllPKT_S5_PKT0_S8_PS3_S9_ ; -- Begin function _ZN2at6native12_GLOBAL__N_135GammaBetaBackwardCUDAKernelTemplateIffLj64ELj8ELj64ELb0ELb1ELb1EEEvllPKT_S5_PKT0_S8_PS3_S9_
	.p2align	8
	.type	_ZN2at6native12_GLOBAL__N_135GammaBetaBackwardCUDAKernelTemplateIffLj64ELj8ELj64ELb0ELb1ELb1EEEvllPKT_S5_PKT0_S8_PS3_S9_,@function
_ZN2at6native12_GLOBAL__N_135GammaBetaBackwardCUDAKernelTemplateIffLj64ELj8ELj64ELb0ELb1ELb1EEEvllPKT_S5_PKT0_S8_PS3_S9_: ; @_ZN2at6native12_GLOBAL__N_135GammaBetaBackwardCUDAKernelTemplateIffLj64ELj8ELj64ELb0ELb1ELb1EEEvllPKT_S5_PKT0_S8_PS3_S9_
; %bb.0:
	s_load_dwordx4 s[8:11], s[4:5], 0x0
	s_lshl_b32 s16, s7, 6
	s_mov_b32 s17, 0
	s_waitcnt lgkmcnt(0)
	v_cmp_gt_i64_e64 s0, s[8:9], s[16:17]
	s_and_b32 vcc_lo, exec_lo, s0
	s_cbranch_vccnz .LBB146_2
; %bb.1:
	s_mov_b32 s0, s17
	s_load_dwordx2 s[2:3], s[4:5], 0x30
	v_mov_b32_e32 v2, 0
	s_andn2_b32 vcc_lo, exec_lo, s0
	s_cbranch_vccz .LBB146_3
	s_branch .LBB146_9
.LBB146_2:
	s_load_dwordx2 s[2:3], s[4:5], 0x30
	v_mov_b32_e32 v2, 0
.LBB146_3:
	s_clause 0x3
	s_load_dword s0, s[4:5], 0x4c
	s_load_dword s1, s[4:5], 0x44
	s_load_dwordx4 s[12:15], s[4:5], 0x10
	s_load_dwordx2 s[18:19], s[4:5], 0x28
	v_lshlrev_b32_e32 v4, 3, v1
	v_mov_b32_e32 v3, 0
	v_lshl_add_u32 v2, s6, 6, v0
	v_mov_b32_e32 v8, 8
	v_mov_b32_e32 v9, 4
	v_add_co_u32 v4, s4, v4, s16
	v_add_co_ci_u32_e64 v5, null, 0, 0, s4
	v_lshlrev_b64 v[15:16], 2, v[2:3]
	v_mul_lo_u32 v17, s11, v4
	v_mov_b32_e32 v10, 12
	v_mul_lo_u32 v18, s10, v5
	v_mov_b32_e32 v11, 16
	v_mov_b32_e32 v12, 20
	;; [unrolled: 1-line block ×3, first 2 shown]
	s_waitcnt lgkmcnt(0)
	s_and_b32 s0, s0, 0xffff
	s_lshl_b32 s4, s1, 6
	v_mad_u32_u24 v6, v1, s0, v0
	s_mul_i32 s1, s11, s4
	s_mul_hi_u32 s7, s10, s4
	v_mov_b32_e32 v14, 28
	v_mov_b32_e32 v2, 0
	v_and_b32_e32 v21, 31, v6
	v_mad_u64_u32 v[6:7], null, s10, v4, 0
	s_mov_b32 s5, 0
	s_add_i32 s21, s7, s1
	v_add_co_u32 v4, vcc_lo, v4, v21
	v_add_co_ci_u32_e64 v5, null, 0, v5, vcc_lo
	v_add3_u32 v7, v7, v18, v17
	v_cmp_gt_u32_e64 s0, 8, v21
	s_mul_i32 s20, s10, s4
	v_lshlrev_b64 v[17:18], 2, v[4:5]
	s_lshl_b64 s[20:21], s[20:21], 2
	v_lshlrev_b64 v[19:20], 2, v[6:7]
	s_lshl_b64 s[10:11], s[10:11], 2
	v_add_co_u32 v6, vcc_lo, s18, v17
	v_add_co_ci_u32_e64 v7, null, s19, v18, vcc_lo
	v_add_co_u32 v15, vcc_lo, v19, v15
	v_add_co_ci_u32_e64 v16, null, v20, v16, vcc_lo
	s_lshl_b64 s[18:19], s[4:5], 2
	s_branch .LBB146_6
.LBB146_4:                              ;   in Loop: Header=BB146_6 Depth=1
	s_or_b32 exec_lo, exec_lo, s5
.LBB146_5:                              ;   in Loop: Header=BB146_6 Depth=1
	s_or_b32 exec_lo, exec_lo, s1
	v_add_co_u32 v18, vcc_lo, s12, v15
	v_add_co_ci_u32_e64 v19, null, s13, v16, vcc_lo
	v_add_co_u32 v20, vcc_lo, s14, v15
	v_add_co_ci_u32_e64 v21, null, s15, v16, vcc_lo
	;; [unrolled: 2-line block ×5, first 2 shown]
	global_load_dword v28, v[18:19], off
	global_load_dword v29, v[20:21], off
	;; [unrolled: 1-line block ×5, first 2 shown]
	v_add_co_u32 v18, vcc_lo, v24, s10
	v_add_co_ci_u32_e64 v19, null, s11, v25, vcc_lo
	v_add_co_u32 v20, vcc_lo, v26, s10
	v_add_co_ci_u32_e64 v21, null, s11, v27, vcc_lo
	;; [unrolled: 2-line block ×5, first 2 shown]
	global_load_dword v33, v[18:19], off
	global_load_dword v34, v[20:21], off
	;; [unrolled: 1-line block ×5, first 2 shown]
	v_add_co_u32 v18, vcc_lo, v24, s10
	v_add_co_ci_u32_e64 v19, null, s11, v25, vcc_lo
	v_add_co_u32 v20, vcc_lo, v26, s10
	v_add_co_ci_u32_e64 v21, null, s11, v27, vcc_lo
	;; [unrolled: 2-line block ×4, first 2 shown]
	global_load_dword v26, v[18:19], off
	global_load_dword v27, v[20:21], off
	;; [unrolled: 1-line block ×4, first 2 shown]
	v_add_co_u32 v18, vcc_lo, v22, s10
	v_add_co_ci_u32_e64 v19, null, s11, v23, vcc_lo
	v_add_co_u32 v20, vcc_lo, v24, s10
	v_add_co_ci_u32_e64 v21, null, s11, v25, vcc_lo
	global_load_dword v18, v[18:19], off
	global_load_dword v19, v[20:21], off
	s_waitcnt vmcnt(16)
	ds_bpermute_b32 v20, v3, v17
	ds_bpermute_b32 v21, v9, v17
	ds_bpermute_b32 v22, v8, v17
	ds_bpermute_b32 v24, v10, v17
	s_add_u32 s16, s16, s4
	v_add_co_u32 v6, vcc_lo, v6, s18
	s_addc_u32 s17, s17, 0
	v_add_co_ci_u32_e64 v7, null, s19, v7, vcc_lo
	v_add_co_u32 v4, vcc_lo, v4, s4
	v_cmp_lt_i64_e64 s1, s[16:17], s[8:9]
	v_add_co_ci_u32_e64 v5, null, 0, v5, vcc_lo
	v_add_co_u32 v15, vcc_lo, v15, s20
	v_add_co_ci_u32_e64 v16, null, s21, v16, vcc_lo
	s_and_b32 vcc_lo, exec_lo, s1
	s_waitcnt vmcnt(14)
	v_mul_f32_e32 v23, v28, v29
	s_waitcnt lgkmcnt(3)
	v_fmac_f32_e32 v2, v23, v20
	s_waitcnt vmcnt(12)
	v_mul_f32_e32 v20, v30, v31
	ds_bpermute_b32 v23, v11, v17
	s_waitcnt lgkmcnt(3)
	v_fmac_f32_e32 v2, v20, v21
	ds_bpermute_b32 v21, v12, v17
	s_waitcnt vmcnt(10)
	v_mul_f32_e32 v20, v32, v33
	s_waitcnt lgkmcnt(3)
	v_fmac_f32_e32 v2, v20, v22
	s_waitcnt vmcnt(8)
	v_mul_f32_e32 v20, v34, v35
	ds_bpermute_b32 v22, v13, v17
	ds_bpermute_b32 v17, v14, v17
	s_waitcnt lgkmcnt(4)
	v_fmac_f32_e32 v2, v20, v24
	s_waitcnt vmcnt(6)
	v_mul_f32_e32 v20, v36, v37
	s_waitcnt lgkmcnt(3)
	v_fmac_f32_e32 v2, v20, v23
	s_waitcnt vmcnt(4)
	v_mul_f32_e32 v20, v26, v27
	;; [unrolled: 4-line block ×4, first 2 shown]
	s_waitcnt lgkmcnt(0)
	v_fmac_f32_e32 v2, v18, v17
	s_cbranch_vccz .LBB146_9
.LBB146_6:                              ; =>This Inner Loop Header: Depth=1
	v_mov_b32_e32 v17, 0
	s_and_saveexec_b32 s1, s0
	s_cbranch_execz .LBB146_5
; %bb.7:                                ;   in Loop: Header=BB146_6 Depth=1
	v_mov_b32_e32 v17, 0
	s_mov_b32 s5, exec_lo
	v_cmpx_gt_i64_e64 s[8:9], v[4:5]
	s_cbranch_execz .LBB146_4
; %bb.8:                                ;   in Loop: Header=BB146_6 Depth=1
	global_load_dword v17, v[6:7], off
	s_branch .LBB146_4
.LBB146_9:
	v_mad_u32_u24 v3, 0x41, v1, v0
	s_mov_b32 s0, exec_lo
	v_lshl_add_u32 v4, v3, 2, 0
	v_sub_nc_u32_e32 v3, v3, v1
	v_mov_b32_e32 v1, 0
	ds_write_b32 v4, v2
	ds_write_b32 v4, v1 offset:2080
	s_waitcnt lgkmcnt(0)
	s_barrier
	buffer_gl0_inv
	v_cmpx_gt_u32_e32 0x800, v3
	s_cbranch_execz .LBB146_29
; %bb.10:
	v_and_b32_e32 v1, 31, v0
	v_lshrrev_b32_e32 v4, 5, v3
                                        ; implicit-def: $vgpr6
	v_cmp_gt_u32_e32 vcc_lo, 8, v1
	v_mul_u32_u24_e32 v2, 0x41, v1
	v_lshlrev_b32_e32 v1, 2, v4
	s_and_saveexec_b32 s0, vcc_lo
; %bb.11:
	v_lshlrev_b32_e32 v4, 2, v2
	v_add3_u32 v4, 0, v1, v4
	ds_read_b32 v6, v4
; %bb.12:
	s_or_b32 exec_lo, exec_lo, s0
	v_mbcnt_lo_u32_b32 v7, -1, 0
	s_cmp_lg_u64 s[2:3], 0
	s_mov_b32 s7, 0
	s_cselect_b32 s1, -1, 0
	s_lshl_b64 s[4:5], s[6:7], 8
	v_xor_b32_e32 v4, 4, v7
	v_xor_b32_e32 v5, 2, v7
	;; [unrolled: 1-line block ×3, first 2 shown]
	v_cmp_gt_i32_e64 s0, 32, v4
	v_cndmask_b32_e64 v4, v7, v4, s0
	v_cmp_gt_i32_e64 s0, 32, v5
	v_lshlrev_b32_e32 v4, 2, v4
	v_cndmask_b32_e64 v5, v7, v5, s0
	v_cmp_gt_i32_e64 s0, 32, v9
	s_waitcnt lgkmcnt(0)
	ds_bpermute_b32 v8, v4, v6
	v_lshlrev_b32_e32 v5, 2, v5
	v_cndmask_b32_e64 v7, v7, v9, s0
	v_cmp_eq_u32_e64 s0, 0, v0
	s_and_b32 s1, s0, s1
	s_add_u32 s2, s2, s4
	s_addc_u32 s3, s3, s5
	s_waitcnt lgkmcnt(0)
	v_add_f32_e32 v6, v6, v8
	ds_bpermute_b32 v8, v5, v6
	s_waitcnt lgkmcnt(0)
	v_add_f32_e32 v8, v6, v8
	v_lshlrev_b32_e32 v6, 2, v7
	ds_bpermute_b32 v7, v6, v8
	s_waitcnt lgkmcnt(0)
	v_add_f32_e32 v0, v8, v7
	s_and_saveexec_b32 s0, s1
	s_cbranch_execz .LBB146_14
; %bb.13:
	global_store_dword v1, v0, s[2:3]
.LBB146_14:
	s_or_b32 exec_lo, exec_lo, s0
	v_cmp_gt_u32_e64 s0, 0x600, v3
	s_and_b32 exec_lo, exec_lo, s0
	s_cbranch_execz .LBB146_29
; %bb.15:
	s_and_saveexec_b32 s0, vcc_lo
; %bb.16:
	v_lshlrev_b32_e32 v0, 2, v2
	v_add3_u32 v0, 0, v1, v0
	ds_read_b32 v0, v0 offset:64
; %bb.17:
	s_or_b32 exec_lo, exec_lo, s0
	s_waitcnt lgkmcnt(0)
	ds_bpermute_b32 v7, v4, v0
	s_waitcnt lgkmcnt(0)
	v_add_f32_e32 v0, v0, v7
	ds_bpermute_b32 v7, v5, v0
	s_waitcnt lgkmcnt(0)
	v_add_f32_e32 v0, v0, v7
	;; [unrolled: 3-line block ×3, first 2 shown]
	s_and_saveexec_b32 s0, s1
	s_cbranch_execz .LBB146_19
; %bb.18:
	global_store_dword v1, v0, s[2:3] offset:64
.LBB146_19:
	s_or_b32 exec_lo, exec_lo, s0
	v_cmp_gt_u32_e64 s0, 0x400, v3
	s_and_b32 exec_lo, exec_lo, s0
	s_cbranch_execz .LBB146_29
; %bb.20:
	s_and_saveexec_b32 s0, vcc_lo
; %bb.21:
	v_lshlrev_b32_e32 v0, 2, v2
	v_add3_u32 v0, 0, v1, v0
	ds_read_b32 v0, v0 offset:128
; %bb.22:
	s_or_b32 exec_lo, exec_lo, s0
	s_waitcnt lgkmcnt(0)
	ds_bpermute_b32 v7, v4, v0
	s_waitcnt lgkmcnt(0)
	v_add_f32_e32 v0, v0, v7
	ds_bpermute_b32 v7, v5, v0
	s_waitcnt lgkmcnt(0)
	v_add_f32_e32 v0, v0, v7
	;; [unrolled: 3-line block ×3, first 2 shown]
	s_and_saveexec_b32 s0, s1
	s_cbranch_execz .LBB146_24
; %bb.23:
	global_store_dword v1, v0, s[2:3] offset:128
.LBB146_24:
	s_or_b32 exec_lo, exec_lo, s0
	v_cmp_gt_u32_e64 s0, 0x200, v3
	s_and_b32 exec_lo, exec_lo, s0
	s_cbranch_execz .LBB146_29
; %bb.25:
	s_and_saveexec_b32 s0, vcc_lo
; %bb.26:
	v_lshlrev_b32_e32 v0, 2, v2
	v_add3_u32 v0, 0, v1, v0
	ds_read_b32 v0, v0 offset:192
; %bb.27:
	s_or_b32 exec_lo, exec_lo, s0
	s_waitcnt lgkmcnt(0)
	ds_bpermute_b32 v2, v4, v0
	s_waitcnt lgkmcnt(0)
	v_add_f32_e32 v0, v0, v2
	ds_bpermute_b32 v2, v5, v0
	s_waitcnt lgkmcnt(0)
	v_add_f32_e32 v0, v0, v2
	ds_bpermute_b32 v2, v6, v0
	s_and_saveexec_b32 s0, s1
	s_xor_b32 s0, exec_lo, s0
	s_cbranch_execz .LBB146_29
; %bb.28:
	s_waitcnt lgkmcnt(0)
	v_add_f32_e32 v0, v0, v2
	global_store_dword v1, v0, s[2:3] offset:192
.LBB146_29:
	s_endpgm
	.section	.rodata,"a",@progbits
	.p2align	6, 0x0
	.amdhsa_kernel _ZN2at6native12_GLOBAL__N_135GammaBetaBackwardCUDAKernelTemplateIffLj64ELj8ELj64ELb0ELb1ELb1EEEvllPKT_S5_PKT0_S8_PS3_S9_
		.amdhsa_group_segment_fixed_size 0
		.amdhsa_private_segment_fixed_size 0
		.amdhsa_kernarg_size 320
		.amdhsa_user_sgpr_count 6
		.amdhsa_user_sgpr_private_segment_buffer 1
		.amdhsa_user_sgpr_dispatch_ptr 0
		.amdhsa_user_sgpr_queue_ptr 0
		.amdhsa_user_sgpr_kernarg_segment_ptr 1
		.amdhsa_user_sgpr_dispatch_id 0
		.amdhsa_user_sgpr_flat_scratch_init 0
		.amdhsa_user_sgpr_private_segment_size 0
		.amdhsa_wavefront_size32 1
		.amdhsa_uses_dynamic_stack 0
		.amdhsa_system_sgpr_private_segment_wavefront_offset 0
		.amdhsa_system_sgpr_workgroup_id_x 1
		.amdhsa_system_sgpr_workgroup_id_y 1
		.amdhsa_system_sgpr_workgroup_id_z 0
		.amdhsa_system_sgpr_workgroup_info 0
		.amdhsa_system_vgpr_workitem_id 1
		.amdhsa_next_free_vgpr 40
		.amdhsa_next_free_sgpr 22
		.amdhsa_reserve_vcc 1
		.amdhsa_reserve_flat_scratch 0
		.amdhsa_float_round_mode_32 0
		.amdhsa_float_round_mode_16_64 0
		.amdhsa_float_denorm_mode_32 3
		.amdhsa_float_denorm_mode_16_64 3
		.amdhsa_dx10_clamp 1
		.amdhsa_ieee_mode 1
		.amdhsa_fp16_overflow 0
		.amdhsa_workgroup_processor_mode 1
		.amdhsa_memory_ordered 1
		.amdhsa_forward_progress 1
		.amdhsa_shared_vgpr_count 0
		.amdhsa_exception_fp_ieee_invalid_op 0
		.amdhsa_exception_fp_denorm_src 0
		.amdhsa_exception_fp_ieee_div_zero 0
		.amdhsa_exception_fp_ieee_overflow 0
		.amdhsa_exception_fp_ieee_underflow 0
		.amdhsa_exception_fp_ieee_inexact 0
		.amdhsa_exception_int_div_zero 0
	.end_amdhsa_kernel
	.section	.text._ZN2at6native12_GLOBAL__N_135GammaBetaBackwardCUDAKernelTemplateIffLj64ELj8ELj64ELb0ELb1ELb1EEEvllPKT_S5_PKT0_S8_PS3_S9_,"axG",@progbits,_ZN2at6native12_GLOBAL__N_135GammaBetaBackwardCUDAKernelTemplateIffLj64ELj8ELj64ELb0ELb1ELb1EEEvllPKT_S5_PKT0_S8_PS3_S9_,comdat
.Lfunc_end146:
	.size	_ZN2at6native12_GLOBAL__N_135GammaBetaBackwardCUDAKernelTemplateIffLj64ELj8ELj64ELb0ELb1ELb1EEEvllPKT_S5_PKT0_S8_PS3_S9_, .Lfunc_end146-_ZN2at6native12_GLOBAL__N_135GammaBetaBackwardCUDAKernelTemplateIffLj64ELj8ELj64ELb0ELb1ELb1EEEvllPKT_S5_PKT0_S8_PS3_S9_
                                        ; -- End function
	.set _ZN2at6native12_GLOBAL__N_135GammaBetaBackwardCUDAKernelTemplateIffLj64ELj8ELj64ELb0ELb1ELb1EEEvllPKT_S5_PKT0_S8_PS3_S9_.num_vgpr, 40
	.set _ZN2at6native12_GLOBAL__N_135GammaBetaBackwardCUDAKernelTemplateIffLj64ELj8ELj64ELb0ELb1ELb1EEEvllPKT_S5_PKT0_S8_PS3_S9_.num_agpr, 0
	.set _ZN2at6native12_GLOBAL__N_135GammaBetaBackwardCUDAKernelTemplateIffLj64ELj8ELj64ELb0ELb1ELb1EEEvllPKT_S5_PKT0_S8_PS3_S9_.numbered_sgpr, 22
	.set _ZN2at6native12_GLOBAL__N_135GammaBetaBackwardCUDAKernelTemplateIffLj64ELj8ELj64ELb0ELb1ELb1EEEvllPKT_S5_PKT0_S8_PS3_S9_.num_named_barrier, 0
	.set _ZN2at6native12_GLOBAL__N_135GammaBetaBackwardCUDAKernelTemplateIffLj64ELj8ELj64ELb0ELb1ELb1EEEvllPKT_S5_PKT0_S8_PS3_S9_.private_seg_size, 0
	.set _ZN2at6native12_GLOBAL__N_135GammaBetaBackwardCUDAKernelTemplateIffLj64ELj8ELj64ELb0ELb1ELb1EEEvllPKT_S5_PKT0_S8_PS3_S9_.uses_vcc, 1
	.set _ZN2at6native12_GLOBAL__N_135GammaBetaBackwardCUDAKernelTemplateIffLj64ELj8ELj64ELb0ELb1ELb1EEEvllPKT_S5_PKT0_S8_PS3_S9_.uses_flat_scratch, 0
	.set _ZN2at6native12_GLOBAL__N_135GammaBetaBackwardCUDAKernelTemplateIffLj64ELj8ELj64ELb0ELb1ELb1EEEvllPKT_S5_PKT0_S8_PS3_S9_.has_dyn_sized_stack, 0
	.set _ZN2at6native12_GLOBAL__N_135GammaBetaBackwardCUDAKernelTemplateIffLj64ELj8ELj64ELb0ELb1ELb1EEEvllPKT_S5_PKT0_S8_PS3_S9_.has_recursion, 0
	.set _ZN2at6native12_GLOBAL__N_135GammaBetaBackwardCUDAKernelTemplateIffLj64ELj8ELj64ELb0ELb1ELb1EEEvllPKT_S5_PKT0_S8_PS3_S9_.has_indirect_call, 0
	.section	.AMDGPU.csdata,"",@progbits
; Kernel info:
; codeLenInByte = 1736
; TotalNumSgprs: 24
; NumVgprs: 40
; ScratchSize: 0
; MemoryBound: 0
; FloatMode: 240
; IeeeMode: 1
; LDSByteSize: 0 bytes/workgroup (compile time only)
; SGPRBlocks: 0
; VGPRBlocks: 4
; NumSGPRsForWavesPerEU: 24
; NumVGPRsForWavesPerEU: 40
; Occupancy: 16
; WaveLimiterHint : 0
; COMPUTE_PGM_RSRC2:SCRATCH_EN: 0
; COMPUTE_PGM_RSRC2:USER_SGPR: 6
; COMPUTE_PGM_RSRC2:TRAP_HANDLER: 0
; COMPUTE_PGM_RSRC2:TGID_X_EN: 1
; COMPUTE_PGM_RSRC2:TGID_Y_EN: 1
; COMPUTE_PGM_RSRC2:TGID_Z_EN: 0
; COMPUTE_PGM_RSRC2:TIDIG_COMP_CNT: 1
	.section	.text._ZN2at6native12_GLOBAL__N_135GammaBetaBackwardCUDAKernelTemplateIffLj64ELj8ELj64ELb0ELb0ELb1EEEvllPKT_S5_PKT0_S8_PS3_S9_,"axG",@progbits,_ZN2at6native12_GLOBAL__N_135GammaBetaBackwardCUDAKernelTemplateIffLj64ELj8ELj64ELb0ELb0ELb1EEEvllPKT_S5_PKT0_S8_PS3_S9_,comdat
	.globl	_ZN2at6native12_GLOBAL__N_135GammaBetaBackwardCUDAKernelTemplateIffLj64ELj8ELj64ELb0ELb0ELb1EEEvllPKT_S5_PKT0_S8_PS3_S9_ ; -- Begin function _ZN2at6native12_GLOBAL__N_135GammaBetaBackwardCUDAKernelTemplateIffLj64ELj8ELj64ELb0ELb0ELb1EEEvllPKT_S5_PKT0_S8_PS3_S9_
	.p2align	8
	.type	_ZN2at6native12_GLOBAL__N_135GammaBetaBackwardCUDAKernelTemplateIffLj64ELj8ELj64ELb0ELb0ELb1EEEvllPKT_S5_PKT0_S8_PS3_S9_,@function
_ZN2at6native12_GLOBAL__N_135GammaBetaBackwardCUDAKernelTemplateIffLj64ELj8ELj64ELb0ELb0ELb1EEEvllPKT_S5_PKT0_S8_PS3_S9_: ; @_ZN2at6native12_GLOBAL__N_135GammaBetaBackwardCUDAKernelTemplateIffLj64ELj8ELj64ELb0ELb0ELb1EEEvllPKT_S5_PKT0_S8_PS3_S9_
; %bb.0:
	s_clause 0x1
	s_load_dwordx8 s[8:15], s[4:5], 0x0
	s_load_dwordx2 s[2:3], s[4:5], 0x28
	s_lshl_b32 s26, s6, 6
	s_mov_b32 s17, 0
	s_or_b32 s16, s26, 63
	s_waitcnt lgkmcnt(0)
	v_cmp_le_i64_e64 s0, s[10:11], s[16:17]
	s_lshl_b32 s16, s7, 6
	v_cmp_gt_i64_e64 s7, s[8:9], s[16:17]
	s_and_b32 vcc_lo, exec_lo, s0
	v_cndmask_b32_e64 v2, 0, 1, s7
	v_cmp_ne_u32_e64 s0, 1, v2
	s_cbranch_vccz .LBB147_49
; %bb.1:
	v_mov_b32_e32 v83, 0
	s_and_b32 vcc_lo, exec_lo, s0
	s_cbranch_vccnz .LBB147_50
; %bb.2:
	v_lshlrev_b32_e32 v21, 3, v1
	v_mov_b32_e32 v2, 0
	v_add_nc_u32_e32 v5, s26, v0
	s_load_dword s1, s[4:5], 0x44
	s_add_u32 s18, s4, 64
	v_add_co_u32 v11, s0, v21, s16
	v_add_co_ci_u32_e64 v12, null, 0, 0, s0
	v_mov_b32_e32 v6, v2
	v_mul_lo_u32 v7, s11, v11
	v_mad_u64_u32 v[3:4], null, s10, v11, 0
	v_mul_lo_u32 v8, s10, v12
	v_cmp_gt_i64_e64 s0, s[10:11], v[5:6]
	v_lshlrev_b64 v[19:20], 2, v[5:6]
	s_addc_u32 s19, s5, 0
	v_mov_b32_e32 v54, 0
	s_mov_b64 s[24:25], s[16:17]
	v_add3_u32 v4, v4, v8, v7
	v_add_co_u32 v7, vcc_lo, v11, 7
	v_add_co_ci_u32_e64 v8, null, 0, v12, vcc_lo
	v_lshlrev_b64 v[5:6], 2, v[3:4]
	v_mul_lo_u32 v13, s11, v7
	s_waitcnt lgkmcnt(0)
	s_lshl_b32 s27, s1, 6
	v_mul_lo_u32 v14, s10, v8
	v_mad_u64_u32 v[7:8], null, s10, v7, 0
	v_add_co_u32 v22, vcc_lo, s12, v5
	v_add_co_ci_u32_e64 v23, null, s13, v6, vcc_lo
	v_add_co_u32 v9, vcc_lo, v11, 6
	v_add_co_ci_u32_e64 v10, null, 0, v12, vcc_lo
	v_add_co_u32 v24, vcc_lo, s14, v5
	v_mul_lo_u32 v15, s11, v9
	v_mul_lo_u32 v16, s10, v10
	v_mad_u64_u32 v[9:10], null, s10, v9, 0
	v_add3_u32 v8, v8, v14, v13
	v_add_co_ci_u32_e64 v25, null, s15, v6, vcc_lo
	v_add_co_u32 v13, vcc_lo, v11, 5
	v_add_co_ci_u32_e64 v14, null, 0, v12, vcc_lo
	v_add3_u32 v10, v10, v16, v15
	v_lshlrev_b64 v[5:6], 2, v[7:8]
	v_mul_lo_u32 v15, s11, v13
	v_mul_lo_u32 v14, s10, v14
	s_mul_i32 s1, s11, s27
	v_lshlrev_b64 v[7:8], 2, v[9:10]
	v_mad_u64_u32 v[9:10], null, s10, v13, 0
	v_add_co_u32 v26, vcc_lo, s12, v5
	v_add_co_ci_u32_e64 v27, null, s13, v6, vcc_lo
	v_add_co_u32 v28, vcc_lo, s14, v5
	v_add_co_ci_u32_e64 v29, null, s15, v6, vcc_lo
	v_add_co_u32 v30, vcc_lo, s12, v7
	v_add3_u32 v10, v10, v14, v15
	s_mul_hi_u32 s20, s10, s27
	v_add_co_ci_u32_e64 v31, null, s13, v8, vcc_lo
	v_add_co_u32 v13, vcc_lo, v11, 4
	s_add_i32 s21, s20, s1
	v_add_co_u32 v32, s1, s14, v7
	v_add_co_ci_u32_e64 v7, null, 0, v12, vcc_lo
	v_lshlrev_b64 v[5:6], 2, v[9:10]
	v_add_co_u32 v9, vcc_lo, v11, 3
	v_add_co_ci_u32_e64 v10, null, 0, v12, vcc_lo
	v_add_co_ci_u32_e64 v33, null, s15, v8, s1
	v_mul_lo_u32 v14, s11, v13
	v_mul_lo_u32 v15, s10, v7
	v_mad_u64_u32 v[7:8], null, s10, v13, 0
	v_mul_lo_u32 v13, s11, v9
	v_mul_lo_u32 v16, s10, v10
	v_mad_u64_u32 v[9:10], null, s10, v9, 0
	v_add_co_u32 v34, vcc_lo, s12, v5
	v_add_co_ci_u32_e64 v35, null, s13, v6, vcc_lo
	v_add3_u32 v8, v8, v15, v14
	v_add_co_u32 v36, vcc_lo, s14, v5
	v_add_co_ci_u32_e64 v37, null, s15, v6, vcc_lo
	v_add_co_u32 v11, vcc_lo, v11, 2
	v_add3_u32 v10, v10, v16, v13
	v_add_co_ci_u32_e64 v12, null, 0, v12, vcc_lo
	v_lshlrev_b64 v[5:6], 2, v[7:8]
	v_mul_lo_u32 v13, s11, v11
	v_lshlrev_b64 v[7:8], 2, v[9:10]
	v_mul_lo_u32 v12, s10, v12
	v_mad_u64_u32 v[9:10], null, s10, v11, 0
	v_add_co_u32 v38, vcc_lo, s12, v5
	v_add_co_ci_u32_e64 v39, null, s13, v6, vcc_lo
	v_add_co_u32 v40, vcc_lo, s14, v5
	v_add_co_ci_u32_e64 v41, null, s15, v6, vcc_lo
	;; [unrolled: 2-line block ×3, first 2 shown]
	v_add3_u32 v10, v10, v12, v13
	v_add_co_u32 v44, vcc_lo, s14, v7
	v_add_co_ci_u32_e64 v45, null, s15, v8, vcc_lo
	v_add_co_u32 v3, vcc_lo, v3, s10
	v_add_co_ci_u32_e64 v4, null, s11, v4, vcc_lo
	v_lshlrev_b64 v[5:6], 2, v[9:10]
	s_mul_i32 s20, s10, s27
	v_lshlrev_b64 v[3:4], 2, v[3:4]
	s_lshl_b64 s[20:21], s[20:21], 2
	s_add_u32 s22, s16, 63
	v_add_co_u32 v46, vcc_lo, s12, v5
	v_add_co_ci_u32_e64 v47, null, s13, v6, vcc_lo
	v_add_co_u32 v48, vcc_lo, s14, v5
	v_add_co_ci_u32_e64 v49, null, s15, v6, vcc_lo
	;; [unrolled: 2-line block ×4, first 2 shown]
	s_addc_u32 s23, 0, 0
.LBB147_3:                              ; =>This Inner Loop Header: Depth=1
	v_cmp_ge_i64_e64 s1, s[22:23], s[8:9]
	v_add_co_u32 v55, s28, v21, s22
	v_add_co_ci_u32_e64 v56, null, 0, s23, s28
                                        ; implicit-def: $vgpr3_vgpr4_vgpr5_vgpr6_vgpr7_vgpr8_vgpr9_vgpr10
                                        ; implicit-def: $vgpr83
                                        ; implicit-def: $vgpr11_vgpr12_vgpr13_vgpr14_vgpr15_vgpr16_vgpr17_vgpr18
                                        ; implicit-def: $vgpr3
	s_and_b32 vcc_lo, exec_lo, s1
	s_mov_b32 s1, -1
	s_cbranch_vccz .LBB147_25
; %bb.4:                                ;   in Loop: Header=BB147_3 Depth=1
	s_load_dword s1, s[18:19], 0xc
	v_mov_b32_e32 v57, 0
	s_waitcnt lgkmcnt(0)
	s_and_b32 s1, s1, 0xffff
	v_mad_u32_u24 v3, v1, s1, v0
	s_mov_b32 s1, exec_lo
	v_and_b32_e32 v3, 31, v3
	v_cmpx_gt_u32_e32 8, v3
	s_cbranch_execz .LBB147_8
; %bb.5:                                ;   in Loop: Header=BB147_3 Depth=1
	v_add_co_u32 v3, vcc_lo, v55, v3
	v_add_co_ci_u32_e64 v4, null, 0, v56, vcc_lo
	v_mov_b32_e32 v57, 0
	v_add_co_u32 v3, vcc_lo, 0xffffffc1, v3
	v_add_co_ci_u32_e64 v4, null, -1, v4, vcc_lo
	s_mov_b32 s28, exec_lo
	v_cmpx_gt_i64_e64 s[8:9], v[3:4]
	s_cbranch_execz .LBB147_7
; %bb.6:                                ;   in Loop: Header=BB147_3 Depth=1
	v_lshlrev_b64 v[3:4], 2, v[3:4]
	v_add_co_u32 v3, vcc_lo, s2, v3
	v_add_co_ci_u32_e64 v4, null, s3, v4, vcc_lo
	global_load_dword v57, v[3:4], off
.LBB147_7:                              ;   in Loop: Header=BB147_3 Depth=1
	s_or_b32 exec_lo, exec_lo, s28
.LBB147_8:                              ;   in Loop: Header=BB147_3 Depth=1
	s_or_b32 exec_lo, exec_lo, s1
	v_add_co_u32 v10, vcc_lo, 0xffffffc1, v55
	v_add_co_ci_u32_e64 v11, null, -1, v56, vcc_lo
	v_mov_b32_e32 v9, v2
	v_mov_b32_e32 v3, v2
	v_mov_b32_e32 v4, v2
	v_mov_b32_e32 v5, v2
	v_mov_b32_e32 v6, v2
	v_mov_b32_e32 v7, v2
	v_mov_b32_e32 v8, v2
	v_cmp_gt_i64_e32 vcc_lo, s[8:9], v[10:11]
	v_mov_b32_e32 v18, v9
	v_mov_b32_e32 v15, v6
	;; [unrolled: 1-line block ×16, first 2 shown]
	s_and_b32 s28, s0, vcc_lo
	s_and_saveexec_b32 s1, s28
	s_cbranch_execz .LBB147_10
; %bb.9:                                ;   in Loop: Header=BB147_3 Depth=1
	v_add_co_u32 v3, vcc_lo, v22, v19
	v_add_co_ci_u32_e64 v4, null, v23, v20, vcc_lo
	v_add_co_u32 v5, vcc_lo, v24, v19
	v_add_co_ci_u32_e64 v6, null, v25, v20, vcc_lo
	global_load_dword v3, v[3:4], off
	global_load_dword v11, v[5:6], off
	v_mov_b32_e32 v4, v2
	v_mov_b32_e32 v5, v2
	;; [unrolled: 1-line block ×14, first 2 shown]
.LBB147_10:                             ;   in Loop: Header=BB147_3 Depth=1
	s_or_b32 exec_lo, exec_lo, s1
	v_add_co_u32 v58, vcc_lo, 0xffffffc2, v55
	v_add_co_ci_u32_e64 v59, null, -1, v56, vcc_lo
	v_cmp_gt_i64_e32 vcc_lo, s[8:9], v[58:59]
	s_and_b32 s28, s0, vcc_lo
	s_and_saveexec_b32 s1, s28
	s_cbranch_execz .LBB147_12
; %bb.11:                               ;   in Loop: Header=BB147_3 Depth=1
	v_add_co_u32 v58, vcc_lo, v50, v19
	v_add_co_ci_u32_e64 v59, null, v51, v20, vcc_lo
	v_add_co_u32 v60, vcc_lo, v52, v19
	v_add_co_ci_u32_e64 v61, null, v53, v20, vcc_lo
	global_load_dword v4, v[58:59], off
	global_load_dword v12, v[60:61], off
.LBB147_12:                             ;   in Loop: Header=BB147_3 Depth=1
	s_or_b32 exec_lo, exec_lo, s1
	v_add_co_u32 v58, vcc_lo, 0xffffffc3, v55
	v_add_co_ci_u32_e64 v59, null, -1, v56, vcc_lo
	v_cmp_gt_i64_e32 vcc_lo, s[8:9], v[58:59]
	s_and_b32 s28, s0, vcc_lo
	s_and_saveexec_b32 s1, s28
	s_cbranch_execz .LBB147_14
; %bb.13:                               ;   in Loop: Header=BB147_3 Depth=1
	v_add_co_u32 v58, vcc_lo, v46, v19
	v_add_co_ci_u32_e64 v59, null, v47, v20, vcc_lo
	v_add_co_u32 v60, vcc_lo, v48, v19
	v_add_co_ci_u32_e64 v61, null, v49, v20, vcc_lo
	global_load_dword v5, v[58:59], off
	global_load_dword v13, v[60:61], off
.LBB147_14:                             ;   in Loop: Header=BB147_3 Depth=1
	;; [unrolled: 15-line block ×7, first 2 shown]
	s_or_b32 exec_lo, exec_lo, s1
	s_waitcnt vmcnt(0)
	ds_bpermute_b32 v58, v2, v57
	ds_bpermute_b32 v59, v2, v57 offset:4
	ds_bpermute_b32 v60, v2, v57 offset:8
	v_mul_f32_e32 v3, v11, v3
	ds_bpermute_b32 v11, v2, v57 offset:12
	v_mul_f32_e32 v4, v12, v4
	;; [unrolled: 2-line block ×3, first 2 shown]
	s_mov_b32 s1, 0
	s_waitcnt lgkmcnt(4)
	v_fma_f32 v83, v3, v58, v54
	v_mul_f32_e32 v3, v13, v5
	ds_bpermute_b32 v5, v2, v57 offset:20
	s_waitcnt lgkmcnt(4)
	v_fmac_f32_e32 v83, v4, v59
	v_mul_f32_e32 v4, v14, v6
	ds_bpermute_b32 v6, v2, v57 offset:24
	s_waitcnt lgkmcnt(4)
	v_fmac_f32_e32 v83, v3, v60
	ds_bpermute_b32 v3, v2, v57 offset:28
	s_waitcnt lgkmcnt(4)
	v_fmac_f32_e32 v83, v4, v11
	v_mul_f32_e32 v4, v16, v8
	s_waitcnt lgkmcnt(3)
	v_fmac_f32_e32 v83, v7, v12
	s_waitcnt lgkmcnt(2)
	v_fmac_f32_e32 v83, v4, v5
	v_mul_f32_e32 v4, v17, v9
	s_waitcnt lgkmcnt(1)
	v_fmac_f32_e32 v83, v4, v6
.LBB147_25:                             ;   in Loop: Header=BB147_3 Depth=1
	s_and_b32 vcc_lo, exec_lo, s1
	s_cbranch_vccz .LBB147_40
; %bb.26:                               ;   in Loop: Header=BB147_3 Depth=1
	s_load_dword s1, s[18:19], 0x0
	v_mov_b32_e32 v57, 0
	s_waitcnt lgkmcnt(0)
	s_cmp_lt_u32 s6, s1
	s_cselect_b32 s1, 12, 18
	s_add_u32 s28, s18, s1
	s_addc_u32 s29, s19, 0
	s_mov_b32 s1, exec_lo
	global_load_ushort v3, v2, s[28:29]
	s_waitcnt vmcnt(0)
	v_mad_u32_u24 v3, v1, v3, v0
	v_and_b32_e32 v3, 31, v3
	v_cmpx_gt_u32_e32 8, v3
	s_cbranch_execz .LBB147_30
; %bb.27:                               ;   in Loop: Header=BB147_3 Depth=1
	v_add_co_u32 v3, vcc_lo, v55, v3
	v_add_co_ci_u32_e64 v4, null, 0, v56, vcc_lo
	v_mov_b32_e32 v57, 0
	v_add_co_u32 v3, vcc_lo, 0xffffffc1, v3
	v_add_co_ci_u32_e64 v4, null, -1, v4, vcc_lo
	s_mov_b32 s28, exec_lo
	v_cmpx_gt_i64_e64 s[8:9], v[3:4]
	s_cbranch_execz .LBB147_29
; %bb.28:                               ;   in Loop: Header=BB147_3 Depth=1
	v_lshlrev_b64 v[3:4], 2, v[3:4]
	v_add_co_u32 v3, vcc_lo, s2, v3
	v_add_co_ci_u32_e64 v4, null, s3, v4, vcc_lo
	global_load_dword v57, v[3:4], off
.LBB147_29:                             ;   in Loop: Header=BB147_3 Depth=1
	s_or_b32 exec_lo, exec_lo, s28
.LBB147_30:                             ;   in Loop: Header=BB147_3 Depth=1
	s_or_b32 exec_lo, exec_lo, s1
	v_mov_b32_e32 v9, v2
	v_mov_b32_e32 v3, v2
	v_mov_b32_e32 v4, v2
	v_mov_b32_e32 v5, v2
	v_mov_b32_e32 v6, v2
	v_mov_b32_e32 v7, v2
	v_mov_b32_e32 v8, v2
	v_mov_b32_e32 v18, v9
	v_mov_b32_e32 v14, v5
	v_mov_b32_e32 v15, v6
	v_mov_b32_e32 v16, v7
	v_mov_b32_e32 v17, v8
	v_mov_b32_e32 v13, v4
	v_mov_b32_e32 v12, v3
	v_mov_b32_e32 v11, v2
	v_mov_b32_e32 v10, v9
	v_mov_b32_e32 v9, v8
	v_mov_b32_e32 v8, v7
	v_mov_b32_e32 v7, v6
	v_mov_b32_e32 v6, v5
	v_mov_b32_e32 v5, v4
	v_mov_b32_e32 v4, v3
	v_mov_b32_e32 v3, v2
	s_and_saveexec_b32 s1, s0
	s_cbranch_execnz .LBB147_42
; %bb.31:                               ;   in Loop: Header=BB147_3 Depth=1
	s_or_b32 exec_lo, exec_lo, s1
	s_and_saveexec_b32 s1, s0
	s_cbranch_execnz .LBB147_43
.LBB147_32:                             ;   in Loop: Header=BB147_3 Depth=1
	s_or_b32 exec_lo, exec_lo, s1
	s_and_saveexec_b32 s1, s0
	s_cbranch_execnz .LBB147_44
.LBB147_33:                             ;   in Loop: Header=BB147_3 Depth=1
	s_or_b32 exec_lo, exec_lo, s1
	s_and_saveexec_b32 s1, s0
	s_cbranch_execnz .LBB147_45
.LBB147_34:                             ;   in Loop: Header=BB147_3 Depth=1
	s_or_b32 exec_lo, exec_lo, s1
	s_and_saveexec_b32 s1, s0
	s_cbranch_execnz .LBB147_46
.LBB147_35:                             ;   in Loop: Header=BB147_3 Depth=1
	s_or_b32 exec_lo, exec_lo, s1
	s_and_saveexec_b32 s1, s0
	s_cbranch_execnz .LBB147_47
.LBB147_36:                             ;   in Loop: Header=BB147_3 Depth=1
	s_or_b32 exec_lo, exec_lo, s1
	s_and_saveexec_b32 s1, s0
	s_cbranch_execnz .LBB147_48
.LBB147_37:                             ;   in Loop: Header=BB147_3 Depth=1
	s_or_b32 exec_lo, exec_lo, s1
	s_and_saveexec_b32 s1, s0
	s_cbranch_execz .LBB147_39
.LBB147_38:                             ;   in Loop: Header=BB147_3 Depth=1
	v_add_co_u32 v55, vcc_lo, v26, v19
	v_add_co_ci_u32_e64 v56, null, v27, v20, vcc_lo
	v_add_co_u32 v58, vcc_lo, v28, v19
	v_add_co_ci_u32_e64 v59, null, v29, v20, vcc_lo
	global_load_dword v10, v[55:56], off
	global_load_dword v18, v[58:59], off
.LBB147_39:                             ;   in Loop: Header=BB147_3 Depth=1
	s_or_b32 exec_lo, exec_lo, s1
	s_waitcnt vmcnt(0)
	ds_bpermute_b32 v55, v2, v57
	ds_bpermute_b32 v56, v2, v57 offset:4
	ds_bpermute_b32 v58, v2, v57 offset:8
	v_mul_f32_e32 v3, v11, v3
	ds_bpermute_b32 v11, v2, v57 offset:12
	v_mul_f32_e32 v4, v12, v4
	ds_bpermute_b32 v12, v2, v57 offset:16
	s_waitcnt lgkmcnt(4)
	v_fmac_f32_e32 v54, v3, v55
	v_mul_f32_e32 v3, v13, v5
	ds_bpermute_b32 v5, v2, v57 offset:20
	s_waitcnt lgkmcnt(4)
	v_fmac_f32_e32 v54, v4, v56
	;; [unrolled: 4-line block ×3, first 2 shown]
	v_mul_f32_e32 v3, v15, v7
	s_waitcnt lgkmcnt(3)
	v_fmac_f32_e32 v54, v4, v11
	v_mul_f32_e32 v4, v16, v8
	s_waitcnt lgkmcnt(2)
	v_fmac_f32_e32 v54, v3, v12
	ds_bpermute_b32 v3, v2, v57 offset:28
	s_waitcnt lgkmcnt(2)
	v_fmac_f32_e32 v54, v4, v5
	v_mul_f32_e32 v4, v17, v9
	s_waitcnt lgkmcnt(1)
	v_fmac_f32_e32 v54, v4, v6
	v_mov_b32_e32 v83, v54
.LBB147_40:                             ;   in Loop: Header=BB147_3 Depth=1
	v_add_co_u32 v22, vcc_lo, v22, s20
	v_add_co_ci_u32_e64 v23, null, s21, v23, vcc_lo
	v_add_co_u32 v24, vcc_lo, v24, s20
	v_add_co_ci_u32_e64 v25, null, s21, v25, vcc_lo
	;; [unrolled: 2-line block ×12, first 2 shown]
	v_add_co_u32 v46, vcc_lo, v46, s20
	s_add_u32 s24, s24, s27
	v_add_co_ci_u32_e64 v47, null, s21, v47, vcc_lo
	v_add_co_u32 v48, vcc_lo, v48, s20
	v_mul_f32_e32 v4, v10, v18
	s_addc_u32 s25, s25, 0
	v_add_co_ci_u32_e64 v49, null, s21, v49, vcc_lo
	v_add_co_u32 v50, vcc_lo, v50, s20
	v_cmp_lt_i64_e64 s1, s[24:25], s[8:9]
	v_add_co_ci_u32_e64 v51, null, s21, v51, vcc_lo
	v_add_co_u32 v52, vcc_lo, v52, s20
	s_waitcnt lgkmcnt(0)
	v_fmac_f32_e32 v83, v4, v3
	v_add_co_ci_u32_e64 v53, null, s21, v53, vcc_lo
	s_add_u32 s22, s22, s27
	s_addc_u32 s23, s23, 0
	s_and_b32 vcc_lo, exec_lo, s1
	s_cbranch_vccz .LBB147_50
; %bb.41:                               ;   in Loop: Header=BB147_3 Depth=1
	v_mov_b32_e32 v54, v83
	s_branch .LBB147_3
.LBB147_42:                             ;   in Loop: Header=BB147_3 Depth=1
	v_add_co_u32 v3, vcc_lo, v22, v19
	v_add_co_ci_u32_e64 v4, null, v23, v20, vcc_lo
	v_add_co_u32 v5, vcc_lo, v24, v19
	v_add_co_ci_u32_e64 v6, null, v25, v20, vcc_lo
	global_load_dword v3, v[3:4], off
	global_load_dword v11, v[5:6], off
	v_mov_b32_e32 v4, v2
	v_mov_b32_e32 v5, v2
	;; [unrolled: 1-line block ×14, first 2 shown]
	s_or_b32 exec_lo, exec_lo, s1
	s_and_saveexec_b32 s1, s0
	s_cbranch_execz .LBB147_32
.LBB147_43:                             ;   in Loop: Header=BB147_3 Depth=1
	v_add_co_u32 v55, vcc_lo, v50, v19
	v_add_co_ci_u32_e64 v56, null, v51, v20, vcc_lo
	v_add_co_u32 v58, vcc_lo, v52, v19
	v_add_co_ci_u32_e64 v59, null, v53, v20, vcc_lo
	global_load_dword v4, v[55:56], off
	global_load_dword v12, v[58:59], off
	s_or_b32 exec_lo, exec_lo, s1
	s_and_saveexec_b32 s1, s0
	s_cbranch_execz .LBB147_33
.LBB147_44:                             ;   in Loop: Header=BB147_3 Depth=1
	v_add_co_u32 v55, vcc_lo, v46, v19
	v_add_co_ci_u32_e64 v56, null, v47, v20, vcc_lo
	v_add_co_u32 v58, vcc_lo, v48, v19
	v_add_co_ci_u32_e64 v59, null, v49, v20, vcc_lo
	global_load_dword v5, v[55:56], off
	global_load_dword v13, v[58:59], off
	s_or_b32 exec_lo, exec_lo, s1
	s_and_saveexec_b32 s1, s0
	s_cbranch_execz .LBB147_34
.LBB147_45:                             ;   in Loop: Header=BB147_3 Depth=1
	v_add_co_u32 v55, vcc_lo, v42, v19
	v_add_co_ci_u32_e64 v56, null, v43, v20, vcc_lo
	v_add_co_u32 v58, vcc_lo, v44, v19
	v_add_co_ci_u32_e64 v59, null, v45, v20, vcc_lo
	global_load_dword v6, v[55:56], off
	global_load_dword v14, v[58:59], off
	s_or_b32 exec_lo, exec_lo, s1
	s_and_saveexec_b32 s1, s0
	s_cbranch_execz .LBB147_35
.LBB147_46:                             ;   in Loop: Header=BB147_3 Depth=1
	v_add_co_u32 v55, vcc_lo, v38, v19
	v_add_co_ci_u32_e64 v56, null, v39, v20, vcc_lo
	v_add_co_u32 v58, vcc_lo, v40, v19
	v_add_co_ci_u32_e64 v59, null, v41, v20, vcc_lo
	global_load_dword v7, v[55:56], off
	global_load_dword v15, v[58:59], off
	s_or_b32 exec_lo, exec_lo, s1
	s_and_saveexec_b32 s1, s0
	s_cbranch_execz .LBB147_36
.LBB147_47:                             ;   in Loop: Header=BB147_3 Depth=1
	v_add_co_u32 v55, vcc_lo, v34, v19
	v_add_co_ci_u32_e64 v56, null, v35, v20, vcc_lo
	v_add_co_u32 v58, vcc_lo, v36, v19
	v_add_co_ci_u32_e64 v59, null, v37, v20, vcc_lo
	global_load_dword v8, v[55:56], off
	global_load_dword v16, v[58:59], off
	s_or_b32 exec_lo, exec_lo, s1
	s_and_saveexec_b32 s1, s0
	s_cbranch_execz .LBB147_37
.LBB147_48:                             ;   in Loop: Header=BB147_3 Depth=1
	v_add_co_u32 v55, vcc_lo, v30, v19
	v_add_co_ci_u32_e64 v56, null, v31, v20, vcc_lo
	v_add_co_u32 v58, vcc_lo, v32, v19
	v_add_co_ci_u32_e64 v59, null, v33, v20, vcc_lo
	global_load_dword v9, v[55:56], off
	global_load_dword v17, v[58:59], off
	s_or_b32 exec_lo, exec_lo, s1
	s_and_saveexec_b32 s1, s0
	s_cbranch_execnz .LBB147_38
	s_branch .LBB147_39
.LBB147_49:
                                        ; implicit-def: $vgpr83
	s_branch .LBB147_51
.LBB147_50:
	s_cbranch_execnz .LBB147_83
.LBB147_51:
	v_mov_b32_e32 v83, 0
	s_andn2_b32 vcc_lo, exec_lo, s7
	s_cbranch_vccnz .LBB147_83
; %bb.52:
	s_load_dword s7, s[4:5], 0x44
	v_lshlrev_b32_e32 v49, 3, v1
	v_lshlrev_b32_e32 v6, 5, v1
	v_mov_b32_e32 v82, 0
	v_add_co_u32 v10, s0, v49, s16
	v_add_co_ci_u32_e64 v11, null, 0, 0, s0
	s_add_u32 s0, s4, 64
	v_mul_lo_u32 v4, s11, v10
	v_mad_u64_u32 v[2:3], null, s10, v10, 0
	v_mul_lo_u32 v5, s10, v11
	s_addc_u32 s1, s5, 0
	s_waitcnt lgkmcnt(0)
	s_lshl_b32 s7, s7, 6
	v_add3_u32 v3, v3, v5, v4
	s_mul_i32 s19, s11, s7
	s_mul_hi_u32 s20, s10, s7
	s_mul_i32 s18, s10, s7
	s_add_i32 s19, s20, s19
	v_lshlrev_b64 v[4:5], 2, v[2:3]
	s_lshl_b64 s[18:19], s[18:19], 2
	s_add_u32 s20, s16, 63
	s_addc_u32 s21, 0, 0
	s_lshl_b64 s[22:23], s[16:17], 2
	v_add_co_u32 v6, s22, v6, s22
	v_add_co_ci_u32_e64 v7, null, 0, s23, s22
	v_add_co_u32 v8, vcc_lo, v6, 4
	v_add_co_ci_u32_e64 v9, null, 0, v7, vcc_lo
	v_add_co_u32 v50, vcc_lo, s12, v4
	v_add_co_ci_u32_e64 v51, null, s13, v5, vcc_lo
	;; [unrolled: 2-line block ×6, first 2 shown]
	v_add_co_u32 v41, vcc_lo, v6, 20
	v_mad_u64_u32 v[21:22], null, s10, v4, s[12:13]
	v_mul_lo_u32 v5, s10, v5
	v_mul_lo_u32 v15, s11, v4
	v_mad_u64_u32 v[35:36], null, s10, v4, s[14:15]
	v_add_co_ci_u32_e64 v29, null, 0, v7, vcc_lo
	v_add_co_u32 v43, vcc_lo, v6, 24
	v_add_co_ci_u32_e64 v31, null, 0, v7, vcc_lo
	v_add_co_u32 v6, vcc_lo, v6, 28
	v_mad_u64_u32 v[19:20], null, s10, v8, s[12:13]
	v_mul_lo_u32 v9, s10, v9
	v_mul_lo_u32 v12, s11, v8
	v_mad_u64_u32 v[33:34], null, s10, v8, s[14:15]
	v_add_co_ci_u32_e64 v7, null, 0, v7, vcc_lo
	v_add_co_u32 v4, vcc_lo, v10, 7
	v_add3_u32 v22, v15, v22, v5
	v_add3_u32 v36, v15, v36, v5
	v_add_co_ci_u32_e64 v5, null, 0, v11, vcc_lo
	v_mul_lo_u32 v57, s10, v7
	v_add_co_u32 v7, vcc_lo, v10, 6
	v_add3_u32 v20, v12, v20, v9
	v_add3_u32 v34, v12, v34, v9
	v_add_co_ci_u32_e64 v12, null, 0, v11, vcc_lo
	v_mul_lo_u32 v8, s11, v4
	v_mul_lo_u32 v9, s10, v5
	v_mad_u64_u32 v[4:5], null, s10, v4, 0
	v_mad_u64_u32 v[23:24], null, s10, v13, s[12:13]
	v_mul_lo_u32 v17, s11, v13
	v_mul_lo_u32 v55, s10, v31
	v_mad_u64_u32 v[31:32], null, s10, v6, s[12:13]
	v_mul_lo_u32 v58, s11, v6
	v_mad_u64_u32 v[37:38], null, s10, v13, s[14:15]
	v_mad_u64_u32 v[45:46], null, s10, v6, s[14:15]
	v_mul_lo_u32 v13, s11, v7
	v_mul_lo_u32 v12, s10, v12
	v_mad_u64_u32 v[6:7], null, s10, v7, 0
	v_add3_u32 v5, v5, v9, v8
	v_add_co_u32 v8, vcc_lo, v10, 5
	v_mad_u64_u32 v[27:28], null, s10, v41, s[12:13]
	v_mul_lo_u32 v48, s10, v29
	v_mul_lo_u32 v54, s11, v41
	v_mad_u64_u32 v[41:42], null, s10, v41, s[14:15]
	v_add3_u32 v7, v7, v12, v13
	v_add_co_ci_u32_e64 v9, null, 0, v11, vcc_lo
	v_mad_u64_u32 v[29:30], null, s10, v43, s[12:13]
	v_mul_lo_u32 v56, s11, v43
	v_mad_u64_u32 v[43:44], null, s10, v43, s[14:15]
	v_lshlrev_b64 v[4:5], 2, v[4:5]
	v_lshlrev_b64 v[6:7], 2, v[6:7]
	v_mul_lo_u32 v12, s11, v8
	v_mul_lo_u32 v13, s10, v9
	v_mad_u64_u32 v[8:9], null, s10, v8, 0
	v_add3_u32 v28, v54, v28, v48
	v_add3_u32 v42, v54, v42, v48
	v_add_co_u32 v54, vcc_lo, s12, v4
	v_add3_u32 v30, v56, v30, v55
	v_add3_u32 v44, v56, v44, v55
	v_add_co_ci_u32_e64 v55, null, s13, v5, vcc_lo
	v_add_co_u32 v56, vcc_lo, s14, v4
	v_add3_u32 v32, v58, v32, v57
	v_add3_u32 v46, v58, v46, v57
	v_add_co_ci_u32_e64 v57, null, s15, v5, vcc_lo
	v_add_co_u32 v58, vcc_lo, s12, v6
	v_add_co_ci_u32_e64 v59, null, s13, v7, vcc_lo
	v_add3_u32 v9, v9, v13, v12
	v_add_co_u32 v12, vcc_lo, v10, 4
	v_add_co_ci_u32_e64 v13, null, 0, v11, vcc_lo
	v_add_co_u32 v60, vcc_lo, s14, v6
	v_add_co_ci_u32_e64 v61, null, s15, v7, vcc_lo
	v_lshlrev_b64 v[4:5], 2, v[8:9]
	v_mul_lo_u32 v8, s11, v12
	v_mul_lo_u32 v9, s10, v13
	v_mad_u64_u32 v[6:7], null, s10, v12, 0
	v_mul_lo_u32 v14, s10, v14
	v_add_co_u32 v12, vcc_lo, v10, 3
	v_add_co_ci_u32_e64 v13, null, 0, v11, vcc_lo
	v_add_co_u32 v62, vcc_lo, s12, v4
	v_add_co_ci_u32_e64 v63, null, s13, v5, vcc_lo
	v_add3_u32 v7, v7, v9, v8
	v_add_co_u32 v10, vcc_lo, v10, 2
	v_add3_u32 v24, v17, v24, v14
	v_add3_u32 v38, v17, v38, v14
	v_mul_lo_u32 v14, s11, v12
	v_mul_lo_u32 v13, s10, v13
	v_mad_u64_u32 v[8:9], null, s10, v12, 0
	v_add_co_ci_u32_e64 v11, null, 0, v11, vcc_lo
	v_add_co_u32 v64, vcc_lo, s14, v4
	v_add_co_ci_u32_e64 v65, null, s15, v5, vcc_lo
	v_lshlrev_b64 v[4:5], 2, v[6:7]
	v_mul_lo_u32 v12, s11, v10
	v_mul_lo_u32 v11, s10, v11
	v_mad_u64_u32 v[6:7], null, s10, v10, 0
	v_add3_u32 v9, v9, v13, v14
	v_add_co_u32 v66, vcc_lo, s12, v4
	v_add_co_ci_u32_e64 v67, null, s13, v5, vcc_lo
	v_add_co_u32 v68, vcc_lo, s14, v4
	v_add_co_ci_u32_e64 v69, null, s15, v5, vcc_lo
	v_lshlrev_b64 v[4:5], 2, v[8:9]
	v_add3_u32 v7, v7, v11, v12
	v_add_co_u32 v2, vcc_lo, v2, s10
	v_add_co_ci_u32_e64 v3, null, s11, v3, vcc_lo
	v_lshlrev_b64 v[6:7], 2, v[6:7]
	v_add_co_u32 v70, vcc_lo, s12, v4
	v_add_co_ci_u32_e64 v71, null, s13, v5, vcc_lo
	v_add_co_u32 v72, vcc_lo, s14, v4
	v_lshlrev_b64 v[3:4], 2, v[2:3]
	v_mov_b32_e32 v2, 0
	v_mad_u64_u32 v[25:26], null, s10, v16, s[12:13]
	v_mul_lo_u32 v18, s10, v18
	v_mul_lo_u32 v47, s11, v16
	v_mad_u64_u32 v[39:40], null, s10, v16, s[14:15]
	v_add_co_ci_u32_e64 v73, null, s15, v5, vcc_lo
	v_add_co_u32 v74, vcc_lo, s12, v6
	v_add_co_ci_u32_e64 v75, null, s13, v7, vcc_lo
	v_add_co_u32 v76, vcc_lo, s14, v6
	v_add_nc_u32_e32 v5, s26, v0
	v_mov_b32_e32 v6, v2
	v_add_co_ci_u32_e64 v77, null, s15, v7, vcc_lo
	v_add_co_u32 v78, vcc_lo, s12, v3
	v_add_co_ci_u32_e64 v79, null, s13, v4, vcc_lo
	v_add_co_u32 v80, vcc_lo, s14, v3
	v_add3_u32 v26, v47, v26, v18
	v_add3_u32 v40, v47, v40, v18
	v_lshlrev_b64 v[47:48], 2, v[5:6]
	v_add_co_ci_u32_e64 v81, null, s15, v4, vcc_lo
.LBB147_53:                             ; =>This Inner Loop Header: Depth=1
	v_cmp_ge_i64_e64 s12, s[20:21], s[8:9]
	v_add_co_u32 v84, s13, v49, s20
	v_add_co_ci_u32_e64 v85, null, 0, s21, s13
                                        ; implicit-def: $vgpr83
	s_and_b32 vcc_lo, exec_lo, s12
	s_mov_b32 s12, -1
	s_cbranch_vccz .LBB147_75
; %bb.54:                               ;   in Loop: Header=BB147_53 Depth=1
	s_load_dword s12, s[0:1], 0xc
	v_mov_b32_e32 v86, 0
	s_waitcnt lgkmcnt(0)
	s_and_b32 s12, s12, 0xffff
	v_mad_u32_u24 v3, v1, s12, v0
	s_mov_b32 s12, exec_lo
	v_and_b32_e32 v3, 31, v3
	v_cmpx_gt_u32_e32 8, v3
	s_cbranch_execz .LBB147_58
; %bb.55:                               ;   in Loop: Header=BB147_53 Depth=1
	v_add_co_u32 v3, vcc_lo, v84, v3
	v_add_co_ci_u32_e64 v4, null, 0, v85, vcc_lo
	v_mov_b32_e32 v86, 0
	v_add_co_u32 v3, vcc_lo, 0xffffffc1, v3
	v_add_co_ci_u32_e64 v4, null, -1, v4, vcc_lo
	s_mov_b32 s13, exec_lo
	v_cmpx_gt_i64_e64 s[8:9], v[3:4]
	s_cbranch_execz .LBB147_57
; %bb.56:                               ;   in Loop: Header=BB147_53 Depth=1
	v_lshlrev_b64 v[3:4], 2, v[3:4]
	v_add_co_u32 v3, vcc_lo, s2, v3
	v_add_co_ci_u32_e64 v4, null, s3, v4, vcc_lo
	global_load_dword v86, v[3:4], off
.LBB147_57:                             ;   in Loop: Header=BB147_53 Depth=1
	s_or_b32 exec_lo, exec_lo, s13
.LBB147_58:                             ;   in Loop: Header=BB147_53 Depth=1
	s_or_b32 exec_lo, exec_lo, s12
	v_add_co_u32 v10, vcc_lo, 0xffffffc1, v84
	v_add_co_ci_u32_e64 v11, null, -1, v85, vcc_lo
	v_mov_b32_e32 v9, v2
	v_mov_b32_e32 v3, v2
	;; [unrolled: 1-line block ×7, first 2 shown]
	v_cmp_gt_i64_e32 vcc_lo, s[8:9], v[10:11]
	v_mov_b32_e32 v18, v9
	v_mov_b32_e32 v15, v6
	;; [unrolled: 1-line block ×16, first 2 shown]
	s_and_saveexec_b32 s12, vcc_lo
	s_cbranch_execz .LBB147_60
; %bb.59:                               ;   in Loop: Header=BB147_53 Depth=1
	v_add_co_u32 v3, vcc_lo, v50, v47
	v_add_co_ci_u32_e64 v4, null, v51, v48, vcc_lo
	v_add_co_u32 v5, vcc_lo, v52, v47
	v_add_co_ci_u32_e64 v6, null, v53, v48, vcc_lo
	global_load_dword v3, v[3:4], off
	global_load_dword v11, v[5:6], off
	v_mov_b32_e32 v4, v2
	v_mov_b32_e32 v5, v2
	;; [unrolled: 1-line block ×14, first 2 shown]
.LBB147_60:                             ;   in Loop: Header=BB147_53 Depth=1
	s_or_b32 exec_lo, exec_lo, s12
	v_add_co_u32 v87, vcc_lo, 0xffffffc2, v84
	v_add_co_ci_u32_e64 v88, null, -1, v85, vcc_lo
	s_mov_b32 s12, exec_lo
	v_cmpx_gt_i64_e64 s[8:9], v[87:88]
	s_cbranch_execz .LBB147_62
; %bb.61:                               ;   in Loop: Header=BB147_53 Depth=1
	v_add_co_u32 v87, vcc_lo, v78, v47
	v_add_co_ci_u32_e64 v88, null, v79, v48, vcc_lo
	v_add_co_u32 v89, vcc_lo, v80, v47
	v_add_co_ci_u32_e64 v90, null, v81, v48, vcc_lo
	global_load_dword v4, v[87:88], off
	global_load_dword v12, v[89:90], off
.LBB147_62:                             ;   in Loop: Header=BB147_53 Depth=1
	s_or_b32 exec_lo, exec_lo, s12
	v_add_co_u32 v87, vcc_lo, 0xffffffc3, v84
	v_add_co_ci_u32_e64 v88, null, -1, v85, vcc_lo
	s_mov_b32 s12, exec_lo
	v_cmpx_gt_i64_e64 s[8:9], v[87:88]
	s_cbranch_execz .LBB147_64
; %bb.63:                               ;   in Loop: Header=BB147_53 Depth=1
	v_add_co_u32 v87, vcc_lo, v74, v47
	v_add_co_ci_u32_e64 v88, null, v75, v48, vcc_lo
	v_add_co_u32 v89, vcc_lo, v76, v47
	v_add_co_ci_u32_e64 v90, null, v77, v48, vcc_lo
	global_load_dword v5, v[87:88], off
	global_load_dword v13, v[89:90], off
.LBB147_64:                             ;   in Loop: Header=BB147_53 Depth=1
	;; [unrolled: 14-line block ×7, first 2 shown]
	s_or_b32 exec_lo, exec_lo, s12
	s_waitcnt vmcnt(0)
	ds_bpermute_b32 v83, v2, v86
	ds_bpermute_b32 v87, v2, v86 offset:4
	ds_bpermute_b32 v88, v2, v86 offset:8
	v_mul_f32_e32 v3, v11, v3
	ds_bpermute_b32 v11, v2, v86 offset:12
	v_mul_f32_e32 v4, v12, v4
	ds_bpermute_b32 v12, v2, v86 offset:16
	s_mov_b32 s12, 0
	s_waitcnt lgkmcnt(4)
	v_fma_f32 v83, v3, v83, v82
	v_mul_f32_e32 v3, v13, v5
	ds_bpermute_b32 v5, v2, v86 offset:20
	s_waitcnt lgkmcnt(4)
	v_fmac_f32_e32 v83, v4, v87
	v_mul_f32_e32 v4, v14, v6
	ds_bpermute_b32 v6, v2, v86 offset:24
	s_waitcnt lgkmcnt(4)
	v_fmac_f32_e32 v83, v3, v88
	v_mul_f32_e32 v3, v15, v7
	v_mul_f32_e32 v7, v16, v8
	s_waitcnt lgkmcnt(3)
	v_fmac_f32_e32 v83, v4, v11
	ds_bpermute_b32 v4, v2, v86 offset:28
	s_waitcnt lgkmcnt(3)
	v_fmac_f32_e32 v83, v3, v12
	v_mul_f32_e32 v3, v17, v9
	s_waitcnt lgkmcnt(2)
	v_fmac_f32_e32 v83, v7, v5
	s_waitcnt lgkmcnt(1)
	v_fmac_f32_e32 v83, v3, v6
	v_mul_f32_e32 v3, v18, v10
	s_waitcnt lgkmcnt(0)
	v_fmac_f32_e32 v83, v3, v4
.LBB147_75:                             ;   in Loop: Header=BB147_53 Depth=1
	s_and_b32 vcc_lo, exec_lo, s12
	s_cbranch_vccz .LBB147_81
; %bb.76:                               ;   in Loop: Header=BB147_53 Depth=1
	s_load_dword s12, s[0:1], 0x0
	v_mov_b32_e32 v5, 0
	s_waitcnt lgkmcnt(0)
	s_cmp_lt_u32 s6, s12
	s_cselect_b32 s12, 12, 18
	s_add_u32 s12, s0, s12
	s_addc_u32 s13, s1, 0
	global_load_ushort v3, v2, s[12:13]
	s_mov_b32 s12, exec_lo
	s_waitcnt vmcnt(0)
	v_mad_u32_u24 v3, v1, v3, v0
	v_and_b32_e32 v3, 31, v3
	v_cmpx_gt_u32_e32 8, v3
	s_cbranch_execz .LBB147_80
; %bb.77:                               ;   in Loop: Header=BB147_53 Depth=1
	v_add_co_u32 v3, vcc_lo, v84, v3
	v_add_co_ci_u32_e64 v4, null, 0, v85, vcc_lo
	v_mov_b32_e32 v5, 0
	v_add_co_u32 v3, vcc_lo, 0xffffffc1, v3
	v_add_co_ci_u32_e64 v4, null, -1, v4, vcc_lo
	s_mov_b32 s13, exec_lo
	v_cmpx_gt_i64_e64 s[8:9], v[3:4]
	s_cbranch_execz .LBB147_79
; %bb.78:                               ;   in Loop: Header=BB147_53 Depth=1
	v_lshlrev_b64 v[3:4], 2, v[3:4]
	v_add_co_u32 v3, vcc_lo, s2, v3
	v_add_co_ci_u32_e64 v4, null, s3, v4, vcc_lo
	global_load_dword v5, v[3:4], off
.LBB147_79:                             ;   in Loop: Header=BB147_53 Depth=1
	s_or_b32 exec_lo, exec_lo, s13
.LBB147_80:                             ;   in Loop: Header=BB147_53 Depth=1
	s_or_b32 exec_lo, exec_lo, s12
	v_add_co_u32 v3, vcc_lo, v50, v47
	v_add_co_ci_u32_e64 v4, null, v51, v48, vcc_lo
	v_add_co_u32 v6, vcc_lo, v52, v47
	v_add_co_ci_u32_e64 v7, null, v53, v48, vcc_lo
	;; [unrolled: 2-line block ×4, first 2 shown]
	global_load_dword v14, v[3:4], off
	global_load_dword v15, v[6:7], off
	;; [unrolled: 1-line block ×4, first 2 shown]
	v_add_co_u32 v3, vcc_lo, v21, v47
	v_add_co_ci_u32_e64 v4, null, v22, v48, vcc_lo
	v_add_co_u32 v6, vcc_lo, v35, v47
	v_add_co_ci_u32_e64 v7, null, v36, v48, vcc_lo
	;; [unrolled: 2-line block ×5, first 2 shown]
	global_load_dword v18, v[3:4], off
	global_load_dword v83, v[6:7], off
	;; [unrolled: 1-line block ×5, first 2 shown]
	v_add_co_u32 v3, vcc_lo, v39, v47
	v_add_co_ci_u32_e64 v4, null, v40, v48, vcc_lo
	v_add_co_u32 v6, vcc_lo, v27, v47
	v_add_co_ci_u32_e64 v7, null, v28, v48, vcc_lo
	;; [unrolled: 2-line block ×5, first 2 shown]
	global_load_dword v87, v[3:4], off
	global_load_dword v88, v[6:7], off
	;; [unrolled: 1-line block ×5, first 2 shown]
	v_add_co_u32 v3, vcc_lo, v31, v47
	v_add_co_ci_u32_e64 v4, null, v32, v48, vcc_lo
	v_add_co_u32 v6, vcc_lo, v45, v47
	v_add_co_ci_u32_e64 v7, null, v46, v48, vcc_lo
	global_load_dword v3, v[3:4], off
	global_load_dword v4, v[6:7], off
	s_waitcnt vmcnt(16)
	ds_bpermute_b32 v6, v2, v5
	ds_bpermute_b32 v7, v2, v5 offset:4
	ds_bpermute_b32 v11, v2, v5 offset:8
	;; [unrolled: 1-line block ×3, first 2 shown]
	s_waitcnt vmcnt(14)
	v_mul_f32_e32 v13, v14, v15
	ds_bpermute_b32 v14, v2, v5 offset:16
	s_waitcnt vmcnt(12)
	v_mul_f32_e32 v15, v16, v17
	s_waitcnt lgkmcnt(4)
	v_fmac_f32_e32 v82, v13, v6
	ds_bpermute_b32 v6, v2, v5 offset:20
	s_waitcnt lgkmcnt(4)
	v_fmac_f32_e32 v82, v15, v7
	ds_bpermute_b32 v7, v2, v5 offset:24
	ds_bpermute_b32 v5, v2, v5 offset:28
	s_waitcnt vmcnt(10)
	v_mul_f32_e32 v13, v18, v83
	s_waitcnt vmcnt(8)
	v_mul_f32_e32 v15, v84, v85
	s_waitcnt lgkmcnt(5)
	v_fmac_f32_e32 v82, v13, v11
	s_waitcnt lgkmcnt(4)
	v_fmac_f32_e32 v82, v15, v12
	s_waitcnt vmcnt(6)
	v_mul_f32_e32 v11, v86, v87
	s_waitcnt vmcnt(4)
	v_mul_f32_e32 v8, v88, v8
	;; [unrolled: 2-line block ×3, first 2 shown]
	s_waitcnt lgkmcnt(3)
	v_fmac_f32_e32 v82, v11, v14
	s_waitcnt lgkmcnt(2)
	v_fmac_f32_e32 v82, v8, v6
	s_waitcnt lgkmcnt(1)
	v_fmac_f32_e32 v82, v9, v7
	s_waitcnt vmcnt(0)
	v_mul_f32_e32 v3, v3, v4
	s_waitcnt lgkmcnt(0)
	v_fmac_f32_e32 v82, v3, v5
	v_mov_b32_e32 v83, v82
.LBB147_81:                             ;   in Loop: Header=BB147_53 Depth=1
	v_add_co_u32 v50, vcc_lo, v50, s18
	v_add_co_ci_u32_e64 v51, null, s19, v51, vcc_lo
	v_add_co_u32 v52, vcc_lo, v52, s18
	v_add_co_ci_u32_e64 v53, null, s19, v53, vcc_lo
	;; [unrolled: 2-line block ×26, first 2 shown]
	v_add_co_u32 v74, vcc_lo, v74, s18
	s_add_u32 s16, s16, s7
	v_add_co_ci_u32_e64 v75, null, s19, v75, vcc_lo
	v_add_co_u32 v76, vcc_lo, v76, s18
	s_addc_u32 s17, s17, 0
	v_add_co_ci_u32_e64 v77, null, s19, v77, vcc_lo
	v_add_co_u32 v78, vcc_lo, v78, s18
	v_cmp_ge_i64_e64 s12, s[16:17], s[8:9]
	v_add_co_ci_u32_e64 v79, null, s19, v79, vcc_lo
	v_add_co_u32 v80, vcc_lo, v80, s18
	v_add_co_ci_u32_e64 v81, null, s19, v81, vcc_lo
	s_add_u32 s20, s20, s7
	s_addc_u32 s21, s21, 0
	s_and_b32 vcc_lo, exec_lo, s12
	s_cbranch_vccnz .LBB147_83
; %bb.82:                               ;   in Loop: Header=BB147_53 Depth=1
	v_mov_b32_e32 v82, v83
	s_branch .LBB147_53
.LBB147_83:
	v_mad_u32_u24 v2, 0x41, v1, v0
	s_mov_b32 s0, exec_lo
	v_lshl_add_u32 v3, v2, 2, 0
	v_sub_nc_u32_e32 v4, v2, v1
	v_mov_b32_e32 v1, 0
	ds_write_b32 v3, v83
	ds_write_b32 v3, v1 offset:2080
	s_waitcnt lgkmcnt(0)
	s_barrier
	buffer_gl0_inv
	v_cmpx_gt_u32_e32 0x800, v4
	s_cbranch_execz .LBB147_103
; %bb.84:
	s_load_dwordx2 s[2:3], s[4:5], 0x30
	v_and_b32_e32 v1, 31, v0
	v_lshrrev_b32_e32 v3, 5, v4
	v_cmp_gt_u32_e32 vcc_lo, 8, v1
	v_mul_u32_u24_e32 v5, 0x41, v1
                                        ; implicit-def: $vgpr1
	s_and_saveexec_b32 s0, vcc_lo
	s_cbranch_execz .LBB147_86
; %bb.85:
	v_lshlrev_b32_e32 v1, 2, v3
	v_lshlrev_b32_e32 v2, 2, v5
	v_add3_u32 v1, 0, v1, v2
	ds_read_b32 v1, v1
.LBB147_86:
	s_or_b32 exec_lo, exec_lo, s0
	v_mbcnt_lo_u32_b32 v2, -1, 0
	s_mov_b32 s7, 0
	s_lshl_b64 s[4:5], s[6:7], 6
	s_waitcnt lgkmcnt(0)
	s_cmp_eq_u64 s[2:3], 0
	v_xor_b32_e32 v6, 4, v2
	v_xor_b32_e32 v7, 2, v2
	;; [unrolled: 1-line block ×3, first 2 shown]
	s_cselect_b32 s6, -1, 0
	v_cmp_gt_i32_e64 s0, 32, v6
	v_cndmask_b32_e64 v6, v2, v6, s0
	v_cmp_gt_i32_e64 s0, 32, v7
	v_lshlrev_b32_e32 v6, 2, v6
	v_cndmask_b32_e64 v7, v2, v7, s0
	v_cmp_gt_i32_e64 s0, 32, v9
	ds_bpermute_b32 v8, v6, v1
	v_lshlrev_b32_e32 v7, 2, v7
	v_cndmask_b32_e64 v2, v2, v9, s0
	v_cmp_ne_u32_e64 s0, 0, v0
	s_waitcnt lgkmcnt(0)
	v_add_f32_e32 v1, v1, v8
	ds_bpermute_b32 v8, v7, v1
	s_waitcnt lgkmcnt(0)
	v_add_f32_e32 v9, v1, v8
	v_lshlrev_b32_e32 v8, 2, v2
	v_or_b32_e32 v1, s4, v3
	v_mov_b32_e32 v2, s5
	ds_bpermute_b32 v10, v8, v9
	v_cmp_le_i64_e64 s1, s[10:11], v[1:2]
	s_or_b32 s1, s0, s1
	s_nor_b32 s1, s6, s1
	s_waitcnt lgkmcnt(0)
	v_add_f32_e32 v0, v9, v10
	s_and_saveexec_b32 s7, s1
	s_cbranch_execz .LBB147_88
; %bb.87:
	v_lshlrev_b64 v[1:2], 2, v[1:2]
	v_add_co_u32 v1, s1, s2, v1
	v_add_co_ci_u32_e64 v2, null, s3, v2, s1
	global_store_dword v[1:2], v0, off
.LBB147_88:
	s_or_b32 exec_lo, exec_lo, s7
	v_cmp_gt_u32_e64 s1, 0x600, v4
	s_and_b32 exec_lo, exec_lo, s1
	s_cbranch_execz .LBB147_103
; %bb.89:
	s_and_saveexec_b32 s1, vcc_lo
	s_cbranch_execz .LBB147_91
; %bb.90:
	v_lshlrev_b32_e32 v0, 2, v3
	v_lshlrev_b32_e32 v1, 2, v5
	v_add3_u32 v0, 0, v0, v1
	ds_read_b32 v0, v0 offset:64
.LBB147_91:
	s_or_b32 exec_lo, exec_lo, s1
	s_waitcnt lgkmcnt(0)
	ds_bpermute_b32 v1, v6, v0
	s_waitcnt lgkmcnt(0)
	v_add_f32_e32 v0, v0, v1
	ds_bpermute_b32 v1, v7, v0
	s_waitcnt lgkmcnt(0)
	v_add_f32_e32 v2, v0, v1
	v_add_nc_u32_e32 v0, 16, v3
	ds_bpermute_b32 v9, v8, v2
	v_add_co_u32 v0, s1, s4, v0
	v_add_co_ci_u32_e64 v1, null, s5, 0, s1
	v_cmp_le_i64_e64 s1, s[10:11], v[0:1]
	s_or_b32 s1, s0, s1
	s_nor_b32 s1, s6, s1
	s_waitcnt lgkmcnt(0)
	v_add_f32_e32 v0, v2, v9
	s_and_saveexec_b32 s7, s1
	s_cbranch_execz .LBB147_93
; %bb.92:
	v_add_co_u32 v1, s1, s4, v3
	v_add_co_ci_u32_e64 v2, null, s5, 0, s1
	v_lshlrev_b64 v[1:2], 2, v[1:2]
	v_add_co_u32 v1, s1, s2, v1
	v_add_co_ci_u32_e64 v2, null, s3, v2, s1
	global_store_dword v[1:2], v0, off offset:64
.LBB147_93:
	s_or_b32 exec_lo, exec_lo, s7
	v_cmp_gt_u32_e64 s1, 0x400, v4
	s_and_b32 exec_lo, exec_lo, s1
	s_cbranch_execz .LBB147_103
; %bb.94:
	s_and_saveexec_b32 s1, vcc_lo
	s_cbranch_execz .LBB147_96
; %bb.95:
	v_lshlrev_b32_e32 v0, 2, v3
	v_lshlrev_b32_e32 v1, 2, v5
	v_add3_u32 v0, 0, v0, v1
	ds_read_b32 v0, v0 offset:128
.LBB147_96:
	s_or_b32 exec_lo, exec_lo, s1
	s_waitcnt lgkmcnt(0)
	ds_bpermute_b32 v1, v6, v0
	s_waitcnt lgkmcnt(0)
	v_add_f32_e32 v0, v0, v1
	ds_bpermute_b32 v1, v7, v0
	s_waitcnt lgkmcnt(0)
	v_add_f32_e32 v2, v0, v1
	v_add_nc_u32_e32 v0, 32, v3
	v_mov_b32_e32 v1, s5
	ds_bpermute_b32 v9, v8, v2
	v_or_b32_e32 v0, s4, v0
	v_cmp_le_i64_e64 s1, s[10:11], v[0:1]
	s_or_b32 s1, s0, s1
	s_nor_b32 s1, s6, s1
	s_waitcnt lgkmcnt(0)
	v_add_f32_e32 v0, v2, v9
	s_and_saveexec_b32 s7, s1
	s_cbranch_execz .LBB147_98
; %bb.97:
	v_add_co_u32 v1, s1, s4, v3
	v_add_co_ci_u32_e64 v2, null, s5, 0, s1
	v_lshlrev_b64 v[1:2], 2, v[1:2]
	v_add_co_u32 v1, s1, s2, v1
	v_add_co_ci_u32_e64 v2, null, s3, v2, s1
	global_store_dword v[1:2], v0, off offset:128
.LBB147_98:
	s_or_b32 exec_lo, exec_lo, s7
	v_cmp_gt_u32_e64 s1, 0x200, v4
	s_and_b32 exec_lo, exec_lo, s1
	s_cbranch_execz .LBB147_103
; %bb.99:
	s_and_saveexec_b32 s1, vcc_lo
	s_cbranch_execz .LBB147_101
; %bb.100:
	v_lshlrev_b32_e32 v0, 2, v3
	v_lshlrev_b32_e32 v1, 2, v5
	v_add3_u32 v0, 0, v0, v1
	ds_read_b32 v0, v0 offset:192
.LBB147_101:
	s_or_b32 exec_lo, exec_lo, s1
	s_waitcnt lgkmcnt(0)
	ds_bpermute_b32 v1, v6, v0
	v_add_nc_u32_e32 v2, 48, v3
	v_mov_b32_e32 v5, s5
	v_or_b32_e32 v4, s4, v2
	v_cmp_le_i64_e32 vcc_lo, s[10:11], v[4:5]
	s_or_b32 s0, s0, vcc_lo
	s_nor_b32 s0, s6, s0
	s_waitcnt lgkmcnt(0)
	v_add_f32_e32 v0, v0, v1
	ds_bpermute_b32 v1, v7, v0
	s_waitcnt lgkmcnt(0)
	v_add_f32_e32 v0, v0, v1
	ds_bpermute_b32 v1, v8, v0
	s_and_saveexec_b32 s1, s0
	s_xor_b32 s1, exec_lo, s1
	s_cbranch_execz .LBB147_103
; %bb.102:
	v_add_co_u32 v2, s0, s4, v3
	v_add_co_ci_u32_e64 v3, null, s5, 0, s0
	s_waitcnt lgkmcnt(0)
	v_add_f32_e32 v4, v0, v1
	v_lshlrev_b64 v[2:3], 2, v[2:3]
	v_add_co_u32 v0, vcc_lo, s2, v2
	v_add_co_ci_u32_e64 v1, null, s3, v3, vcc_lo
	global_store_dword v[0:1], v4, off offset:192
.LBB147_103:
	s_endpgm
	.section	.rodata,"a",@progbits
	.p2align	6, 0x0
	.amdhsa_kernel _ZN2at6native12_GLOBAL__N_135GammaBetaBackwardCUDAKernelTemplateIffLj64ELj8ELj64ELb0ELb0ELb1EEEvllPKT_S5_PKT0_S8_PS3_S9_
		.amdhsa_group_segment_fixed_size 0
		.amdhsa_private_segment_fixed_size 0
		.amdhsa_kernarg_size 320
		.amdhsa_user_sgpr_count 6
		.amdhsa_user_sgpr_private_segment_buffer 1
		.amdhsa_user_sgpr_dispatch_ptr 0
		.amdhsa_user_sgpr_queue_ptr 0
		.amdhsa_user_sgpr_kernarg_segment_ptr 1
		.amdhsa_user_sgpr_dispatch_id 0
		.amdhsa_user_sgpr_flat_scratch_init 0
		.amdhsa_user_sgpr_private_segment_size 0
		.amdhsa_wavefront_size32 1
		.amdhsa_uses_dynamic_stack 0
		.amdhsa_system_sgpr_private_segment_wavefront_offset 0
		.amdhsa_system_sgpr_workgroup_id_x 1
		.amdhsa_system_sgpr_workgroup_id_y 1
		.amdhsa_system_sgpr_workgroup_id_z 0
		.amdhsa_system_sgpr_workgroup_info 0
		.amdhsa_system_vgpr_workitem_id 1
		.amdhsa_next_free_vgpr 91
		.amdhsa_next_free_sgpr 30
		.amdhsa_reserve_vcc 1
		.amdhsa_reserve_flat_scratch 0
		.amdhsa_float_round_mode_32 0
		.amdhsa_float_round_mode_16_64 0
		.amdhsa_float_denorm_mode_32 3
		.amdhsa_float_denorm_mode_16_64 3
		.amdhsa_dx10_clamp 1
		.amdhsa_ieee_mode 1
		.amdhsa_fp16_overflow 0
		.amdhsa_workgroup_processor_mode 1
		.amdhsa_memory_ordered 1
		.amdhsa_forward_progress 1
		.amdhsa_shared_vgpr_count 0
		.amdhsa_exception_fp_ieee_invalid_op 0
		.amdhsa_exception_fp_denorm_src 0
		.amdhsa_exception_fp_ieee_div_zero 0
		.amdhsa_exception_fp_ieee_overflow 0
		.amdhsa_exception_fp_ieee_underflow 0
		.amdhsa_exception_fp_ieee_inexact 0
		.amdhsa_exception_int_div_zero 0
	.end_amdhsa_kernel
	.section	.text._ZN2at6native12_GLOBAL__N_135GammaBetaBackwardCUDAKernelTemplateIffLj64ELj8ELj64ELb0ELb0ELb1EEEvllPKT_S5_PKT0_S8_PS3_S9_,"axG",@progbits,_ZN2at6native12_GLOBAL__N_135GammaBetaBackwardCUDAKernelTemplateIffLj64ELj8ELj64ELb0ELb0ELb1EEEvllPKT_S5_PKT0_S8_PS3_S9_,comdat
.Lfunc_end147:
	.size	_ZN2at6native12_GLOBAL__N_135GammaBetaBackwardCUDAKernelTemplateIffLj64ELj8ELj64ELb0ELb0ELb1EEEvllPKT_S5_PKT0_S8_PS3_S9_, .Lfunc_end147-_ZN2at6native12_GLOBAL__N_135GammaBetaBackwardCUDAKernelTemplateIffLj64ELj8ELj64ELb0ELb0ELb1EEEvllPKT_S5_PKT0_S8_PS3_S9_
                                        ; -- End function
	.set _ZN2at6native12_GLOBAL__N_135GammaBetaBackwardCUDAKernelTemplateIffLj64ELj8ELj64ELb0ELb0ELb1EEEvllPKT_S5_PKT0_S8_PS3_S9_.num_vgpr, 91
	.set _ZN2at6native12_GLOBAL__N_135GammaBetaBackwardCUDAKernelTemplateIffLj64ELj8ELj64ELb0ELb0ELb1EEEvllPKT_S5_PKT0_S8_PS3_S9_.num_agpr, 0
	.set _ZN2at6native12_GLOBAL__N_135GammaBetaBackwardCUDAKernelTemplateIffLj64ELj8ELj64ELb0ELb0ELb1EEEvllPKT_S5_PKT0_S8_PS3_S9_.numbered_sgpr, 30
	.set _ZN2at6native12_GLOBAL__N_135GammaBetaBackwardCUDAKernelTemplateIffLj64ELj8ELj64ELb0ELb0ELb1EEEvllPKT_S5_PKT0_S8_PS3_S9_.num_named_barrier, 0
	.set _ZN2at6native12_GLOBAL__N_135GammaBetaBackwardCUDAKernelTemplateIffLj64ELj8ELj64ELb0ELb0ELb1EEEvllPKT_S5_PKT0_S8_PS3_S9_.private_seg_size, 0
	.set _ZN2at6native12_GLOBAL__N_135GammaBetaBackwardCUDAKernelTemplateIffLj64ELj8ELj64ELb0ELb0ELb1EEEvllPKT_S5_PKT0_S8_PS3_S9_.uses_vcc, 1
	.set _ZN2at6native12_GLOBAL__N_135GammaBetaBackwardCUDAKernelTemplateIffLj64ELj8ELj64ELb0ELb0ELb1EEEvllPKT_S5_PKT0_S8_PS3_S9_.uses_flat_scratch, 0
	.set _ZN2at6native12_GLOBAL__N_135GammaBetaBackwardCUDAKernelTemplateIffLj64ELj8ELj64ELb0ELb0ELb1EEEvllPKT_S5_PKT0_S8_PS3_S9_.has_dyn_sized_stack, 0
	.set _ZN2at6native12_GLOBAL__N_135GammaBetaBackwardCUDAKernelTemplateIffLj64ELj8ELj64ELb0ELb0ELb1EEEvllPKT_S5_PKT0_S8_PS3_S9_.has_recursion, 0
	.set _ZN2at6native12_GLOBAL__N_135GammaBetaBackwardCUDAKernelTemplateIffLj64ELj8ELj64ELb0ELb0ELb1EEEvllPKT_S5_PKT0_S8_PS3_S9_.has_indirect_call, 0
	.section	.AMDGPU.csdata,"",@progbits
; Kernel info:
; codeLenInByte = 8080
; TotalNumSgprs: 32
; NumVgprs: 91
; ScratchSize: 0
; MemoryBound: 0
; FloatMode: 240
; IeeeMode: 1
; LDSByteSize: 0 bytes/workgroup (compile time only)
; SGPRBlocks: 0
; VGPRBlocks: 11
; NumSGPRsForWavesPerEU: 32
; NumVGPRsForWavesPerEU: 91
; Occupancy: 10
; WaveLimiterHint : 0
; COMPUTE_PGM_RSRC2:SCRATCH_EN: 0
; COMPUTE_PGM_RSRC2:USER_SGPR: 6
; COMPUTE_PGM_RSRC2:TRAP_HANDLER: 0
; COMPUTE_PGM_RSRC2:TGID_X_EN: 1
; COMPUTE_PGM_RSRC2:TGID_Y_EN: 1
; COMPUTE_PGM_RSRC2:TGID_Z_EN: 0
; COMPUTE_PGM_RSRC2:TIDIG_COMP_CNT: 1
	.section	.text._ZN2at6native12_GLOBAL__N_135GammaBetaBackwardCUDAKernelTemplateIffLj64ELj16ELj128ELb0ELb1ELb1EEEvllPKT_S5_PKT0_S8_PS3_S9_,"axG",@progbits,_ZN2at6native12_GLOBAL__N_135GammaBetaBackwardCUDAKernelTemplateIffLj64ELj16ELj128ELb0ELb1ELb1EEEvllPKT_S5_PKT0_S8_PS3_S9_,comdat
	.globl	_ZN2at6native12_GLOBAL__N_135GammaBetaBackwardCUDAKernelTemplateIffLj64ELj16ELj128ELb0ELb1ELb1EEEvllPKT_S5_PKT0_S8_PS3_S9_ ; -- Begin function _ZN2at6native12_GLOBAL__N_135GammaBetaBackwardCUDAKernelTemplateIffLj64ELj16ELj128ELb0ELb1ELb1EEEvllPKT_S5_PKT0_S8_PS3_S9_
	.p2align	8
	.type	_ZN2at6native12_GLOBAL__N_135GammaBetaBackwardCUDAKernelTemplateIffLj64ELj16ELj128ELb0ELb1ELb1EEEvllPKT_S5_PKT0_S8_PS3_S9_,@function
_ZN2at6native12_GLOBAL__N_135GammaBetaBackwardCUDAKernelTemplateIffLj64ELj16ELj128ELb0ELb1ELb1EEEvllPKT_S5_PKT0_S8_PS3_S9_: ; @_ZN2at6native12_GLOBAL__N_135GammaBetaBackwardCUDAKernelTemplateIffLj64ELj16ELj128ELb0ELb1ELb1EEEvllPKT_S5_PKT0_S8_PS3_S9_
; %bb.0:
	s_load_dwordx4 s[8:11], s[4:5], 0x0
	s_lshl_b32 s16, s7, 7
	s_mov_b32 s17, 0
	s_waitcnt lgkmcnt(0)
	v_cmp_gt_i64_e64 s0, s[8:9], s[16:17]
	s_and_b32 vcc_lo, exec_lo, s0
	s_cbranch_vccnz .LBB148_2
; %bb.1:
	s_mov_b32 s0, s17
	s_load_dwordx2 s[2:3], s[4:5], 0x30
	v_mov_b32_e32 v2, 0
	s_andn2_b32 vcc_lo, exec_lo, s0
	s_cbranch_vccz .LBB148_3
	s_branch .LBB148_9
.LBB148_2:
	s_load_dwordx2 s[2:3], s[4:5], 0x30
	v_mov_b32_e32 v2, 0
.LBB148_3:
	s_clause 0x3
	s_load_dword s0, s[4:5], 0x4c
	s_load_dword s1, s[4:5], 0x44
	s_load_dwordx4 s[12:15], s[4:5], 0x10
	s_load_dwordx2 s[18:19], s[4:5], 0x28
	v_lshlrev_b32_e32 v4, 3, v1
	v_mov_b32_e32 v3, 0
	v_lshl_add_u32 v2, s6, 6, v0
	v_mov_b32_e32 v8, 8
	v_mov_b32_e32 v9, 4
	v_add_co_u32 v4, s4, v4, s16
	v_add_co_ci_u32_e64 v5, null, 0, 0, s4
	v_lshlrev_b64 v[15:16], 2, v[2:3]
	v_mul_lo_u32 v17, s11, v4
	v_mov_b32_e32 v10, 12
	v_mul_lo_u32 v18, s10, v5
	v_mov_b32_e32 v11, 16
	v_mov_b32_e32 v12, 20
	;; [unrolled: 1-line block ×3, first 2 shown]
	s_waitcnt lgkmcnt(0)
	s_and_b32 s0, s0, 0xffff
	s_lshl_b32 s4, s1, 7
	v_mad_u32_u24 v6, v1, s0, v0
	s_mul_i32 s1, s11, s4
	s_mul_hi_u32 s7, s10, s4
	v_mov_b32_e32 v14, 28
	v_mov_b32_e32 v2, 0
	v_and_b32_e32 v21, 31, v6
	v_mad_u64_u32 v[6:7], null, s10, v4, 0
	s_mov_b32 s5, 0
	s_add_i32 s21, s7, s1
	v_add_co_u32 v4, vcc_lo, v4, v21
	v_add_co_ci_u32_e64 v5, null, 0, v5, vcc_lo
	v_add3_u32 v7, v7, v18, v17
	v_cmp_gt_u32_e64 s0, 8, v21
	s_mul_i32 s20, s10, s4
	v_lshlrev_b64 v[17:18], 2, v[4:5]
	s_lshl_b64 s[20:21], s[20:21], 2
	v_lshlrev_b64 v[19:20], 2, v[6:7]
	s_lshl_b64 s[10:11], s[10:11], 2
	v_add_co_u32 v6, vcc_lo, s18, v17
	v_add_co_ci_u32_e64 v7, null, s19, v18, vcc_lo
	v_add_co_u32 v15, vcc_lo, v19, v15
	v_add_co_ci_u32_e64 v16, null, v20, v16, vcc_lo
	s_lshl_b64 s[18:19], s[4:5], 2
	s_branch .LBB148_6
.LBB148_4:                              ;   in Loop: Header=BB148_6 Depth=1
	s_or_b32 exec_lo, exec_lo, s5
.LBB148_5:                              ;   in Loop: Header=BB148_6 Depth=1
	s_or_b32 exec_lo, exec_lo, s1
	v_add_co_u32 v18, vcc_lo, s12, v15
	v_add_co_ci_u32_e64 v19, null, s13, v16, vcc_lo
	v_add_co_u32 v20, vcc_lo, s14, v15
	v_add_co_ci_u32_e64 v21, null, s15, v16, vcc_lo
	v_add_co_u32 v22, vcc_lo, v18, s10
	v_add_co_ci_u32_e64 v23, null, s11, v19, vcc_lo
	v_add_co_u32 v24, vcc_lo, v20, s10
	v_add_co_ci_u32_e64 v25, null, s11, v21, vcc_lo
	v_add_co_u32 v26, vcc_lo, v22, s10
	v_add_co_ci_u32_e64 v27, null, s11, v23, vcc_lo
	global_load_dword v28, v[18:19], off
	global_load_dword v29, v[20:21], off
	;; [unrolled: 1-line block ×5, first 2 shown]
	v_add_co_u32 v18, vcc_lo, v24, s10
	v_add_co_ci_u32_e64 v19, null, s11, v25, vcc_lo
	v_add_co_u32 v20, vcc_lo, v26, s10
	v_add_co_ci_u32_e64 v21, null, s11, v27, vcc_lo
	;; [unrolled: 2-line block ×5, first 2 shown]
	global_load_dword v33, v[18:19], off
	global_load_dword v34, v[20:21], off
	;; [unrolled: 1-line block ×5, first 2 shown]
	v_add_co_u32 v18, vcc_lo, v24, s10
	v_add_co_ci_u32_e64 v19, null, s11, v25, vcc_lo
	v_add_co_u32 v20, vcc_lo, v26, s10
	v_add_co_ci_u32_e64 v21, null, s11, v27, vcc_lo
	;; [unrolled: 2-line block ×4, first 2 shown]
	global_load_dword v26, v[18:19], off
	global_load_dword v27, v[20:21], off
	;; [unrolled: 1-line block ×4, first 2 shown]
	v_add_co_u32 v18, vcc_lo, v22, s10
	v_add_co_ci_u32_e64 v19, null, s11, v23, vcc_lo
	v_add_co_u32 v20, vcc_lo, v24, s10
	v_add_co_ci_u32_e64 v21, null, s11, v25, vcc_lo
	global_load_dword v18, v[18:19], off
	global_load_dword v19, v[20:21], off
	s_waitcnt vmcnt(16)
	ds_bpermute_b32 v20, v3, v17
	ds_bpermute_b32 v21, v9, v17
	;; [unrolled: 1-line block ×4, first 2 shown]
	s_add_u32 s16, s16, s4
	v_add_co_u32 v6, vcc_lo, v6, s18
	s_addc_u32 s17, s17, 0
	v_add_co_ci_u32_e64 v7, null, s19, v7, vcc_lo
	v_add_co_u32 v4, vcc_lo, v4, s4
	v_cmp_lt_i64_e64 s1, s[16:17], s[8:9]
	v_add_co_ci_u32_e64 v5, null, 0, v5, vcc_lo
	v_add_co_u32 v15, vcc_lo, v15, s20
	v_add_co_ci_u32_e64 v16, null, s21, v16, vcc_lo
	s_and_b32 vcc_lo, exec_lo, s1
	s_waitcnt vmcnt(14)
	v_mul_f32_e32 v23, v28, v29
	s_waitcnt lgkmcnt(3)
	v_fmac_f32_e32 v2, v23, v20
	s_waitcnt vmcnt(12)
	v_mul_f32_e32 v20, v30, v31
	ds_bpermute_b32 v23, v11, v17
	s_waitcnt lgkmcnt(3)
	v_fmac_f32_e32 v2, v20, v21
	ds_bpermute_b32 v21, v12, v17
	s_waitcnt vmcnt(10)
	v_mul_f32_e32 v20, v32, v33
	s_waitcnt lgkmcnt(3)
	v_fmac_f32_e32 v2, v20, v22
	s_waitcnt vmcnt(8)
	v_mul_f32_e32 v20, v34, v35
	ds_bpermute_b32 v22, v13, v17
	ds_bpermute_b32 v17, v14, v17
	s_waitcnt lgkmcnt(4)
	v_fmac_f32_e32 v2, v20, v24
	s_waitcnt vmcnt(6)
	v_mul_f32_e32 v20, v36, v37
	s_waitcnt lgkmcnt(3)
	v_fmac_f32_e32 v2, v20, v23
	s_waitcnt vmcnt(4)
	v_mul_f32_e32 v20, v26, v27
	;; [unrolled: 4-line block ×4, first 2 shown]
	s_waitcnt lgkmcnt(0)
	v_fmac_f32_e32 v2, v18, v17
	s_cbranch_vccz .LBB148_9
.LBB148_6:                              ; =>This Inner Loop Header: Depth=1
	v_mov_b32_e32 v17, 0
	s_and_saveexec_b32 s1, s0
	s_cbranch_execz .LBB148_5
; %bb.7:                                ;   in Loop: Header=BB148_6 Depth=1
	v_mov_b32_e32 v17, 0
	s_mov_b32 s5, exec_lo
	v_cmpx_gt_i64_e64 s[8:9], v[4:5]
	s_cbranch_execz .LBB148_4
; %bb.8:                                ;   in Loop: Header=BB148_6 Depth=1
	global_load_dword v17, v[6:7], off
	s_branch .LBB148_4
.LBB148_9:
	v_mad_u32_u24 v3, 0x41, v1, v0
	s_mov_b32 s0, exec_lo
	v_lshl_add_u32 v4, v3, 2, 0
	v_sub_nc_u32_e32 v3, v3, v1
	v_mov_b32_e32 v1, 0
	ds_write_b32 v4, v2
	ds_write_b32 v4, v1 offset:4160
	s_waitcnt lgkmcnt(0)
	s_barrier
	buffer_gl0_inv
	v_cmpx_gt_u32_e32 0x800, v3
	s_cbranch_execz .LBB148_19
; %bb.10:
	v_and_b32_e32 v1, 31, v0
	v_lshrrev_b32_e32 v4, 5, v3
                                        ; implicit-def: $vgpr6
	v_cmp_gt_u32_e32 vcc_lo, 16, v1
	v_mul_u32_u24_e32 v2, 0x41, v1
	v_lshlrev_b32_e32 v1, 2, v4
	s_and_saveexec_b32 s0, vcc_lo
; %bb.11:
	v_lshlrev_b32_e32 v4, 2, v2
	v_add3_u32 v4, 0, v1, v4
	ds_read_b32 v6, v4
; %bb.12:
	s_or_b32 exec_lo, exec_lo, s0
	v_mbcnt_lo_u32_b32 v7, -1, 0
	s_cmp_lg_u64 s[2:3], 0
	s_mov_b32 s7, 0
	s_cselect_b32 s1, -1, 0
	s_lshl_b64 s[4:5], s[6:7], 8
	v_xor_b32_e32 v4, 8, v7
	v_xor_b32_e32 v5, 4, v7
	;; [unrolled: 1-line block ×3, first 2 shown]
	v_cmp_gt_i32_e64 s0, 32, v4
	v_cndmask_b32_e64 v4, v7, v4, s0
	v_cmp_gt_i32_e64 s0, 32, v5
	v_lshlrev_b32_e32 v4, 2, v4
	v_cndmask_b32_e64 v5, v7, v5, s0
	s_waitcnt lgkmcnt(0)
	ds_bpermute_b32 v8, v4, v6
	v_lshlrev_b32_e32 v5, 2, v5
	s_waitcnt lgkmcnt(0)
	v_add_f32_e32 v8, v6, v8
	v_xor_b32_e32 v6, 2, v7
	ds_bpermute_b32 v9, v5, v8
	v_cmp_gt_i32_e64 s0, 32, v6
	v_cndmask_b32_e64 v6, v7, v6, s0
	v_cmp_gt_i32_e64 s0, 32, v10
	v_lshlrev_b32_e32 v6, 2, v6
	v_cndmask_b32_e64 v7, v7, v10, s0
	v_cmp_eq_u32_e64 s0, 0, v0
	v_lshlrev_b32_e32 v7, 2, v7
	s_and_b32 s1, s0, s1
	s_add_u32 s2, s2, s4
	s_waitcnt lgkmcnt(0)
	v_add_f32_e32 v8, v8, v9
	s_addc_u32 s3, s3, s5
	ds_bpermute_b32 v9, v6, v8
	s_waitcnt lgkmcnt(0)
	v_add_f32_e32 v8, v8, v9
	ds_bpermute_b32 v9, v7, v8
	s_waitcnt lgkmcnt(0)
	v_add_f32_e32 v0, v8, v9
	s_and_saveexec_b32 s0, s1
	s_cbranch_execz .LBB148_14
; %bb.13:
	global_store_dword v1, v0, s[2:3]
.LBB148_14:
	s_or_b32 exec_lo, exec_lo, s0
	v_cmp_gt_u32_e64 s0, 0x400, v3
	s_and_b32 exec_lo, exec_lo, s0
	s_cbranch_execz .LBB148_19
; %bb.15:
	s_and_saveexec_b32 s0, vcc_lo
; %bb.16:
	v_lshlrev_b32_e32 v0, 2, v2
	v_add3_u32 v0, 0, v1, v0
	ds_read_b32 v0, v0 offset:128
; %bb.17:
	s_or_b32 exec_lo, exec_lo, s0
	s_waitcnt lgkmcnt(0)
	ds_bpermute_b32 v2, v4, v0
	s_waitcnt lgkmcnt(0)
	v_add_f32_e32 v0, v0, v2
	ds_bpermute_b32 v2, v5, v0
	s_waitcnt lgkmcnt(0)
	v_add_f32_e32 v0, v0, v2
	;; [unrolled: 3-line block ×3, first 2 shown]
	ds_bpermute_b32 v2, v7, v0
	s_and_saveexec_b32 s0, s1
	s_xor_b32 s0, exec_lo, s0
	s_cbranch_execz .LBB148_19
; %bb.18:
	s_waitcnt lgkmcnt(0)
	v_add_f32_e32 v0, v0, v2
	global_store_dword v1, v0, s[2:3] offset:128
.LBB148_19:
	s_endpgm
	.section	.rodata,"a",@progbits
	.p2align	6, 0x0
	.amdhsa_kernel _ZN2at6native12_GLOBAL__N_135GammaBetaBackwardCUDAKernelTemplateIffLj64ELj16ELj128ELb0ELb1ELb1EEEvllPKT_S5_PKT0_S8_PS3_S9_
		.amdhsa_group_segment_fixed_size 0
		.amdhsa_private_segment_fixed_size 0
		.amdhsa_kernarg_size 320
		.amdhsa_user_sgpr_count 6
		.amdhsa_user_sgpr_private_segment_buffer 1
		.amdhsa_user_sgpr_dispatch_ptr 0
		.amdhsa_user_sgpr_queue_ptr 0
		.amdhsa_user_sgpr_kernarg_segment_ptr 1
		.amdhsa_user_sgpr_dispatch_id 0
		.amdhsa_user_sgpr_flat_scratch_init 0
		.amdhsa_user_sgpr_private_segment_size 0
		.amdhsa_wavefront_size32 1
		.amdhsa_uses_dynamic_stack 0
		.amdhsa_system_sgpr_private_segment_wavefront_offset 0
		.amdhsa_system_sgpr_workgroup_id_x 1
		.amdhsa_system_sgpr_workgroup_id_y 1
		.amdhsa_system_sgpr_workgroup_id_z 0
		.amdhsa_system_sgpr_workgroup_info 0
		.amdhsa_system_vgpr_workitem_id 1
		.amdhsa_next_free_vgpr 40
		.amdhsa_next_free_sgpr 22
		.amdhsa_reserve_vcc 1
		.amdhsa_reserve_flat_scratch 0
		.amdhsa_float_round_mode_32 0
		.amdhsa_float_round_mode_16_64 0
		.amdhsa_float_denorm_mode_32 3
		.amdhsa_float_denorm_mode_16_64 3
		.amdhsa_dx10_clamp 1
		.amdhsa_ieee_mode 1
		.amdhsa_fp16_overflow 0
		.amdhsa_workgroup_processor_mode 1
		.amdhsa_memory_ordered 1
		.amdhsa_forward_progress 1
		.amdhsa_shared_vgpr_count 0
		.amdhsa_exception_fp_ieee_invalid_op 0
		.amdhsa_exception_fp_denorm_src 0
		.amdhsa_exception_fp_ieee_div_zero 0
		.amdhsa_exception_fp_ieee_overflow 0
		.amdhsa_exception_fp_ieee_underflow 0
		.amdhsa_exception_fp_ieee_inexact 0
		.amdhsa_exception_int_div_zero 0
	.end_amdhsa_kernel
	.section	.text._ZN2at6native12_GLOBAL__N_135GammaBetaBackwardCUDAKernelTemplateIffLj64ELj16ELj128ELb0ELb1ELb1EEEvllPKT_S5_PKT0_S8_PS3_S9_,"axG",@progbits,_ZN2at6native12_GLOBAL__N_135GammaBetaBackwardCUDAKernelTemplateIffLj64ELj16ELj128ELb0ELb1ELb1EEEvllPKT_S5_PKT0_S8_PS3_S9_,comdat
.Lfunc_end148:
	.size	_ZN2at6native12_GLOBAL__N_135GammaBetaBackwardCUDAKernelTemplateIffLj64ELj16ELj128ELb0ELb1ELb1EEEvllPKT_S5_PKT0_S8_PS3_S9_, .Lfunc_end148-_ZN2at6native12_GLOBAL__N_135GammaBetaBackwardCUDAKernelTemplateIffLj64ELj16ELj128ELb0ELb1ELb1EEEvllPKT_S5_PKT0_S8_PS3_S9_
                                        ; -- End function
	.set _ZN2at6native12_GLOBAL__N_135GammaBetaBackwardCUDAKernelTemplateIffLj64ELj16ELj128ELb0ELb1ELb1EEEvllPKT_S5_PKT0_S8_PS3_S9_.num_vgpr, 40
	.set _ZN2at6native12_GLOBAL__N_135GammaBetaBackwardCUDAKernelTemplateIffLj64ELj16ELj128ELb0ELb1ELb1EEEvllPKT_S5_PKT0_S8_PS3_S9_.num_agpr, 0
	.set _ZN2at6native12_GLOBAL__N_135GammaBetaBackwardCUDAKernelTemplateIffLj64ELj16ELj128ELb0ELb1ELb1EEEvllPKT_S5_PKT0_S8_PS3_S9_.numbered_sgpr, 22
	.set _ZN2at6native12_GLOBAL__N_135GammaBetaBackwardCUDAKernelTemplateIffLj64ELj16ELj128ELb0ELb1ELb1EEEvllPKT_S5_PKT0_S8_PS3_S9_.num_named_barrier, 0
	.set _ZN2at6native12_GLOBAL__N_135GammaBetaBackwardCUDAKernelTemplateIffLj64ELj16ELj128ELb0ELb1ELb1EEEvllPKT_S5_PKT0_S8_PS3_S9_.private_seg_size, 0
	.set _ZN2at6native12_GLOBAL__N_135GammaBetaBackwardCUDAKernelTemplateIffLj64ELj16ELj128ELb0ELb1ELb1EEEvllPKT_S5_PKT0_S8_PS3_S9_.uses_vcc, 1
	.set _ZN2at6native12_GLOBAL__N_135GammaBetaBackwardCUDAKernelTemplateIffLj64ELj16ELj128ELb0ELb1ELb1EEEvllPKT_S5_PKT0_S8_PS3_S9_.uses_flat_scratch, 0
	.set _ZN2at6native12_GLOBAL__N_135GammaBetaBackwardCUDAKernelTemplateIffLj64ELj16ELj128ELb0ELb1ELb1EEEvllPKT_S5_PKT0_S8_PS3_S9_.has_dyn_sized_stack, 0
	.set _ZN2at6native12_GLOBAL__N_135GammaBetaBackwardCUDAKernelTemplateIffLj64ELj16ELj128ELb0ELb1ELb1EEEvllPKT_S5_PKT0_S8_PS3_S9_.has_recursion, 0
	.set _ZN2at6native12_GLOBAL__N_135GammaBetaBackwardCUDAKernelTemplateIffLj64ELj16ELj128ELb0ELb1ELb1EEEvllPKT_S5_PKT0_S8_PS3_S9_.has_indirect_call, 0
	.section	.AMDGPU.csdata,"",@progbits
; Kernel info:
; codeLenInByte = 1552
; TotalNumSgprs: 24
; NumVgprs: 40
; ScratchSize: 0
; MemoryBound: 0
; FloatMode: 240
; IeeeMode: 1
; LDSByteSize: 0 bytes/workgroup (compile time only)
; SGPRBlocks: 0
; VGPRBlocks: 4
; NumSGPRsForWavesPerEU: 24
; NumVGPRsForWavesPerEU: 40
; Occupancy: 16
; WaveLimiterHint : 0
; COMPUTE_PGM_RSRC2:SCRATCH_EN: 0
; COMPUTE_PGM_RSRC2:USER_SGPR: 6
; COMPUTE_PGM_RSRC2:TRAP_HANDLER: 0
; COMPUTE_PGM_RSRC2:TGID_X_EN: 1
; COMPUTE_PGM_RSRC2:TGID_Y_EN: 1
; COMPUTE_PGM_RSRC2:TGID_Z_EN: 0
; COMPUTE_PGM_RSRC2:TIDIG_COMP_CNT: 1
	.section	.text._ZN2at6native12_GLOBAL__N_135GammaBetaBackwardCUDAKernelTemplateIffLj64ELj16ELj128ELb0ELb0ELb1EEEvllPKT_S5_PKT0_S8_PS3_S9_,"axG",@progbits,_ZN2at6native12_GLOBAL__N_135GammaBetaBackwardCUDAKernelTemplateIffLj64ELj16ELj128ELb0ELb0ELb1EEEvllPKT_S5_PKT0_S8_PS3_S9_,comdat
	.globl	_ZN2at6native12_GLOBAL__N_135GammaBetaBackwardCUDAKernelTemplateIffLj64ELj16ELj128ELb0ELb0ELb1EEEvllPKT_S5_PKT0_S8_PS3_S9_ ; -- Begin function _ZN2at6native12_GLOBAL__N_135GammaBetaBackwardCUDAKernelTemplateIffLj64ELj16ELj128ELb0ELb0ELb1EEEvllPKT_S5_PKT0_S8_PS3_S9_
	.p2align	8
	.type	_ZN2at6native12_GLOBAL__N_135GammaBetaBackwardCUDAKernelTemplateIffLj64ELj16ELj128ELb0ELb0ELb1EEEvllPKT_S5_PKT0_S8_PS3_S9_,@function
_ZN2at6native12_GLOBAL__N_135GammaBetaBackwardCUDAKernelTemplateIffLj64ELj16ELj128ELb0ELb0ELb1EEEvllPKT_S5_PKT0_S8_PS3_S9_: ; @_ZN2at6native12_GLOBAL__N_135GammaBetaBackwardCUDAKernelTemplateIffLj64ELj16ELj128ELb0ELb0ELb1EEEvllPKT_S5_PKT0_S8_PS3_S9_
; %bb.0:
	s_clause 0x1
	s_load_dwordx8 s[8:15], s[4:5], 0x0
	s_load_dwordx2 s[2:3], s[4:5], 0x28
	s_lshl_b32 s26, s6, 6
	s_mov_b32 s17, 0
	s_or_b32 s16, s26, 63
	s_waitcnt lgkmcnt(0)
	v_cmp_le_i64_e64 s0, s[10:11], s[16:17]
	s_lshl_b32 s16, s7, 7
	v_cmp_gt_i64_e64 s7, s[8:9], s[16:17]
	s_and_b32 vcc_lo, exec_lo, s0
	v_cndmask_b32_e64 v2, 0, 1, s7
	v_cmp_ne_u32_e64 s0, 1, v2
	s_cbranch_vccz .LBB149_49
; %bb.1:
	v_mov_b32_e32 v83, 0
	s_and_b32 vcc_lo, exec_lo, s0
	s_cbranch_vccnz .LBB149_50
; %bb.2:
	v_lshlrev_b32_e32 v21, 3, v1
	v_mov_b32_e32 v2, 0
	v_add_nc_u32_e32 v5, s26, v0
	s_load_dword s1, s[4:5], 0x44
	s_add_u32 s18, s4, 64
	v_add_co_u32 v11, s0, v21, s16
	v_add_co_ci_u32_e64 v12, null, 0, 0, s0
	v_mov_b32_e32 v6, v2
	v_mul_lo_u32 v7, s11, v11
	v_mad_u64_u32 v[3:4], null, s10, v11, 0
	v_mul_lo_u32 v8, s10, v12
	v_cmp_gt_i64_e64 s0, s[10:11], v[5:6]
	v_lshlrev_b64 v[19:20], 2, v[5:6]
	s_addc_u32 s19, s5, 0
	v_mov_b32_e32 v54, 0
	s_mov_b64 s[24:25], s[16:17]
	v_add3_u32 v4, v4, v8, v7
	v_add_co_u32 v7, vcc_lo, v11, 7
	v_add_co_ci_u32_e64 v8, null, 0, v12, vcc_lo
	v_lshlrev_b64 v[5:6], 2, v[3:4]
	v_mul_lo_u32 v13, s11, v7
	s_waitcnt lgkmcnt(0)
	s_lshl_b32 s27, s1, 7
	v_mul_lo_u32 v14, s10, v8
	v_mad_u64_u32 v[7:8], null, s10, v7, 0
	v_add_co_u32 v22, vcc_lo, s12, v5
	v_add_co_ci_u32_e64 v23, null, s13, v6, vcc_lo
	v_add_co_u32 v9, vcc_lo, v11, 6
	v_add_co_ci_u32_e64 v10, null, 0, v12, vcc_lo
	v_add_co_u32 v24, vcc_lo, s14, v5
	v_mul_lo_u32 v15, s11, v9
	v_mul_lo_u32 v16, s10, v10
	v_mad_u64_u32 v[9:10], null, s10, v9, 0
	v_add3_u32 v8, v8, v14, v13
	v_add_co_ci_u32_e64 v25, null, s15, v6, vcc_lo
	v_add_co_u32 v13, vcc_lo, v11, 5
	v_add_co_ci_u32_e64 v14, null, 0, v12, vcc_lo
	v_add3_u32 v10, v10, v16, v15
	v_lshlrev_b64 v[5:6], 2, v[7:8]
	v_mul_lo_u32 v15, s11, v13
	v_mul_lo_u32 v14, s10, v14
	s_mul_i32 s1, s11, s27
	v_lshlrev_b64 v[7:8], 2, v[9:10]
	v_mad_u64_u32 v[9:10], null, s10, v13, 0
	v_add_co_u32 v26, vcc_lo, s12, v5
	v_add_co_ci_u32_e64 v27, null, s13, v6, vcc_lo
	v_add_co_u32 v28, vcc_lo, s14, v5
	v_add_co_ci_u32_e64 v29, null, s15, v6, vcc_lo
	v_add_co_u32 v30, vcc_lo, s12, v7
	v_add3_u32 v10, v10, v14, v15
	s_mul_hi_u32 s20, s10, s27
	v_add_co_ci_u32_e64 v31, null, s13, v8, vcc_lo
	v_add_co_u32 v13, vcc_lo, v11, 4
	s_add_i32 s21, s20, s1
	v_add_co_u32 v32, s1, s14, v7
	v_add_co_ci_u32_e64 v7, null, 0, v12, vcc_lo
	v_lshlrev_b64 v[5:6], 2, v[9:10]
	v_add_co_u32 v9, vcc_lo, v11, 3
	v_add_co_ci_u32_e64 v10, null, 0, v12, vcc_lo
	v_add_co_ci_u32_e64 v33, null, s15, v8, s1
	v_mul_lo_u32 v14, s11, v13
	v_mul_lo_u32 v15, s10, v7
	v_mad_u64_u32 v[7:8], null, s10, v13, 0
	v_mul_lo_u32 v13, s11, v9
	v_mul_lo_u32 v16, s10, v10
	v_mad_u64_u32 v[9:10], null, s10, v9, 0
	v_add_co_u32 v34, vcc_lo, s12, v5
	v_add_co_ci_u32_e64 v35, null, s13, v6, vcc_lo
	v_add3_u32 v8, v8, v15, v14
	v_add_co_u32 v36, vcc_lo, s14, v5
	v_add_co_ci_u32_e64 v37, null, s15, v6, vcc_lo
	v_add_co_u32 v11, vcc_lo, v11, 2
	v_add3_u32 v10, v10, v16, v13
	v_add_co_ci_u32_e64 v12, null, 0, v12, vcc_lo
	v_lshlrev_b64 v[5:6], 2, v[7:8]
	v_mul_lo_u32 v13, s11, v11
	v_lshlrev_b64 v[7:8], 2, v[9:10]
	v_mul_lo_u32 v12, s10, v12
	v_mad_u64_u32 v[9:10], null, s10, v11, 0
	v_add_co_u32 v38, vcc_lo, s12, v5
	v_add_co_ci_u32_e64 v39, null, s13, v6, vcc_lo
	v_add_co_u32 v40, vcc_lo, s14, v5
	v_add_co_ci_u32_e64 v41, null, s15, v6, vcc_lo
	;; [unrolled: 2-line block ×3, first 2 shown]
	v_add3_u32 v10, v10, v12, v13
	v_add_co_u32 v44, vcc_lo, s14, v7
	v_add_co_ci_u32_e64 v45, null, s15, v8, vcc_lo
	v_add_co_u32 v3, vcc_lo, v3, s10
	v_add_co_ci_u32_e64 v4, null, s11, v4, vcc_lo
	v_lshlrev_b64 v[5:6], 2, v[9:10]
	s_mul_i32 s20, s10, s27
	v_lshlrev_b64 v[3:4], 2, v[3:4]
	s_lshl_b64 s[20:21], s[20:21], 2
	s_add_u32 s22, s16, 0x7f
	v_add_co_u32 v46, vcc_lo, s12, v5
	v_add_co_ci_u32_e64 v47, null, s13, v6, vcc_lo
	v_add_co_u32 v48, vcc_lo, s14, v5
	v_add_co_ci_u32_e64 v49, null, s15, v6, vcc_lo
	;; [unrolled: 2-line block ×4, first 2 shown]
	s_addc_u32 s23, 0, 0
.LBB149_3:                              ; =>This Inner Loop Header: Depth=1
	v_cmp_ge_i64_e64 s1, s[22:23], s[8:9]
	v_add_co_u32 v55, s28, v21, s22
	v_add_co_ci_u32_e64 v56, null, 0, s23, s28
                                        ; implicit-def: $vgpr3_vgpr4_vgpr5_vgpr6_vgpr7_vgpr8_vgpr9_vgpr10
                                        ; implicit-def: $vgpr83
                                        ; implicit-def: $vgpr11_vgpr12_vgpr13_vgpr14_vgpr15_vgpr16_vgpr17_vgpr18
                                        ; implicit-def: $vgpr3
	s_and_b32 vcc_lo, exec_lo, s1
	s_mov_b32 s1, -1
	s_cbranch_vccz .LBB149_25
; %bb.4:                                ;   in Loop: Header=BB149_3 Depth=1
	s_load_dword s1, s[18:19], 0xc
	v_mov_b32_e32 v57, 0
	s_waitcnt lgkmcnt(0)
	s_and_b32 s1, s1, 0xffff
	v_mad_u32_u24 v3, v1, s1, v0
	s_mov_b32 s1, exec_lo
	v_and_b32_e32 v3, 31, v3
	v_cmpx_gt_u32_e32 8, v3
	s_cbranch_execz .LBB149_8
; %bb.5:                                ;   in Loop: Header=BB149_3 Depth=1
	v_add_co_u32 v3, vcc_lo, v55, v3
	v_add_co_ci_u32_e64 v4, null, 0, v56, vcc_lo
	v_mov_b32_e32 v57, 0
	v_add_co_u32 v3, vcc_lo, 0xffffff81, v3
	v_add_co_ci_u32_e64 v4, null, -1, v4, vcc_lo
	s_mov_b32 s28, exec_lo
	v_cmpx_gt_i64_e64 s[8:9], v[3:4]
	s_cbranch_execz .LBB149_7
; %bb.6:                                ;   in Loop: Header=BB149_3 Depth=1
	v_lshlrev_b64 v[3:4], 2, v[3:4]
	v_add_co_u32 v3, vcc_lo, s2, v3
	v_add_co_ci_u32_e64 v4, null, s3, v4, vcc_lo
	global_load_dword v57, v[3:4], off
.LBB149_7:                              ;   in Loop: Header=BB149_3 Depth=1
	s_or_b32 exec_lo, exec_lo, s28
.LBB149_8:                              ;   in Loop: Header=BB149_3 Depth=1
	s_or_b32 exec_lo, exec_lo, s1
	v_add_co_u32 v10, vcc_lo, 0xffffff81, v55
	v_add_co_ci_u32_e64 v11, null, -1, v56, vcc_lo
	v_mov_b32_e32 v9, v2
	v_mov_b32_e32 v3, v2
	;; [unrolled: 1-line block ×7, first 2 shown]
	v_cmp_gt_i64_e32 vcc_lo, s[8:9], v[10:11]
	v_mov_b32_e32 v18, v9
	v_mov_b32_e32 v15, v6
	;; [unrolled: 1-line block ×16, first 2 shown]
	s_and_b32 s28, s0, vcc_lo
	s_and_saveexec_b32 s1, s28
	s_cbranch_execz .LBB149_10
; %bb.9:                                ;   in Loop: Header=BB149_3 Depth=1
	v_add_co_u32 v3, vcc_lo, v22, v19
	v_add_co_ci_u32_e64 v4, null, v23, v20, vcc_lo
	v_add_co_u32 v5, vcc_lo, v24, v19
	v_add_co_ci_u32_e64 v6, null, v25, v20, vcc_lo
	global_load_dword v3, v[3:4], off
	global_load_dword v11, v[5:6], off
	v_mov_b32_e32 v4, v2
	v_mov_b32_e32 v5, v2
	;; [unrolled: 1-line block ×14, first 2 shown]
.LBB149_10:                             ;   in Loop: Header=BB149_3 Depth=1
	s_or_b32 exec_lo, exec_lo, s1
	v_add_co_u32 v58, vcc_lo, 0xffffff82, v55
	v_add_co_ci_u32_e64 v59, null, -1, v56, vcc_lo
	v_cmp_gt_i64_e32 vcc_lo, s[8:9], v[58:59]
	s_and_b32 s28, s0, vcc_lo
	s_and_saveexec_b32 s1, s28
	s_cbranch_execz .LBB149_12
; %bb.11:                               ;   in Loop: Header=BB149_3 Depth=1
	v_add_co_u32 v58, vcc_lo, v50, v19
	v_add_co_ci_u32_e64 v59, null, v51, v20, vcc_lo
	v_add_co_u32 v60, vcc_lo, v52, v19
	v_add_co_ci_u32_e64 v61, null, v53, v20, vcc_lo
	global_load_dword v4, v[58:59], off
	global_load_dword v12, v[60:61], off
.LBB149_12:                             ;   in Loop: Header=BB149_3 Depth=1
	s_or_b32 exec_lo, exec_lo, s1
	v_add_co_u32 v58, vcc_lo, 0xffffff83, v55
	v_add_co_ci_u32_e64 v59, null, -1, v56, vcc_lo
	v_cmp_gt_i64_e32 vcc_lo, s[8:9], v[58:59]
	s_and_b32 s28, s0, vcc_lo
	s_and_saveexec_b32 s1, s28
	s_cbranch_execz .LBB149_14
; %bb.13:                               ;   in Loop: Header=BB149_3 Depth=1
	v_add_co_u32 v58, vcc_lo, v46, v19
	v_add_co_ci_u32_e64 v59, null, v47, v20, vcc_lo
	v_add_co_u32 v60, vcc_lo, v48, v19
	v_add_co_ci_u32_e64 v61, null, v49, v20, vcc_lo
	global_load_dword v5, v[58:59], off
	global_load_dword v13, v[60:61], off
.LBB149_14:                             ;   in Loop: Header=BB149_3 Depth=1
	;; [unrolled: 15-line block ×7, first 2 shown]
	s_or_b32 exec_lo, exec_lo, s1
	s_waitcnt vmcnt(0)
	ds_bpermute_b32 v58, v2, v57
	ds_bpermute_b32 v59, v2, v57 offset:4
	ds_bpermute_b32 v60, v2, v57 offset:8
	v_mul_f32_e32 v3, v11, v3
	ds_bpermute_b32 v11, v2, v57 offset:12
	v_mul_f32_e32 v4, v12, v4
	;; [unrolled: 2-line block ×3, first 2 shown]
	s_mov_b32 s1, 0
	s_waitcnt lgkmcnt(4)
	v_fma_f32 v83, v3, v58, v54
	v_mul_f32_e32 v3, v13, v5
	ds_bpermute_b32 v5, v2, v57 offset:20
	s_waitcnt lgkmcnt(4)
	v_fmac_f32_e32 v83, v4, v59
	v_mul_f32_e32 v4, v14, v6
	ds_bpermute_b32 v6, v2, v57 offset:24
	s_waitcnt lgkmcnt(4)
	v_fmac_f32_e32 v83, v3, v60
	ds_bpermute_b32 v3, v2, v57 offset:28
	s_waitcnt lgkmcnt(4)
	v_fmac_f32_e32 v83, v4, v11
	v_mul_f32_e32 v4, v16, v8
	s_waitcnt lgkmcnt(3)
	v_fmac_f32_e32 v83, v7, v12
	s_waitcnt lgkmcnt(2)
	v_fmac_f32_e32 v83, v4, v5
	v_mul_f32_e32 v4, v17, v9
	s_waitcnt lgkmcnt(1)
	v_fmac_f32_e32 v83, v4, v6
.LBB149_25:                             ;   in Loop: Header=BB149_3 Depth=1
	s_and_b32 vcc_lo, exec_lo, s1
	s_cbranch_vccz .LBB149_40
; %bb.26:                               ;   in Loop: Header=BB149_3 Depth=1
	s_load_dword s1, s[18:19], 0x0
	v_mov_b32_e32 v57, 0
	s_waitcnt lgkmcnt(0)
	s_cmp_lt_u32 s6, s1
	s_cselect_b32 s1, 12, 18
	s_add_u32 s28, s18, s1
	s_addc_u32 s29, s19, 0
	s_mov_b32 s1, exec_lo
	global_load_ushort v3, v2, s[28:29]
	s_waitcnt vmcnt(0)
	v_mad_u32_u24 v3, v1, v3, v0
	v_and_b32_e32 v3, 31, v3
	v_cmpx_gt_u32_e32 8, v3
	s_cbranch_execz .LBB149_30
; %bb.27:                               ;   in Loop: Header=BB149_3 Depth=1
	v_add_co_u32 v3, vcc_lo, v55, v3
	v_add_co_ci_u32_e64 v4, null, 0, v56, vcc_lo
	v_mov_b32_e32 v57, 0
	v_add_co_u32 v3, vcc_lo, 0xffffff81, v3
	v_add_co_ci_u32_e64 v4, null, -1, v4, vcc_lo
	s_mov_b32 s28, exec_lo
	v_cmpx_gt_i64_e64 s[8:9], v[3:4]
	s_cbranch_execz .LBB149_29
; %bb.28:                               ;   in Loop: Header=BB149_3 Depth=1
	v_lshlrev_b64 v[3:4], 2, v[3:4]
	v_add_co_u32 v3, vcc_lo, s2, v3
	v_add_co_ci_u32_e64 v4, null, s3, v4, vcc_lo
	global_load_dword v57, v[3:4], off
.LBB149_29:                             ;   in Loop: Header=BB149_3 Depth=1
	s_or_b32 exec_lo, exec_lo, s28
.LBB149_30:                             ;   in Loop: Header=BB149_3 Depth=1
	s_or_b32 exec_lo, exec_lo, s1
	v_mov_b32_e32 v9, v2
	v_mov_b32_e32 v3, v2
	;; [unrolled: 1-line block ×23, first 2 shown]
	s_and_saveexec_b32 s1, s0
	s_cbranch_execnz .LBB149_42
; %bb.31:                               ;   in Loop: Header=BB149_3 Depth=1
	s_or_b32 exec_lo, exec_lo, s1
	s_and_saveexec_b32 s1, s0
	s_cbranch_execnz .LBB149_43
.LBB149_32:                             ;   in Loop: Header=BB149_3 Depth=1
	s_or_b32 exec_lo, exec_lo, s1
	s_and_saveexec_b32 s1, s0
	s_cbranch_execnz .LBB149_44
.LBB149_33:                             ;   in Loop: Header=BB149_3 Depth=1
	s_or_b32 exec_lo, exec_lo, s1
	s_and_saveexec_b32 s1, s0
	s_cbranch_execnz .LBB149_45
.LBB149_34:                             ;   in Loop: Header=BB149_3 Depth=1
	s_or_b32 exec_lo, exec_lo, s1
	s_and_saveexec_b32 s1, s0
	s_cbranch_execnz .LBB149_46
.LBB149_35:                             ;   in Loop: Header=BB149_3 Depth=1
	s_or_b32 exec_lo, exec_lo, s1
	s_and_saveexec_b32 s1, s0
	s_cbranch_execnz .LBB149_47
.LBB149_36:                             ;   in Loop: Header=BB149_3 Depth=1
	s_or_b32 exec_lo, exec_lo, s1
	s_and_saveexec_b32 s1, s0
	s_cbranch_execnz .LBB149_48
.LBB149_37:                             ;   in Loop: Header=BB149_3 Depth=1
	s_or_b32 exec_lo, exec_lo, s1
	s_and_saveexec_b32 s1, s0
	s_cbranch_execz .LBB149_39
.LBB149_38:                             ;   in Loop: Header=BB149_3 Depth=1
	v_add_co_u32 v55, vcc_lo, v26, v19
	v_add_co_ci_u32_e64 v56, null, v27, v20, vcc_lo
	v_add_co_u32 v58, vcc_lo, v28, v19
	v_add_co_ci_u32_e64 v59, null, v29, v20, vcc_lo
	global_load_dword v10, v[55:56], off
	global_load_dword v18, v[58:59], off
.LBB149_39:                             ;   in Loop: Header=BB149_3 Depth=1
	s_or_b32 exec_lo, exec_lo, s1
	s_waitcnt vmcnt(0)
	ds_bpermute_b32 v55, v2, v57
	ds_bpermute_b32 v56, v2, v57 offset:4
	ds_bpermute_b32 v58, v2, v57 offset:8
	v_mul_f32_e32 v3, v11, v3
	ds_bpermute_b32 v11, v2, v57 offset:12
	v_mul_f32_e32 v4, v12, v4
	ds_bpermute_b32 v12, v2, v57 offset:16
	s_waitcnt lgkmcnt(4)
	v_fmac_f32_e32 v54, v3, v55
	v_mul_f32_e32 v3, v13, v5
	ds_bpermute_b32 v5, v2, v57 offset:20
	s_waitcnt lgkmcnt(4)
	v_fmac_f32_e32 v54, v4, v56
	;; [unrolled: 4-line block ×3, first 2 shown]
	v_mul_f32_e32 v3, v15, v7
	s_waitcnt lgkmcnt(3)
	v_fmac_f32_e32 v54, v4, v11
	v_mul_f32_e32 v4, v16, v8
	s_waitcnt lgkmcnt(2)
	v_fmac_f32_e32 v54, v3, v12
	ds_bpermute_b32 v3, v2, v57 offset:28
	s_waitcnt lgkmcnt(2)
	v_fmac_f32_e32 v54, v4, v5
	v_mul_f32_e32 v4, v17, v9
	s_waitcnt lgkmcnt(1)
	v_fmac_f32_e32 v54, v4, v6
	v_mov_b32_e32 v83, v54
.LBB149_40:                             ;   in Loop: Header=BB149_3 Depth=1
	v_add_co_u32 v22, vcc_lo, v22, s20
	v_add_co_ci_u32_e64 v23, null, s21, v23, vcc_lo
	v_add_co_u32 v24, vcc_lo, v24, s20
	v_add_co_ci_u32_e64 v25, null, s21, v25, vcc_lo
	;; [unrolled: 2-line block ×12, first 2 shown]
	v_add_co_u32 v46, vcc_lo, v46, s20
	s_add_u32 s24, s24, s27
	v_add_co_ci_u32_e64 v47, null, s21, v47, vcc_lo
	v_add_co_u32 v48, vcc_lo, v48, s20
	v_mul_f32_e32 v4, v10, v18
	s_addc_u32 s25, s25, 0
	v_add_co_ci_u32_e64 v49, null, s21, v49, vcc_lo
	v_add_co_u32 v50, vcc_lo, v50, s20
	v_cmp_lt_i64_e64 s1, s[24:25], s[8:9]
	v_add_co_ci_u32_e64 v51, null, s21, v51, vcc_lo
	v_add_co_u32 v52, vcc_lo, v52, s20
	s_waitcnt lgkmcnt(0)
	v_fmac_f32_e32 v83, v4, v3
	v_add_co_ci_u32_e64 v53, null, s21, v53, vcc_lo
	s_add_u32 s22, s22, s27
	s_addc_u32 s23, s23, 0
	s_and_b32 vcc_lo, exec_lo, s1
	s_cbranch_vccz .LBB149_50
; %bb.41:                               ;   in Loop: Header=BB149_3 Depth=1
	v_mov_b32_e32 v54, v83
	s_branch .LBB149_3
.LBB149_42:                             ;   in Loop: Header=BB149_3 Depth=1
	v_add_co_u32 v3, vcc_lo, v22, v19
	v_add_co_ci_u32_e64 v4, null, v23, v20, vcc_lo
	v_add_co_u32 v5, vcc_lo, v24, v19
	v_add_co_ci_u32_e64 v6, null, v25, v20, vcc_lo
	global_load_dword v3, v[3:4], off
	global_load_dword v11, v[5:6], off
	v_mov_b32_e32 v4, v2
	v_mov_b32_e32 v5, v2
	;; [unrolled: 1-line block ×14, first 2 shown]
	s_or_b32 exec_lo, exec_lo, s1
	s_and_saveexec_b32 s1, s0
	s_cbranch_execz .LBB149_32
.LBB149_43:                             ;   in Loop: Header=BB149_3 Depth=1
	v_add_co_u32 v55, vcc_lo, v50, v19
	v_add_co_ci_u32_e64 v56, null, v51, v20, vcc_lo
	v_add_co_u32 v58, vcc_lo, v52, v19
	v_add_co_ci_u32_e64 v59, null, v53, v20, vcc_lo
	global_load_dword v4, v[55:56], off
	global_load_dword v12, v[58:59], off
	s_or_b32 exec_lo, exec_lo, s1
	s_and_saveexec_b32 s1, s0
	s_cbranch_execz .LBB149_33
.LBB149_44:                             ;   in Loop: Header=BB149_3 Depth=1
	v_add_co_u32 v55, vcc_lo, v46, v19
	v_add_co_ci_u32_e64 v56, null, v47, v20, vcc_lo
	v_add_co_u32 v58, vcc_lo, v48, v19
	v_add_co_ci_u32_e64 v59, null, v49, v20, vcc_lo
	global_load_dword v5, v[55:56], off
	global_load_dword v13, v[58:59], off
	s_or_b32 exec_lo, exec_lo, s1
	s_and_saveexec_b32 s1, s0
	s_cbranch_execz .LBB149_34
.LBB149_45:                             ;   in Loop: Header=BB149_3 Depth=1
	v_add_co_u32 v55, vcc_lo, v42, v19
	v_add_co_ci_u32_e64 v56, null, v43, v20, vcc_lo
	v_add_co_u32 v58, vcc_lo, v44, v19
	v_add_co_ci_u32_e64 v59, null, v45, v20, vcc_lo
	global_load_dword v6, v[55:56], off
	global_load_dword v14, v[58:59], off
	s_or_b32 exec_lo, exec_lo, s1
	s_and_saveexec_b32 s1, s0
	s_cbranch_execz .LBB149_35
.LBB149_46:                             ;   in Loop: Header=BB149_3 Depth=1
	v_add_co_u32 v55, vcc_lo, v38, v19
	v_add_co_ci_u32_e64 v56, null, v39, v20, vcc_lo
	v_add_co_u32 v58, vcc_lo, v40, v19
	v_add_co_ci_u32_e64 v59, null, v41, v20, vcc_lo
	global_load_dword v7, v[55:56], off
	global_load_dword v15, v[58:59], off
	s_or_b32 exec_lo, exec_lo, s1
	s_and_saveexec_b32 s1, s0
	s_cbranch_execz .LBB149_36
.LBB149_47:                             ;   in Loop: Header=BB149_3 Depth=1
	v_add_co_u32 v55, vcc_lo, v34, v19
	v_add_co_ci_u32_e64 v56, null, v35, v20, vcc_lo
	v_add_co_u32 v58, vcc_lo, v36, v19
	v_add_co_ci_u32_e64 v59, null, v37, v20, vcc_lo
	global_load_dword v8, v[55:56], off
	global_load_dword v16, v[58:59], off
	s_or_b32 exec_lo, exec_lo, s1
	s_and_saveexec_b32 s1, s0
	s_cbranch_execz .LBB149_37
.LBB149_48:                             ;   in Loop: Header=BB149_3 Depth=1
	v_add_co_u32 v55, vcc_lo, v30, v19
	v_add_co_ci_u32_e64 v56, null, v31, v20, vcc_lo
	v_add_co_u32 v58, vcc_lo, v32, v19
	v_add_co_ci_u32_e64 v59, null, v33, v20, vcc_lo
	global_load_dword v9, v[55:56], off
	global_load_dword v17, v[58:59], off
	s_or_b32 exec_lo, exec_lo, s1
	s_and_saveexec_b32 s1, s0
	s_cbranch_execnz .LBB149_38
	s_branch .LBB149_39
.LBB149_49:
                                        ; implicit-def: $vgpr83
	s_branch .LBB149_51
.LBB149_50:
	s_cbranch_execnz .LBB149_83
.LBB149_51:
	v_mov_b32_e32 v83, 0
	s_andn2_b32 vcc_lo, exec_lo, s7
	s_cbranch_vccnz .LBB149_83
; %bb.52:
	s_load_dword s7, s[4:5], 0x44
	v_lshlrev_b32_e32 v49, 3, v1
	v_lshlrev_b32_e32 v8, 5, v1
	v_mov_b32_e32 v82, 0
	v_add_co_u32 v4, s0, v49, s16
	v_add_co_ci_u32_e64 v5, null, 0, 0, s0
	s_add_u32 s0, s4, 64
	v_mul_lo_u32 v6, s11, v4
	v_mad_u64_u32 v[2:3], null, s10, v4, 0
	v_mul_lo_u32 v7, s10, v5
	s_addc_u32 s1, s5, 0
	s_waitcnt lgkmcnt(0)
	s_lshl_b32 s7, s7, 7
	v_add3_u32 v3, v3, v7, v6
	s_mul_i32 s19, s11, s7
	s_mul_hi_u32 s20, s10, s7
	s_mul_i32 s18, s10, s7
	s_add_i32 s19, s20, s19
	v_lshlrev_b64 v[6:7], 2, v[2:3]
	s_lshl_b64 s[18:19], s[18:19], 2
	s_add_u32 s20, s16, 0x7f
	s_addc_u32 s21, 0, 0
	s_lshl_b64 s[22:23], s[16:17], 2
	v_add_co_u32 v8, s22, v8, s22
	v_add_co_ci_u32_e64 v9, null, 0, s23, s22
	v_add_co_u32 v10, vcc_lo, v8, 4
	v_add_co_ci_u32_e64 v11, null, 0, v9, vcc_lo
	v_add_co_u32 v50, vcc_lo, s12, v6
	v_add_co_ci_u32_e64 v51, null, s13, v7, vcc_lo
	;; [unrolled: 2-line block ×6, first 2 shown]
	v_add_co_u32 v41, vcc_lo, v8, 20
	v_mad_u64_u32 v[21:22], null, s10, v6, s[12:13]
	v_mul_lo_u32 v7, s10, v7
	v_mul_lo_u32 v15, s11, v6
	v_mad_u64_u32 v[35:36], null, s10, v6, s[14:15]
	v_add_co_ci_u32_e64 v29, null, 0, v9, vcc_lo
	v_add_co_u32 v43, vcc_lo, v8, 24
	v_add_co_ci_u32_e64 v31, null, 0, v9, vcc_lo
	v_add_co_u32 v8, vcc_lo, v8, 28
	v_mad_u64_u32 v[19:20], null, s10, v10, s[12:13]
	v_mul_lo_u32 v11, s10, v11
	v_mul_lo_u32 v12, s11, v10
	v_mad_u64_u32 v[33:34], null, s10, v10, s[14:15]
	v_add_co_ci_u32_e64 v9, null, 0, v9, vcc_lo
	v_add_co_u32 v6, vcc_lo, v4, 7
	v_add3_u32 v22, v15, v22, v7
	v_add3_u32 v36, v15, v36, v7
	v_add_co_ci_u32_e64 v7, null, 0, v5, vcc_lo
	v_mul_lo_u32 v57, s10, v9
	v_add_co_u32 v9, vcc_lo, v4, 6
	v_add3_u32 v20, v12, v20, v11
	v_add3_u32 v34, v12, v34, v11
	v_add_co_ci_u32_e64 v12, null, 0, v5, vcc_lo
	v_mul_lo_u32 v10, s11, v6
	v_mul_lo_u32 v11, s10, v7
	v_mad_u64_u32 v[6:7], null, s10, v6, 0
	v_mad_u64_u32 v[23:24], null, s10, v13, s[12:13]
	v_mul_lo_u32 v17, s11, v13
	v_mul_lo_u32 v55, s10, v31
	v_mad_u64_u32 v[31:32], null, s10, v8, s[12:13]
	v_mul_lo_u32 v58, s11, v8
	v_mad_u64_u32 v[37:38], null, s10, v13, s[14:15]
	v_mad_u64_u32 v[45:46], null, s10, v8, s[14:15]
	v_mul_lo_u32 v13, s11, v9
	v_mul_lo_u32 v12, s10, v12
	v_mad_u64_u32 v[8:9], null, s10, v9, 0
	v_add3_u32 v7, v7, v11, v10
	v_add_co_u32 v10, vcc_lo, v4, 5
	v_mad_u64_u32 v[27:28], null, s10, v41, s[12:13]
	v_mul_lo_u32 v48, s10, v29
	v_mul_lo_u32 v54, s11, v41
	v_mad_u64_u32 v[41:42], null, s10, v41, s[14:15]
	v_add3_u32 v9, v9, v12, v13
	v_add_co_ci_u32_e64 v11, null, 0, v5, vcc_lo
	v_mad_u64_u32 v[29:30], null, s10, v43, s[12:13]
	v_mul_lo_u32 v56, s11, v43
	v_mad_u64_u32 v[43:44], null, s10, v43, s[14:15]
	v_lshlrev_b64 v[6:7], 2, v[6:7]
	v_lshlrev_b64 v[8:9], 2, v[8:9]
	v_mul_lo_u32 v12, s11, v10
	v_mul_lo_u32 v13, s10, v11
	v_mad_u64_u32 v[10:11], null, s10, v10, 0
	v_add3_u32 v28, v54, v28, v48
	v_add3_u32 v42, v54, v42, v48
	v_add_co_u32 v54, vcc_lo, s12, v6
	v_add3_u32 v30, v56, v30, v55
	v_add3_u32 v44, v56, v44, v55
	v_add_co_ci_u32_e64 v55, null, s13, v7, vcc_lo
	v_add_co_u32 v56, vcc_lo, s14, v6
	v_add3_u32 v32, v58, v32, v57
	v_add3_u32 v46, v58, v46, v57
	v_add_co_ci_u32_e64 v57, null, s15, v7, vcc_lo
	v_add_co_u32 v58, vcc_lo, s12, v8
	v_add_co_ci_u32_e64 v59, null, s13, v9, vcc_lo
	v_add3_u32 v11, v11, v13, v12
	v_add_co_u32 v12, vcc_lo, v4, 4
	v_add_co_ci_u32_e64 v13, null, 0, v5, vcc_lo
	v_add_co_u32 v60, vcc_lo, s14, v8
	v_mul_lo_u32 v14, s10, v14
	v_add_co_ci_u32_e64 v61, null, s15, v9, vcc_lo
	v_lshlrev_b64 v[6:7], 2, v[10:11]
	v_mul_lo_u32 v10, s11, v12
	v_mul_lo_u32 v11, s10, v13
	v_mad_u64_u32 v[8:9], null, s10, v12, 0
	v_add_co_u32 v12, vcc_lo, v4, 3
	v_add_co_ci_u32_e64 v13, null, 0, v5, vcc_lo
	v_add_co_u32 v62, vcc_lo, s12, v6
	v_add3_u32 v24, v17, v24, v14
	v_add3_u32 v38, v17, v38, v14
	v_add_co_ci_u32_e64 v63, null, s13, v7, vcc_lo
	v_add3_u32 v9, v9, v11, v10
	v_mul_lo_u32 v14, s11, v12
	v_mad_u64_u32 v[10:11], null, s10, v12, 0
	v_add_co_u32 v12, vcc_lo, v4, 2
	v_mul_lo_u32 v13, s10, v13
	v_add_co_ci_u32_e64 v15, null, 0, v5, vcc_lo
	v_add_co_u32 v64, vcc_lo, s14, v6
	v_lshlrev_b64 v[4:5], 2, v[8:9]
	v_add_co_ci_u32_e64 v65, null, s15, v7, vcc_lo
	v_mul_lo_u32 v8, s11, v12
	v_mul_lo_u32 v9, s10, v15
	v_mad_u64_u32 v[6:7], null, s10, v12, 0
	v_add3_u32 v11, v11, v13, v14
	v_add_co_u32 v66, vcc_lo, s12, v4
	v_add_co_ci_u32_e64 v67, null, s13, v5, vcc_lo
	v_add_co_u32 v68, vcc_lo, s14, v4
	v_add_co_ci_u32_e64 v69, null, s15, v5, vcc_lo
	v_lshlrev_b64 v[4:5], 2, v[10:11]
	v_add3_u32 v7, v7, v9, v8
	v_add_co_u32 v2, vcc_lo, v2, s10
	v_add_co_ci_u32_e64 v3, null, s11, v3, vcc_lo
	v_lshlrev_b64 v[6:7], 2, v[6:7]
	v_add_co_u32 v70, vcc_lo, s12, v4
	v_add_co_ci_u32_e64 v71, null, s13, v5, vcc_lo
	v_add_co_u32 v72, vcc_lo, s14, v4
	v_lshlrev_b64 v[3:4], 2, v[2:3]
	v_mov_b32_e32 v2, 0
	v_mad_u64_u32 v[25:26], null, s10, v16, s[12:13]
	v_mul_lo_u32 v18, s10, v18
	v_mul_lo_u32 v47, s11, v16
	v_mad_u64_u32 v[39:40], null, s10, v16, s[14:15]
	v_add_co_ci_u32_e64 v73, null, s15, v5, vcc_lo
	v_add_co_u32 v74, vcc_lo, s12, v6
	v_add_co_ci_u32_e64 v75, null, s13, v7, vcc_lo
	v_add_co_u32 v76, vcc_lo, s14, v6
	v_add_nc_u32_e32 v5, s26, v0
	v_mov_b32_e32 v6, v2
	v_add_co_ci_u32_e64 v77, null, s15, v7, vcc_lo
	v_add_co_u32 v78, vcc_lo, s12, v3
	v_add_co_ci_u32_e64 v79, null, s13, v4, vcc_lo
	v_add_co_u32 v80, vcc_lo, s14, v3
	v_add3_u32 v26, v47, v26, v18
	v_add3_u32 v40, v47, v40, v18
	v_lshlrev_b64 v[47:48], 2, v[5:6]
	v_add_co_ci_u32_e64 v81, null, s15, v4, vcc_lo
.LBB149_53:                             ; =>This Inner Loop Header: Depth=1
	v_cmp_ge_i64_e64 s12, s[20:21], s[8:9]
	v_add_co_u32 v84, s13, v49, s20
	v_add_co_ci_u32_e64 v85, null, 0, s21, s13
                                        ; implicit-def: $vgpr83
	s_and_b32 vcc_lo, exec_lo, s12
	s_mov_b32 s12, -1
	s_cbranch_vccz .LBB149_75
; %bb.54:                               ;   in Loop: Header=BB149_53 Depth=1
	s_load_dword s12, s[0:1], 0xc
	v_mov_b32_e32 v86, 0
	s_waitcnt lgkmcnt(0)
	s_and_b32 s12, s12, 0xffff
	v_mad_u32_u24 v3, v1, s12, v0
	s_mov_b32 s12, exec_lo
	v_and_b32_e32 v3, 31, v3
	v_cmpx_gt_u32_e32 8, v3
	s_cbranch_execz .LBB149_58
; %bb.55:                               ;   in Loop: Header=BB149_53 Depth=1
	v_add_co_u32 v3, vcc_lo, v84, v3
	v_add_co_ci_u32_e64 v4, null, 0, v85, vcc_lo
	v_mov_b32_e32 v86, 0
	v_add_co_u32 v3, vcc_lo, 0xffffff81, v3
	v_add_co_ci_u32_e64 v4, null, -1, v4, vcc_lo
	s_mov_b32 s13, exec_lo
	v_cmpx_gt_i64_e64 s[8:9], v[3:4]
	s_cbranch_execz .LBB149_57
; %bb.56:                               ;   in Loop: Header=BB149_53 Depth=1
	v_lshlrev_b64 v[3:4], 2, v[3:4]
	v_add_co_u32 v3, vcc_lo, s2, v3
	v_add_co_ci_u32_e64 v4, null, s3, v4, vcc_lo
	global_load_dword v86, v[3:4], off
.LBB149_57:                             ;   in Loop: Header=BB149_53 Depth=1
	s_or_b32 exec_lo, exec_lo, s13
.LBB149_58:                             ;   in Loop: Header=BB149_53 Depth=1
	s_or_b32 exec_lo, exec_lo, s12
	v_add_co_u32 v10, vcc_lo, 0xffffff81, v84
	v_add_co_ci_u32_e64 v11, null, -1, v85, vcc_lo
	v_mov_b32_e32 v9, v2
	v_mov_b32_e32 v3, v2
	;; [unrolled: 1-line block ×7, first 2 shown]
	v_cmp_gt_i64_e32 vcc_lo, s[8:9], v[10:11]
	v_mov_b32_e32 v18, v9
	v_mov_b32_e32 v15, v6
	;; [unrolled: 1-line block ×16, first 2 shown]
	s_and_saveexec_b32 s12, vcc_lo
	s_cbranch_execz .LBB149_60
; %bb.59:                               ;   in Loop: Header=BB149_53 Depth=1
	v_add_co_u32 v3, vcc_lo, v50, v47
	v_add_co_ci_u32_e64 v4, null, v51, v48, vcc_lo
	v_add_co_u32 v5, vcc_lo, v52, v47
	v_add_co_ci_u32_e64 v6, null, v53, v48, vcc_lo
	global_load_dword v3, v[3:4], off
	global_load_dword v11, v[5:6], off
	v_mov_b32_e32 v4, v2
	v_mov_b32_e32 v5, v2
	;; [unrolled: 1-line block ×14, first 2 shown]
.LBB149_60:                             ;   in Loop: Header=BB149_53 Depth=1
	s_or_b32 exec_lo, exec_lo, s12
	v_add_co_u32 v87, vcc_lo, 0xffffff82, v84
	v_add_co_ci_u32_e64 v88, null, -1, v85, vcc_lo
	s_mov_b32 s12, exec_lo
	v_cmpx_gt_i64_e64 s[8:9], v[87:88]
	s_cbranch_execz .LBB149_62
; %bb.61:                               ;   in Loop: Header=BB149_53 Depth=1
	v_add_co_u32 v87, vcc_lo, v78, v47
	v_add_co_ci_u32_e64 v88, null, v79, v48, vcc_lo
	v_add_co_u32 v89, vcc_lo, v80, v47
	v_add_co_ci_u32_e64 v90, null, v81, v48, vcc_lo
	global_load_dword v4, v[87:88], off
	global_load_dword v12, v[89:90], off
.LBB149_62:                             ;   in Loop: Header=BB149_53 Depth=1
	s_or_b32 exec_lo, exec_lo, s12
	v_add_co_u32 v87, vcc_lo, 0xffffff83, v84
	v_add_co_ci_u32_e64 v88, null, -1, v85, vcc_lo
	s_mov_b32 s12, exec_lo
	v_cmpx_gt_i64_e64 s[8:9], v[87:88]
	s_cbranch_execz .LBB149_64
; %bb.63:                               ;   in Loop: Header=BB149_53 Depth=1
	v_add_co_u32 v87, vcc_lo, v74, v47
	v_add_co_ci_u32_e64 v88, null, v75, v48, vcc_lo
	v_add_co_u32 v89, vcc_lo, v76, v47
	v_add_co_ci_u32_e64 v90, null, v77, v48, vcc_lo
	global_load_dword v5, v[87:88], off
	global_load_dword v13, v[89:90], off
.LBB149_64:                             ;   in Loop: Header=BB149_53 Depth=1
	;; [unrolled: 14-line block ×7, first 2 shown]
	s_or_b32 exec_lo, exec_lo, s12
	s_waitcnt vmcnt(0)
	ds_bpermute_b32 v83, v2, v86
	ds_bpermute_b32 v87, v2, v86 offset:4
	ds_bpermute_b32 v88, v2, v86 offset:8
	v_mul_f32_e32 v3, v11, v3
	ds_bpermute_b32 v11, v2, v86 offset:12
	v_mul_f32_e32 v4, v12, v4
	ds_bpermute_b32 v12, v2, v86 offset:16
	s_mov_b32 s12, 0
	s_waitcnt lgkmcnt(4)
	v_fma_f32 v83, v3, v83, v82
	v_mul_f32_e32 v3, v13, v5
	ds_bpermute_b32 v5, v2, v86 offset:20
	s_waitcnt lgkmcnt(4)
	v_fmac_f32_e32 v83, v4, v87
	v_mul_f32_e32 v4, v14, v6
	ds_bpermute_b32 v6, v2, v86 offset:24
	s_waitcnt lgkmcnt(4)
	v_fmac_f32_e32 v83, v3, v88
	v_mul_f32_e32 v3, v15, v7
	v_mul_f32_e32 v7, v16, v8
	s_waitcnt lgkmcnt(3)
	v_fmac_f32_e32 v83, v4, v11
	ds_bpermute_b32 v4, v2, v86 offset:28
	s_waitcnt lgkmcnt(3)
	v_fmac_f32_e32 v83, v3, v12
	v_mul_f32_e32 v3, v17, v9
	s_waitcnt lgkmcnt(2)
	v_fmac_f32_e32 v83, v7, v5
	s_waitcnt lgkmcnt(1)
	v_fmac_f32_e32 v83, v3, v6
	v_mul_f32_e32 v3, v18, v10
	s_waitcnt lgkmcnt(0)
	v_fmac_f32_e32 v83, v3, v4
.LBB149_75:                             ;   in Loop: Header=BB149_53 Depth=1
	s_and_b32 vcc_lo, exec_lo, s12
	s_cbranch_vccz .LBB149_81
; %bb.76:                               ;   in Loop: Header=BB149_53 Depth=1
	s_load_dword s12, s[0:1], 0x0
	v_mov_b32_e32 v5, 0
	s_waitcnt lgkmcnt(0)
	s_cmp_lt_u32 s6, s12
	s_cselect_b32 s12, 12, 18
	s_add_u32 s12, s0, s12
	s_addc_u32 s13, s1, 0
	global_load_ushort v3, v2, s[12:13]
	s_mov_b32 s12, exec_lo
	s_waitcnt vmcnt(0)
	v_mad_u32_u24 v3, v1, v3, v0
	v_and_b32_e32 v3, 31, v3
	v_cmpx_gt_u32_e32 8, v3
	s_cbranch_execz .LBB149_80
; %bb.77:                               ;   in Loop: Header=BB149_53 Depth=1
	v_add_co_u32 v3, vcc_lo, v84, v3
	v_add_co_ci_u32_e64 v4, null, 0, v85, vcc_lo
	v_mov_b32_e32 v5, 0
	v_add_co_u32 v3, vcc_lo, 0xffffff81, v3
	v_add_co_ci_u32_e64 v4, null, -1, v4, vcc_lo
	s_mov_b32 s13, exec_lo
	v_cmpx_gt_i64_e64 s[8:9], v[3:4]
	s_cbranch_execz .LBB149_79
; %bb.78:                               ;   in Loop: Header=BB149_53 Depth=1
	v_lshlrev_b64 v[3:4], 2, v[3:4]
	v_add_co_u32 v3, vcc_lo, s2, v3
	v_add_co_ci_u32_e64 v4, null, s3, v4, vcc_lo
	global_load_dword v5, v[3:4], off
.LBB149_79:                             ;   in Loop: Header=BB149_53 Depth=1
	s_or_b32 exec_lo, exec_lo, s13
.LBB149_80:                             ;   in Loop: Header=BB149_53 Depth=1
	s_or_b32 exec_lo, exec_lo, s12
	v_add_co_u32 v3, vcc_lo, v50, v47
	v_add_co_ci_u32_e64 v4, null, v51, v48, vcc_lo
	v_add_co_u32 v6, vcc_lo, v52, v47
	v_add_co_ci_u32_e64 v7, null, v53, v48, vcc_lo
	;; [unrolled: 2-line block ×4, first 2 shown]
	global_load_dword v14, v[3:4], off
	global_load_dword v15, v[6:7], off
	;; [unrolled: 1-line block ×4, first 2 shown]
	v_add_co_u32 v3, vcc_lo, v21, v47
	v_add_co_ci_u32_e64 v4, null, v22, v48, vcc_lo
	v_add_co_u32 v6, vcc_lo, v35, v47
	v_add_co_ci_u32_e64 v7, null, v36, v48, vcc_lo
	;; [unrolled: 2-line block ×5, first 2 shown]
	global_load_dword v18, v[3:4], off
	global_load_dword v83, v[6:7], off
	;; [unrolled: 1-line block ×5, first 2 shown]
	v_add_co_u32 v3, vcc_lo, v39, v47
	v_add_co_ci_u32_e64 v4, null, v40, v48, vcc_lo
	v_add_co_u32 v6, vcc_lo, v27, v47
	v_add_co_ci_u32_e64 v7, null, v28, v48, vcc_lo
	;; [unrolled: 2-line block ×5, first 2 shown]
	global_load_dword v87, v[3:4], off
	global_load_dword v88, v[6:7], off
	global_load_dword v8, v[8:9], off
	global_load_dword v9, v[10:11], off
	global_load_dword v10, v[12:13], off
	v_add_co_u32 v3, vcc_lo, v31, v47
	v_add_co_ci_u32_e64 v4, null, v32, v48, vcc_lo
	v_add_co_u32 v6, vcc_lo, v45, v47
	v_add_co_ci_u32_e64 v7, null, v46, v48, vcc_lo
	global_load_dword v3, v[3:4], off
	global_load_dword v4, v[6:7], off
	s_waitcnt vmcnt(16)
	ds_bpermute_b32 v6, v2, v5
	ds_bpermute_b32 v7, v2, v5 offset:4
	ds_bpermute_b32 v11, v2, v5 offset:8
	;; [unrolled: 1-line block ×3, first 2 shown]
	s_waitcnt vmcnt(14)
	v_mul_f32_e32 v13, v14, v15
	ds_bpermute_b32 v14, v2, v5 offset:16
	s_waitcnt vmcnt(12)
	v_mul_f32_e32 v15, v16, v17
	s_waitcnt lgkmcnt(4)
	v_fmac_f32_e32 v82, v13, v6
	ds_bpermute_b32 v6, v2, v5 offset:20
	s_waitcnt lgkmcnt(4)
	v_fmac_f32_e32 v82, v15, v7
	ds_bpermute_b32 v7, v2, v5 offset:24
	ds_bpermute_b32 v5, v2, v5 offset:28
	s_waitcnt vmcnt(10)
	v_mul_f32_e32 v13, v18, v83
	s_waitcnt vmcnt(8)
	v_mul_f32_e32 v15, v84, v85
	s_waitcnt lgkmcnt(5)
	v_fmac_f32_e32 v82, v13, v11
	s_waitcnt lgkmcnt(4)
	v_fmac_f32_e32 v82, v15, v12
	s_waitcnt vmcnt(6)
	v_mul_f32_e32 v11, v86, v87
	s_waitcnt vmcnt(4)
	v_mul_f32_e32 v8, v88, v8
	;; [unrolled: 2-line block ×3, first 2 shown]
	s_waitcnt lgkmcnt(3)
	v_fmac_f32_e32 v82, v11, v14
	s_waitcnt lgkmcnt(2)
	v_fmac_f32_e32 v82, v8, v6
	;; [unrolled: 2-line block ×3, first 2 shown]
	s_waitcnt vmcnt(0)
	v_mul_f32_e32 v3, v3, v4
	s_waitcnt lgkmcnt(0)
	v_fmac_f32_e32 v82, v3, v5
	v_mov_b32_e32 v83, v82
.LBB149_81:                             ;   in Loop: Header=BB149_53 Depth=1
	v_add_co_u32 v50, vcc_lo, v50, s18
	v_add_co_ci_u32_e64 v51, null, s19, v51, vcc_lo
	v_add_co_u32 v52, vcc_lo, v52, s18
	v_add_co_ci_u32_e64 v53, null, s19, v53, vcc_lo
	;; [unrolled: 2-line block ×26, first 2 shown]
	v_add_co_u32 v74, vcc_lo, v74, s18
	s_add_u32 s16, s16, s7
	v_add_co_ci_u32_e64 v75, null, s19, v75, vcc_lo
	v_add_co_u32 v76, vcc_lo, v76, s18
	s_addc_u32 s17, s17, 0
	v_add_co_ci_u32_e64 v77, null, s19, v77, vcc_lo
	v_add_co_u32 v78, vcc_lo, v78, s18
	v_cmp_ge_i64_e64 s12, s[16:17], s[8:9]
	v_add_co_ci_u32_e64 v79, null, s19, v79, vcc_lo
	v_add_co_u32 v80, vcc_lo, v80, s18
	v_add_co_ci_u32_e64 v81, null, s19, v81, vcc_lo
	s_add_u32 s20, s20, s7
	s_addc_u32 s21, s21, 0
	s_and_b32 vcc_lo, exec_lo, s12
	s_cbranch_vccnz .LBB149_83
; %bb.82:                               ;   in Loop: Header=BB149_53 Depth=1
	v_mov_b32_e32 v82, v83
	s_branch .LBB149_53
.LBB149_83:
	v_mad_u32_u24 v2, 0x41, v1, v0
	s_mov_b32 s0, exec_lo
	v_lshl_add_u32 v3, v2, 2, 0
	v_sub_nc_u32_e32 v4, v2, v1
	v_mov_b32_e32 v1, 0
	ds_write_b32 v3, v83
	ds_write_b32 v3, v1 offset:4160
	s_waitcnt lgkmcnt(0)
	s_barrier
	buffer_gl0_inv
	v_cmpx_gt_u32_e32 0x800, v4
	s_cbranch_execz .LBB149_93
; %bb.84:
	s_load_dwordx2 s[2:3], s[4:5], 0x30
	v_and_b32_e32 v1, 31, v0
	v_lshrrev_b32_e32 v3, 5, v4
	v_cmp_gt_u32_e32 vcc_lo, 16, v1
	v_mul_u32_u24_e32 v5, 0x41, v1
                                        ; implicit-def: $vgpr1
	s_and_saveexec_b32 s0, vcc_lo
	s_cbranch_execz .LBB149_86
; %bb.85:
	v_lshlrev_b32_e32 v1, 2, v3
	v_lshlrev_b32_e32 v2, 2, v5
	v_add3_u32 v1, 0, v1, v2
	ds_read_b32 v1, v1
.LBB149_86:
	s_or_b32 exec_lo, exec_lo, s0
	v_mbcnt_lo_u32_b32 v2, -1, 0
	s_mov_b32 s7, 0
	s_lshl_b64 s[4:5], s[6:7], 6
	s_waitcnt lgkmcnt(0)
	s_cmp_eq_u64 s[2:3], 0
	v_xor_b32_e32 v6, 8, v2
	v_xor_b32_e32 v7, 4, v2
	;; [unrolled: 1-line block ×3, first 2 shown]
	s_cselect_b32 s6, -1, 0
	v_cmp_gt_i32_e64 s0, 32, v6
	v_cndmask_b32_e64 v6, v2, v6, s0
	v_cmp_gt_i32_e64 s0, 32, v7
	v_lshlrev_b32_e32 v6, 2, v6
	v_cndmask_b32_e64 v7, v2, v7, s0
	ds_bpermute_b32 v8, v6, v1
	v_lshlrev_b32_e32 v7, 2, v7
	s_waitcnt lgkmcnt(0)
	v_add_f32_e32 v1, v1, v8
	v_xor_b32_e32 v8, 2, v2
	ds_bpermute_b32 v9, v7, v1
	v_cmp_gt_i32_e64 s0, 32, v8
	v_cndmask_b32_e64 v8, v2, v8, s0
	v_cmp_gt_i32_e64 s0, 32, v10
	v_lshlrev_b32_e32 v8, 2, v8
	v_cndmask_b32_e64 v2, v2, v10, s0
	v_cmp_ne_u32_e64 s0, 0, v0
	s_waitcnt lgkmcnt(0)
	v_add_f32_e32 v1, v1, v9
	ds_bpermute_b32 v9, v8, v1
	s_waitcnt lgkmcnt(0)
	v_add_f32_e32 v10, v1, v9
	v_lshlrev_b32_e32 v9, 2, v2
	v_or_b32_e32 v1, s4, v3
	v_mov_b32_e32 v2, s5
	ds_bpermute_b32 v11, v9, v10
	v_cmp_le_i64_e64 s1, s[10:11], v[1:2]
	s_or_b32 s1, s0, s1
	s_nor_b32 s1, s6, s1
	s_waitcnt lgkmcnt(0)
	v_add_f32_e32 v0, v10, v11
	s_and_saveexec_b32 s7, s1
	s_cbranch_execz .LBB149_88
; %bb.87:
	v_lshlrev_b64 v[1:2], 2, v[1:2]
	v_add_co_u32 v1, s1, s2, v1
	v_add_co_ci_u32_e64 v2, null, s3, v2, s1
	global_store_dword v[1:2], v0, off
.LBB149_88:
	s_or_b32 exec_lo, exec_lo, s7
	v_cmp_gt_u32_e64 s1, 0x400, v4
	s_and_b32 exec_lo, exec_lo, s1
	s_cbranch_execz .LBB149_93
; %bb.89:
	s_and_saveexec_b32 s1, vcc_lo
	s_cbranch_execz .LBB149_91
; %bb.90:
	v_lshlrev_b32_e32 v0, 2, v3
	v_lshlrev_b32_e32 v1, 2, v5
	v_add3_u32 v0, 0, v0, v1
	ds_read_b32 v0, v0 offset:128
.LBB149_91:
	s_or_b32 exec_lo, exec_lo, s1
	s_waitcnt lgkmcnt(0)
	ds_bpermute_b32 v1, v6, v0
	v_add_nc_u32_e32 v2, 32, v3
	v_mov_b32_e32 v5, s5
	v_or_b32_e32 v4, s4, v2
	v_cmp_le_i64_e32 vcc_lo, s[10:11], v[4:5]
	s_or_b32 s0, s0, vcc_lo
	s_nor_b32 s0, s6, s0
	s_waitcnt lgkmcnt(0)
	v_add_f32_e32 v0, v0, v1
	ds_bpermute_b32 v1, v7, v0
	s_waitcnt lgkmcnt(0)
	v_add_f32_e32 v0, v0, v1
	ds_bpermute_b32 v1, v8, v0
	;; [unrolled: 3-line block ×3, first 2 shown]
	s_and_saveexec_b32 s1, s0
	s_xor_b32 s1, exec_lo, s1
	s_cbranch_execz .LBB149_93
; %bb.92:
	v_add_co_u32 v2, s0, s4, v3
	v_add_co_ci_u32_e64 v3, null, s5, 0, s0
	s_waitcnt lgkmcnt(0)
	v_add_f32_e32 v4, v0, v1
	v_lshlrev_b64 v[2:3], 2, v[2:3]
	v_add_co_u32 v0, vcc_lo, s2, v2
	v_add_co_ci_u32_e64 v1, null, s3, v3, vcc_lo
	global_store_dword v[0:1], v4, off offset:128
.LBB149_93:
	s_endpgm
	.section	.rodata,"a",@progbits
	.p2align	6, 0x0
	.amdhsa_kernel _ZN2at6native12_GLOBAL__N_135GammaBetaBackwardCUDAKernelTemplateIffLj64ELj16ELj128ELb0ELb0ELb1EEEvllPKT_S5_PKT0_S8_PS3_S9_
		.amdhsa_group_segment_fixed_size 0
		.amdhsa_private_segment_fixed_size 0
		.amdhsa_kernarg_size 320
		.amdhsa_user_sgpr_count 6
		.amdhsa_user_sgpr_private_segment_buffer 1
		.amdhsa_user_sgpr_dispatch_ptr 0
		.amdhsa_user_sgpr_queue_ptr 0
		.amdhsa_user_sgpr_kernarg_segment_ptr 1
		.amdhsa_user_sgpr_dispatch_id 0
		.amdhsa_user_sgpr_flat_scratch_init 0
		.amdhsa_user_sgpr_private_segment_size 0
		.amdhsa_wavefront_size32 1
		.amdhsa_uses_dynamic_stack 0
		.amdhsa_system_sgpr_private_segment_wavefront_offset 0
		.amdhsa_system_sgpr_workgroup_id_x 1
		.amdhsa_system_sgpr_workgroup_id_y 1
		.amdhsa_system_sgpr_workgroup_id_z 0
		.amdhsa_system_sgpr_workgroup_info 0
		.amdhsa_system_vgpr_workitem_id 1
		.amdhsa_next_free_vgpr 91
		.amdhsa_next_free_sgpr 30
		.amdhsa_reserve_vcc 1
		.amdhsa_reserve_flat_scratch 0
		.amdhsa_float_round_mode_32 0
		.amdhsa_float_round_mode_16_64 0
		.amdhsa_float_denorm_mode_32 3
		.amdhsa_float_denorm_mode_16_64 3
		.amdhsa_dx10_clamp 1
		.amdhsa_ieee_mode 1
		.amdhsa_fp16_overflow 0
		.amdhsa_workgroup_processor_mode 1
		.amdhsa_memory_ordered 1
		.amdhsa_forward_progress 1
		.amdhsa_shared_vgpr_count 0
		.amdhsa_exception_fp_ieee_invalid_op 0
		.amdhsa_exception_fp_denorm_src 0
		.amdhsa_exception_fp_ieee_div_zero 0
		.amdhsa_exception_fp_ieee_overflow 0
		.amdhsa_exception_fp_ieee_underflow 0
		.amdhsa_exception_fp_ieee_inexact 0
		.amdhsa_exception_int_div_zero 0
	.end_amdhsa_kernel
	.section	.text._ZN2at6native12_GLOBAL__N_135GammaBetaBackwardCUDAKernelTemplateIffLj64ELj16ELj128ELb0ELb0ELb1EEEvllPKT_S5_PKT0_S8_PS3_S9_,"axG",@progbits,_ZN2at6native12_GLOBAL__N_135GammaBetaBackwardCUDAKernelTemplateIffLj64ELj16ELj128ELb0ELb0ELb1EEEvllPKT_S5_PKT0_S8_PS3_S9_,comdat
.Lfunc_end149:
	.size	_ZN2at6native12_GLOBAL__N_135GammaBetaBackwardCUDAKernelTemplateIffLj64ELj16ELj128ELb0ELb0ELb1EEEvllPKT_S5_PKT0_S8_PS3_S9_, .Lfunc_end149-_ZN2at6native12_GLOBAL__N_135GammaBetaBackwardCUDAKernelTemplateIffLj64ELj16ELj128ELb0ELb0ELb1EEEvllPKT_S5_PKT0_S8_PS3_S9_
                                        ; -- End function
	.set _ZN2at6native12_GLOBAL__N_135GammaBetaBackwardCUDAKernelTemplateIffLj64ELj16ELj128ELb0ELb0ELb1EEEvllPKT_S5_PKT0_S8_PS3_S9_.num_vgpr, 91
	.set _ZN2at6native12_GLOBAL__N_135GammaBetaBackwardCUDAKernelTemplateIffLj64ELj16ELj128ELb0ELb0ELb1EEEvllPKT_S5_PKT0_S8_PS3_S9_.num_agpr, 0
	.set _ZN2at6native12_GLOBAL__N_135GammaBetaBackwardCUDAKernelTemplateIffLj64ELj16ELj128ELb0ELb0ELb1EEEvllPKT_S5_PKT0_S8_PS3_S9_.numbered_sgpr, 30
	.set _ZN2at6native12_GLOBAL__N_135GammaBetaBackwardCUDAKernelTemplateIffLj64ELj16ELj128ELb0ELb0ELb1EEEvllPKT_S5_PKT0_S8_PS3_S9_.num_named_barrier, 0
	.set _ZN2at6native12_GLOBAL__N_135GammaBetaBackwardCUDAKernelTemplateIffLj64ELj16ELj128ELb0ELb0ELb1EEEvllPKT_S5_PKT0_S8_PS3_S9_.private_seg_size, 0
	.set _ZN2at6native12_GLOBAL__N_135GammaBetaBackwardCUDAKernelTemplateIffLj64ELj16ELj128ELb0ELb0ELb1EEEvllPKT_S5_PKT0_S8_PS3_S9_.uses_vcc, 1
	.set _ZN2at6native12_GLOBAL__N_135GammaBetaBackwardCUDAKernelTemplateIffLj64ELj16ELj128ELb0ELb0ELb1EEEvllPKT_S5_PKT0_S8_PS3_S9_.uses_flat_scratch, 0
	.set _ZN2at6native12_GLOBAL__N_135GammaBetaBackwardCUDAKernelTemplateIffLj64ELj16ELj128ELb0ELb0ELb1EEEvllPKT_S5_PKT0_S8_PS3_S9_.has_dyn_sized_stack, 0
	.set _ZN2at6native12_GLOBAL__N_135GammaBetaBackwardCUDAKernelTemplateIffLj64ELj16ELj128ELb0ELb0ELb1EEEvllPKT_S5_PKT0_S8_PS3_S9_.has_recursion, 0
	.set _ZN2at6native12_GLOBAL__N_135GammaBetaBackwardCUDAKernelTemplateIffLj64ELj16ELj128ELb0ELb0ELb1EEEvllPKT_S5_PKT0_S8_PS3_S9_.has_indirect_call, 0
	.section	.AMDGPU.csdata,"",@progbits
; Kernel info:
; codeLenInByte = 7744
; TotalNumSgprs: 32
; NumVgprs: 91
; ScratchSize: 0
; MemoryBound: 0
; FloatMode: 240
; IeeeMode: 1
; LDSByteSize: 0 bytes/workgroup (compile time only)
; SGPRBlocks: 0
; VGPRBlocks: 11
; NumSGPRsForWavesPerEU: 32
; NumVGPRsForWavesPerEU: 91
; Occupancy: 10
; WaveLimiterHint : 0
; COMPUTE_PGM_RSRC2:SCRATCH_EN: 0
; COMPUTE_PGM_RSRC2:USER_SGPR: 6
; COMPUTE_PGM_RSRC2:TRAP_HANDLER: 0
; COMPUTE_PGM_RSRC2:TGID_X_EN: 1
; COMPUTE_PGM_RSRC2:TGID_Y_EN: 1
; COMPUTE_PGM_RSRC2:TGID_Z_EN: 0
; COMPUTE_PGM_RSRC2:TIDIG_COMP_CNT: 1
	.section	.text._ZN2at6native12_GLOBAL__N_135GammaBetaBackwardCUDAKernelTemplateIffLj64ELj16ELj256ELb0ELb1ELb1EEEvllPKT_S5_PKT0_S8_PS3_S9_,"axG",@progbits,_ZN2at6native12_GLOBAL__N_135GammaBetaBackwardCUDAKernelTemplateIffLj64ELj16ELj256ELb0ELb1ELb1EEEvllPKT_S5_PKT0_S8_PS3_S9_,comdat
	.globl	_ZN2at6native12_GLOBAL__N_135GammaBetaBackwardCUDAKernelTemplateIffLj64ELj16ELj256ELb0ELb1ELb1EEEvllPKT_S5_PKT0_S8_PS3_S9_ ; -- Begin function _ZN2at6native12_GLOBAL__N_135GammaBetaBackwardCUDAKernelTemplateIffLj64ELj16ELj256ELb0ELb1ELb1EEEvllPKT_S5_PKT0_S8_PS3_S9_
	.p2align	8
	.type	_ZN2at6native12_GLOBAL__N_135GammaBetaBackwardCUDAKernelTemplateIffLj64ELj16ELj256ELb0ELb1ELb1EEEvllPKT_S5_PKT0_S8_PS3_S9_,@function
_ZN2at6native12_GLOBAL__N_135GammaBetaBackwardCUDAKernelTemplateIffLj64ELj16ELj256ELb0ELb1ELb1EEEvllPKT_S5_PKT0_S8_PS3_S9_: ; @_ZN2at6native12_GLOBAL__N_135GammaBetaBackwardCUDAKernelTemplateIffLj64ELj16ELj256ELb0ELb1ELb1EEEvllPKT_S5_PKT0_S8_PS3_S9_
; %bb.0:
	s_load_dwordx4 s[8:11], s[4:5], 0x0
	s_lshl_b32 s16, s7, 8
	s_mov_b32 s17, 0
	s_waitcnt lgkmcnt(0)
	v_cmp_gt_i64_e64 s0, s[8:9], s[16:17]
	s_and_b32 vcc_lo, exec_lo, s0
	s_cbranch_vccnz .LBB150_2
; %bb.1:
	s_mov_b32 s0, s17
	s_load_dwordx2 s[2:3], s[4:5], 0x30
	v_mov_b32_e32 v2, 0
	s_andn2_b32 vcc_lo, exec_lo, s0
	s_cbranch_vccz .LBB150_3
	s_branch .LBB150_9
.LBB150_2:
	s_load_dwordx2 s[2:3], s[4:5], 0x30
	v_mov_b32_e32 v2, 0
.LBB150_3:
	s_clause 0x3
	s_load_dword s0, s[4:5], 0x4c
	s_load_dword s1, s[4:5], 0x44
	s_load_dwordx4 s[12:15], s[4:5], 0x10
	s_load_dwordx2 s[18:19], s[4:5], 0x28
	v_lshlrev_b32_e32 v4, 4, v1
	v_mov_b32_e32 v3, 0
	v_lshl_add_u32 v2, s6, 6, v0
	v_mov_b32_e32 v8, 16
	v_mov_b32_e32 v9, 4
	;; [unrolled: 1-line block ×4, first 2 shown]
	v_lshlrev_b64 v[27:28], 2, v[2:3]
	v_mov_b32_e32 v12, 20
	v_mov_b32_e32 v13, 24
	;; [unrolled: 1-line block ×8, first 2 shown]
	s_waitcnt lgkmcnt(0)
	s_and_b32 s0, s0, 0xffff
	s_lshl_b32 s4, s1, 8
	v_mad_u32_u24 v5, v1, s0, v0
	v_add_co_u32 v4, s0, v4, s16
	v_add_co_ci_u32_e64 v19, null, 0, 0, s0
	v_and_b32_e32 v5, 31, v5
	v_mul_lo_u32 v21, s11, v4
	v_mad_u64_u32 v[6:7], null, s10, v4, 0
	v_mul_lo_u32 v22, s10, v19
	v_add_co_u32 v4, vcc_lo, v4, v5
	v_cmp_gt_u32_e64 s0, 16, v5
	v_add_co_ci_u32_e64 v5, null, 0, v19, vcc_lo
	s_mul_i32 s1, s11, s4
	s_mul_hi_u32 s7, s10, s4
	v_add3_u32 v7, v7, v22, v21
	v_lshlrev_b64 v[23:24], 2, v[4:5]
	v_mov_b32_e32 v19, 48
	v_mov_b32_e32 v21, 56
	;; [unrolled: 1-line block ×3, first 2 shown]
	v_lshlrev_b64 v[25:26], 2, v[6:7]
	v_mov_b32_e32 v2, 0
	v_add_co_u32 v6, vcc_lo, s18, v23
	v_add_co_ci_u32_e64 v7, null, s19, v24, vcc_lo
	v_add_co_u32 v23, vcc_lo, v25, v27
	v_add_co_ci_u32_e64 v24, null, v26, v28, vcc_lo
	s_mov_b32 s5, 0
	s_add_i32 s21, s7, s1
	s_mul_i32 s20, s10, s4
	s_lshl_b64 s[18:19], s[4:5], 2
	s_lshl_b64 s[20:21], s[20:21], 2
	;; [unrolled: 1-line block ×3, first 2 shown]
	s_branch .LBB150_6
.LBB150_4:                              ;   in Loop: Header=BB150_6 Depth=1
	s_or_b32 exec_lo, exec_lo, s5
.LBB150_5:                              ;   in Loop: Header=BB150_6 Depth=1
	s_or_b32 exec_lo, exec_lo, s1
	v_add_co_u32 v26, vcc_lo, s12, v23
	v_add_co_ci_u32_e64 v27, null, s13, v24, vcc_lo
	v_add_co_u32 v28, vcc_lo, s14, v23
	v_add_co_ci_u32_e64 v29, null, s15, v24, vcc_lo
	;; [unrolled: 2-line block ×4, first 2 shown]
	global_load_dword v36, v[26:27], off
	global_load_dword v37, v[28:29], off
	global_load_dword v38, v[30:31], off
	global_load_dword v39, v[32:33], off
	v_add_co_u32 v26, vcc_lo, v30, s10
	v_add_co_ci_u32_e64 v27, null, s11, v31, vcc_lo
	v_add_co_u32 v28, vcc_lo, v32, s10
	v_add_co_ci_u32_e64 v29, null, s11, v33, vcc_lo
	v_add_co_u32 v30, vcc_lo, v26, s10
	v_add_co_ci_u32_e64 v31, null, s11, v27, vcc_lo
	v_add_co_u32 v32, vcc_lo, v28, s10
	v_add_co_ci_u32_e64 v33, null, s11, v29, vcc_lo
	v_add_co_u32 v34, vcc_lo, v30, s10
	v_add_co_ci_u32_e64 v35, null, s11, v31, vcc_lo
	global_load_dword v40, v[26:27], off
	global_load_dword v41, v[28:29], off
	global_load_dword v42, v[30:31], off
	global_load_dword v43, v[32:33], off
	global_load_dword v44, v[34:35], off
	v_add_co_u32 v26, vcc_lo, v32, s10
	v_add_co_ci_u32_e64 v27, null, s11, v33, vcc_lo
	v_add_co_u32 v28, vcc_lo, v34, s10
	v_add_co_ci_u32_e64 v29, null, s11, v35, vcc_lo
	v_add_co_u32 v30, vcc_lo, v26, s10
	v_add_co_ci_u32_e64 v31, null, s11, v27, vcc_lo
	v_add_co_u32 v32, vcc_lo, v28, s10
	v_add_co_ci_u32_e64 v33, null, s11, v29, vcc_lo
	v_add_co_u32 v34, vcc_lo, v30, s10
	v_add_co_ci_u32_e64 v35, null, s11, v31, vcc_lo
	global_load_dword v45, v[26:27], off
	;; [unrolled: 15-line block ×5, first 2 shown]
	global_load_dword v61, v[28:29], off
	global_load_dword v62, v[30:31], off
	;; [unrolled: 1-line block ×4, first 2 shown]
	v_add_co_u32 v26, vcc_lo, v32, s10
	v_add_co_ci_u32_e64 v27, null, s11, v33, vcc_lo
	v_add_co_u32 v28, vcc_lo, v34, s10
	v_add_co_ci_u32_e64 v29, null, s11, v35, vcc_lo
	;; [unrolled: 2-line block ×3, first 2 shown]
	global_load_dword v26, v[26:27], off
	global_load_dword v27, v[28:29], off
	;; [unrolled: 1-line block ×3, first 2 shown]
	s_waitcnt vmcnt(32)
	ds_bpermute_b32 v29, v3, v25
	ds_bpermute_b32 v30, v9, v25
	;; [unrolled: 1-line block ×4, first 2 shown]
	s_add_u32 s16, s16, s4
	v_add_co_u32 v6, vcc_lo, v6, s18
	s_addc_u32 s17, s17, 0
	v_add_co_ci_u32_e64 v7, null, s19, v7, vcc_lo
	v_add_co_u32 v4, vcc_lo, v4, s4
	v_cmp_lt_i64_e64 s1, s[16:17], s[8:9]
	v_add_co_ci_u32_e64 v5, null, 0, v5, vcc_lo
	v_add_co_u32 v23, vcc_lo, v23, s20
	v_add_co_ci_u32_e64 v24, null, s21, v24, vcc_lo
	s_and_b32 vcc_lo, exec_lo, s1
	s_waitcnt vmcnt(30)
	v_mul_f32_e32 v32, v36, v37
	s_waitcnt lgkmcnt(3)
	v_fmac_f32_e32 v2, v32, v29
	s_waitcnt vmcnt(28)
	v_mul_f32_e32 v29, v38, v39
	ds_bpermute_b32 v32, v8, v25
	s_waitcnt lgkmcnt(3)
	v_fmac_f32_e32 v2, v29, v30
	ds_bpermute_b32 v30, v12, v25
	s_waitcnt vmcnt(26)
	v_mul_f32_e32 v29, v40, v41
	s_waitcnt lgkmcnt(3)
	v_fmac_f32_e32 v2, v29, v31
	s_waitcnt vmcnt(24)
	v_mul_f32_e32 v29, v42, v43
	ds_bpermute_b32 v31, v13, v25
	s_waitcnt lgkmcnt(3)
	v_fmac_f32_e32 v2, v29, v33
	ds_bpermute_b32 v33, v14, v25
	s_waitcnt vmcnt(22)
	v_mul_f32_e32 v29, v44, v45
	s_waitcnt lgkmcnt(3)
	v_fmac_f32_e32 v2, v29, v32
	s_waitcnt vmcnt(20)
	v_mul_f32_e32 v29, v46, v47
	ds_bpermute_b32 v32, v15, v25
	s_waitcnt lgkmcnt(3)
	v_fmac_f32_e32 v2, v29, v30
	s_waitcnt vmcnt(18)
	v_mul_f32_e32 v29, v48, v49
	ds_bpermute_b32 v30, v16, v25
	s_waitcnt lgkmcnt(3)
	v_fmac_f32_e32 v2, v29, v31
	ds_bpermute_b32 v31, v17, v25
	s_waitcnt vmcnt(16)
	v_mul_f32_e32 v29, v50, v51
	s_waitcnt lgkmcnt(3)
	v_fmac_f32_e32 v2, v29, v33
	s_waitcnt vmcnt(14)
	v_mul_f32_e32 v29, v52, v53
	ds_bpermute_b32 v33, v18, v25
	s_waitcnt lgkmcnt(3)
	v_fmac_f32_e32 v2, v29, v32
	ds_bpermute_b32 v32, v19, v25
	s_waitcnt vmcnt(12)
	v_mul_f32_e32 v29, v54, v55
	s_waitcnt lgkmcnt(3)
	v_fmac_f32_e32 v2, v29, v30
	s_waitcnt vmcnt(10)
	v_mul_f32_e32 v29, v56, v57
	ds_bpermute_b32 v30, v20, v25
	s_waitcnt lgkmcnt(3)
	v_fmac_f32_e32 v2, v29, v31
	s_waitcnt vmcnt(8)
	v_mul_f32_e32 v29, v58, v59
	ds_bpermute_b32 v31, v21, v25
	ds_bpermute_b32 v25, v22, v25
	s_waitcnt lgkmcnt(4)
	v_fmac_f32_e32 v2, v29, v33
	s_waitcnt vmcnt(6)
	v_mul_f32_e32 v29, v60, v61
	s_waitcnt lgkmcnt(3)
	v_fmac_f32_e32 v2, v29, v32
	s_waitcnt vmcnt(4)
	v_mul_f32_e32 v29, v62, v63
	s_waitcnt lgkmcnt(2)
	v_fmac_f32_e32 v2, v29, v30
	s_waitcnt vmcnt(2)
	v_mul_f32_e32 v26, v64, v26
	s_waitcnt lgkmcnt(1)
	v_fmac_f32_e32 v2, v26, v31
	s_waitcnt vmcnt(0)
	v_mul_f32_e32 v26, v27, v28
	s_waitcnt lgkmcnt(0)
	v_fmac_f32_e32 v2, v26, v25
	s_cbranch_vccz .LBB150_9
.LBB150_6:                              ; =>This Inner Loop Header: Depth=1
	v_mov_b32_e32 v25, 0
	s_and_saveexec_b32 s1, s0
	s_cbranch_execz .LBB150_5
; %bb.7:                                ;   in Loop: Header=BB150_6 Depth=1
	v_mov_b32_e32 v25, 0
	s_mov_b32 s5, exec_lo
	v_cmpx_gt_i64_e64 s[8:9], v[4:5]
	s_cbranch_execz .LBB150_4
; %bb.8:                                ;   in Loop: Header=BB150_6 Depth=1
	global_load_dword v25, v[6:7], off
	s_branch .LBB150_4
.LBB150_9:
	v_mad_u32_u24 v3, 0x41, v1, v0
	s_mov_b32 s0, exec_lo
	v_lshl_add_u32 v4, v3, 2, 0
	v_sub_nc_u32_e32 v3, v3, v1
	v_mov_b32_e32 v1, 0
	ds_write_b32 v4, v2
	ds_write_b32 v4, v1 offset:4160
	s_waitcnt lgkmcnt(0)
	s_barrier
	buffer_gl0_inv
	v_cmpx_gt_u32_e32 0x800, v3
	s_cbranch_execz .LBB150_19
; %bb.10:
	v_and_b32_e32 v1, 31, v0
	v_lshrrev_b32_e32 v4, 5, v3
                                        ; implicit-def: $vgpr6
	v_cmp_gt_u32_e32 vcc_lo, 16, v1
	v_mul_u32_u24_e32 v2, 0x41, v1
	v_lshlrev_b32_e32 v1, 2, v4
	s_and_saveexec_b32 s0, vcc_lo
; %bb.11:
	v_lshlrev_b32_e32 v4, 2, v2
	v_add3_u32 v4, 0, v1, v4
	ds_read_b32 v6, v4
; %bb.12:
	s_or_b32 exec_lo, exec_lo, s0
	v_mbcnt_lo_u32_b32 v7, -1, 0
	s_cmp_lg_u64 s[2:3], 0
	s_mov_b32 s7, 0
	s_cselect_b32 s1, -1, 0
	s_lshl_b64 s[4:5], s[6:7], 8
	v_xor_b32_e32 v4, 8, v7
	v_xor_b32_e32 v5, 4, v7
	;; [unrolled: 1-line block ×3, first 2 shown]
	v_cmp_gt_i32_e64 s0, 32, v4
	v_cndmask_b32_e64 v4, v7, v4, s0
	v_cmp_gt_i32_e64 s0, 32, v5
	v_lshlrev_b32_e32 v4, 2, v4
	v_cndmask_b32_e64 v5, v7, v5, s0
	s_waitcnt lgkmcnt(0)
	ds_bpermute_b32 v8, v4, v6
	v_lshlrev_b32_e32 v5, 2, v5
	s_waitcnt lgkmcnt(0)
	v_add_f32_e32 v8, v6, v8
	v_xor_b32_e32 v6, 2, v7
	ds_bpermute_b32 v9, v5, v8
	v_cmp_gt_i32_e64 s0, 32, v6
	v_cndmask_b32_e64 v6, v7, v6, s0
	v_cmp_gt_i32_e64 s0, 32, v10
	v_lshlrev_b32_e32 v6, 2, v6
	v_cndmask_b32_e64 v7, v7, v10, s0
	v_cmp_eq_u32_e64 s0, 0, v0
	v_lshlrev_b32_e32 v7, 2, v7
	s_and_b32 s1, s0, s1
	s_add_u32 s2, s2, s4
	s_waitcnt lgkmcnt(0)
	v_add_f32_e32 v8, v8, v9
	s_addc_u32 s3, s3, s5
	ds_bpermute_b32 v9, v6, v8
	s_waitcnt lgkmcnt(0)
	v_add_f32_e32 v8, v8, v9
	ds_bpermute_b32 v9, v7, v8
	s_waitcnt lgkmcnt(0)
	v_add_f32_e32 v0, v8, v9
	s_and_saveexec_b32 s0, s1
	s_cbranch_execz .LBB150_14
; %bb.13:
	global_store_dword v1, v0, s[2:3]
.LBB150_14:
	s_or_b32 exec_lo, exec_lo, s0
	v_cmp_gt_u32_e64 s0, 0x400, v3
	s_and_b32 exec_lo, exec_lo, s0
	s_cbranch_execz .LBB150_19
; %bb.15:
	s_and_saveexec_b32 s0, vcc_lo
; %bb.16:
	v_lshlrev_b32_e32 v0, 2, v2
	v_add3_u32 v0, 0, v1, v0
	ds_read_b32 v0, v0 offset:128
; %bb.17:
	s_or_b32 exec_lo, exec_lo, s0
	s_waitcnt lgkmcnt(0)
	ds_bpermute_b32 v2, v4, v0
	s_waitcnt lgkmcnt(0)
	v_add_f32_e32 v0, v0, v2
	ds_bpermute_b32 v2, v5, v0
	s_waitcnt lgkmcnt(0)
	v_add_f32_e32 v0, v0, v2
	ds_bpermute_b32 v2, v6, v0
	s_waitcnt lgkmcnt(0)
	v_add_f32_e32 v0, v0, v2
	ds_bpermute_b32 v2, v7, v0
	s_and_saveexec_b32 s0, s1
	s_xor_b32 s0, exec_lo, s0
	s_cbranch_execz .LBB150_19
; %bb.18:
	s_waitcnt lgkmcnt(0)
	v_add_f32_e32 v0, v0, v2
	global_store_dword v1, v0, s[2:3] offset:128
.LBB150_19:
	s_endpgm
	.section	.rodata,"a",@progbits
	.p2align	6, 0x0
	.amdhsa_kernel _ZN2at6native12_GLOBAL__N_135GammaBetaBackwardCUDAKernelTemplateIffLj64ELj16ELj256ELb0ELb1ELb1EEEvllPKT_S5_PKT0_S8_PS3_S9_
		.amdhsa_group_segment_fixed_size 0
		.amdhsa_private_segment_fixed_size 0
		.amdhsa_kernarg_size 320
		.amdhsa_user_sgpr_count 6
		.amdhsa_user_sgpr_private_segment_buffer 1
		.amdhsa_user_sgpr_dispatch_ptr 0
		.amdhsa_user_sgpr_queue_ptr 0
		.amdhsa_user_sgpr_kernarg_segment_ptr 1
		.amdhsa_user_sgpr_dispatch_id 0
		.amdhsa_user_sgpr_flat_scratch_init 0
		.amdhsa_user_sgpr_private_segment_size 0
		.amdhsa_wavefront_size32 1
		.amdhsa_uses_dynamic_stack 0
		.amdhsa_system_sgpr_private_segment_wavefront_offset 0
		.amdhsa_system_sgpr_workgroup_id_x 1
		.amdhsa_system_sgpr_workgroup_id_y 1
		.amdhsa_system_sgpr_workgroup_id_z 0
		.amdhsa_system_sgpr_workgroup_info 0
		.amdhsa_system_vgpr_workitem_id 1
		.amdhsa_next_free_vgpr 65
		.amdhsa_next_free_sgpr 22
		.amdhsa_reserve_vcc 1
		.amdhsa_reserve_flat_scratch 0
		.amdhsa_float_round_mode_32 0
		.amdhsa_float_round_mode_16_64 0
		.amdhsa_float_denorm_mode_32 3
		.amdhsa_float_denorm_mode_16_64 3
		.amdhsa_dx10_clamp 1
		.amdhsa_ieee_mode 1
		.amdhsa_fp16_overflow 0
		.amdhsa_workgroup_processor_mode 1
		.amdhsa_memory_ordered 1
		.amdhsa_forward_progress 1
		.amdhsa_shared_vgpr_count 0
		.amdhsa_exception_fp_ieee_invalid_op 0
		.amdhsa_exception_fp_denorm_src 0
		.amdhsa_exception_fp_ieee_div_zero 0
		.amdhsa_exception_fp_ieee_overflow 0
		.amdhsa_exception_fp_ieee_underflow 0
		.amdhsa_exception_fp_ieee_inexact 0
		.amdhsa_exception_int_div_zero 0
	.end_amdhsa_kernel
	.section	.text._ZN2at6native12_GLOBAL__N_135GammaBetaBackwardCUDAKernelTemplateIffLj64ELj16ELj256ELb0ELb1ELb1EEEvllPKT_S5_PKT0_S8_PS3_S9_,"axG",@progbits,_ZN2at6native12_GLOBAL__N_135GammaBetaBackwardCUDAKernelTemplateIffLj64ELj16ELj256ELb0ELb1ELb1EEEvllPKT_S5_PKT0_S8_PS3_S9_,comdat
.Lfunc_end150:
	.size	_ZN2at6native12_GLOBAL__N_135GammaBetaBackwardCUDAKernelTemplateIffLj64ELj16ELj256ELb0ELb1ELb1EEEvllPKT_S5_PKT0_S8_PS3_S9_, .Lfunc_end150-_ZN2at6native12_GLOBAL__N_135GammaBetaBackwardCUDAKernelTemplateIffLj64ELj16ELj256ELb0ELb1ELb1EEEvllPKT_S5_PKT0_S8_PS3_S9_
                                        ; -- End function
	.set _ZN2at6native12_GLOBAL__N_135GammaBetaBackwardCUDAKernelTemplateIffLj64ELj16ELj256ELb0ELb1ELb1EEEvllPKT_S5_PKT0_S8_PS3_S9_.num_vgpr, 65
	.set _ZN2at6native12_GLOBAL__N_135GammaBetaBackwardCUDAKernelTemplateIffLj64ELj16ELj256ELb0ELb1ELb1EEEvllPKT_S5_PKT0_S8_PS3_S9_.num_agpr, 0
	.set _ZN2at6native12_GLOBAL__N_135GammaBetaBackwardCUDAKernelTemplateIffLj64ELj16ELj256ELb0ELb1ELb1EEEvllPKT_S5_PKT0_S8_PS3_S9_.numbered_sgpr, 22
	.set _ZN2at6native12_GLOBAL__N_135GammaBetaBackwardCUDAKernelTemplateIffLj64ELj16ELj256ELb0ELb1ELb1EEEvllPKT_S5_PKT0_S8_PS3_S9_.num_named_barrier, 0
	.set _ZN2at6native12_GLOBAL__N_135GammaBetaBackwardCUDAKernelTemplateIffLj64ELj16ELj256ELb0ELb1ELb1EEEvllPKT_S5_PKT0_S8_PS3_S9_.private_seg_size, 0
	.set _ZN2at6native12_GLOBAL__N_135GammaBetaBackwardCUDAKernelTemplateIffLj64ELj16ELj256ELb0ELb1ELb1EEEvllPKT_S5_PKT0_S8_PS3_S9_.uses_vcc, 1
	.set _ZN2at6native12_GLOBAL__N_135GammaBetaBackwardCUDAKernelTemplateIffLj64ELj16ELj256ELb0ELb1ELb1EEEvllPKT_S5_PKT0_S8_PS3_S9_.uses_flat_scratch, 0
	.set _ZN2at6native12_GLOBAL__N_135GammaBetaBackwardCUDAKernelTemplateIffLj64ELj16ELj256ELb0ELb1ELb1EEEvllPKT_S5_PKT0_S8_PS3_S9_.has_dyn_sized_stack, 0
	.set _ZN2at6native12_GLOBAL__N_135GammaBetaBackwardCUDAKernelTemplateIffLj64ELj16ELj256ELb0ELb1ELb1EEEvllPKT_S5_PKT0_S8_PS3_S9_.has_recursion, 0
	.set _ZN2at6native12_GLOBAL__N_135GammaBetaBackwardCUDAKernelTemplateIffLj64ELj16ELj256ELb0ELb1ELb1EEEvllPKT_S5_PKT0_S8_PS3_S9_.has_indirect_call, 0
	.section	.AMDGPU.csdata,"",@progbits
; Kernel info:
; codeLenInByte = 2160
; TotalNumSgprs: 24
; NumVgprs: 65
; ScratchSize: 0
; MemoryBound: 0
; FloatMode: 240
; IeeeMode: 1
; LDSByteSize: 0 bytes/workgroup (compile time only)
; SGPRBlocks: 0
; VGPRBlocks: 8
; NumSGPRsForWavesPerEU: 24
; NumVGPRsForWavesPerEU: 65
; Occupancy: 12
; WaveLimiterHint : 0
; COMPUTE_PGM_RSRC2:SCRATCH_EN: 0
; COMPUTE_PGM_RSRC2:USER_SGPR: 6
; COMPUTE_PGM_RSRC2:TRAP_HANDLER: 0
; COMPUTE_PGM_RSRC2:TGID_X_EN: 1
; COMPUTE_PGM_RSRC2:TGID_Y_EN: 1
; COMPUTE_PGM_RSRC2:TGID_Z_EN: 0
; COMPUTE_PGM_RSRC2:TIDIG_COMP_CNT: 1
	.section	.text._ZN2at6native12_GLOBAL__N_135GammaBetaBackwardCUDAKernelTemplateIffLj64ELj16ELj256ELb0ELb0ELb1EEEvllPKT_S5_PKT0_S8_PS3_S9_,"axG",@progbits,_ZN2at6native12_GLOBAL__N_135GammaBetaBackwardCUDAKernelTemplateIffLj64ELj16ELj256ELb0ELb0ELb1EEEvllPKT_S5_PKT0_S8_PS3_S9_,comdat
	.globl	_ZN2at6native12_GLOBAL__N_135GammaBetaBackwardCUDAKernelTemplateIffLj64ELj16ELj256ELb0ELb0ELb1EEEvllPKT_S5_PKT0_S8_PS3_S9_ ; -- Begin function _ZN2at6native12_GLOBAL__N_135GammaBetaBackwardCUDAKernelTemplateIffLj64ELj16ELj256ELb0ELb0ELb1EEEvllPKT_S5_PKT0_S8_PS3_S9_
	.p2align	8
	.type	_ZN2at6native12_GLOBAL__N_135GammaBetaBackwardCUDAKernelTemplateIffLj64ELj16ELj256ELb0ELb0ELb1EEEvllPKT_S5_PKT0_S8_PS3_S9_,@function
_ZN2at6native12_GLOBAL__N_135GammaBetaBackwardCUDAKernelTemplateIffLj64ELj16ELj256ELb0ELb0ELb1EEEvllPKT_S5_PKT0_S8_PS3_S9_: ; @_ZN2at6native12_GLOBAL__N_135GammaBetaBackwardCUDAKernelTemplateIffLj64ELj16ELj256ELb0ELb0ELb1EEEvllPKT_S5_PKT0_S8_PS3_S9_
; %bb.0:
	s_mov_b64 s[38:39], s[2:3]
	s_mov_b64 s[36:37], s[0:1]
	s_mov_b32 s17, 0
	s_add_u32 s36, s36, s8
	s_clause 0x1
	s_load_dwordx8 s[8:15], s[4:5], 0x0
	s_load_dwordx2 s[2:3], s[4:5], 0x28
	s_addc_u32 s37, s37, 0
	s_lshl_b32 s26, s6, 6
	s_or_b32 s16, s26, 63
	s_waitcnt lgkmcnt(0)
	v_cmp_le_i64_e64 s0, s[10:11], s[16:17]
	s_lshl_b32 s16, s7, 8
	v_cmp_gt_i64_e64 s7, s[8:9], s[16:17]
	s_and_b32 vcc_lo, exec_lo, s0
	v_cndmask_b32_e64 v2, 0, 1, s7
	v_cmp_ne_u32_e64 s0, 1, v2
	s_cbranch_vccz .LBB151_81
; %bb.1:
	v_mov_b32_e32 v98, 0
	s_and_b32 vcc_lo, exec_lo, s0
	s_cbranch_vccnz .LBB151_82
; %bb.2:
	v_lshlrev_b32_e32 v109, 4, v1
	v_mov_b32_e32 v2, 0
	s_load_dword s1, s[4:5], 0x44
	v_add_nc_u32_e32 v7, s26, v0
	s_add_u32 s18, s4, 64
	v_add_co_u32 v5, s0, v109, s16
	v_add_co_ci_u32_e64 v6, null, 0, 0, s0
	v_mov_b32_e32 v8, v2
	v_mul_lo_u32 v12, s11, v5
	v_mad_u64_u32 v[3:4], null, s10, v5, 0
	v_mul_lo_u32 v9, s10, v6
	v_add_co_u32 v10, vcc_lo, v5, 15
	v_add_co_ci_u32_e64 v11, null, 0, v6, vcc_lo
	v_cmp_gt_i64_e64 s0, s[10:11], v[7:8]
	v_lshlrev_b64 v[35:36], 2, v[7:8]
	s_addc_u32 s19, s5, 0
	v_add3_u32 v4, v4, v9, v12
	v_mul_lo_u32 v12, s11, v10
	v_mul_lo_u32 v11, s10, v11
	v_mad_u64_u32 v[9:10], null, s10, v10, 0
	v_lshlrev_b64 v[7:8], 2, v[3:4]
	s_waitcnt lgkmcnt(0)
	s_lshl_b32 s27, s1, 8
	v_mov_b32_e32 v100, 0
	s_mul_i32 s1, s11, s27
	s_mul_hi_u32 s20, s10, s27
	s_mov_b64 s[24:25], s[16:17]
	v_add3_u32 v10, v10, v11, v12
	v_add_co_u32 v11, vcc_lo, v5, 14
	v_add_co_ci_u32_e64 v12, null, 0, v6, vcc_lo
	v_lshlrev_b64 v[9:10], 2, v[9:10]
	v_mul_lo_u32 v13, s11, v11
	v_add_co_u32 v110, vcc_lo, s12, v7
	v_mul_lo_u32 v14, s10, v12
	v_mad_u64_u32 v[11:12], null, s10, v11, 0
	v_add_co_ci_u32_e64 v37, null, s13, v8, vcc_lo
	v_add_co_u32 v38, vcc_lo, s14, v7
	v_add_co_ci_u32_e64 v39, null, s15, v8, vcc_lo
	v_add3_u32 v12, v12, v14, v13
	v_add_co_u32 v40, vcc_lo, s12, v9
	v_add_co_ci_u32_e64 v41, null, s13, v10, vcc_lo
	v_add_co_u32 v13, vcc_lo, v5, 13
	s_add_i32 s21, s20, s1
	v_add_co_u32 v42, s1, s14, v9
	v_lshlrev_b64 v[7:8], 2, v[11:12]
	v_add_co_ci_u32_e64 v9, null, 0, v6, vcc_lo
	v_add_co_u32 v11, vcc_lo, v5, 12
	v_add_co_ci_u32_e64 v12, null, 0, v6, vcc_lo
	v_add_co_ci_u32_e64 v43, null, s15, v10, s1
	v_mul_lo_u32 v14, s11, v13
	v_mul_lo_u32 v15, s10, v9
	v_mad_u64_u32 v[9:10], null, s10, v13, 0
	v_mul_lo_u32 v13, s11, v11
	v_mul_lo_u32 v16, s10, v12
	v_mad_u64_u32 v[11:12], null, s10, v11, 0
	v_add_co_u32 v44, vcc_lo, s12, v7
	v_add_co_ci_u32_e64 v45, null, s13, v8, vcc_lo
	v_add_co_u32 v46, vcc_lo, s14, v7
	v_add_co_ci_u32_e64 v47, null, s15, v8, vcc_lo
	v_add3_u32 v12, v12, v16, v13
	v_add_co_u32 v13, vcc_lo, v5, 11
	v_add3_u32 v10, v10, v15, v14
	v_add_co_ci_u32_e64 v14, null, 0, v6, vcc_lo
	v_mul_lo_u32 v15, s11, v13
	s_mul_i32 s20, s10, s27
	v_lshlrev_b64 v[7:8], 2, v[9:10]
	v_lshlrev_b64 v[9:10], 2, v[11:12]
	v_mul_lo_u32 v14, s10, v14
	v_mad_u64_u32 v[11:12], null, s10, v13, 0
	s_lshl_b64 s[20:21], s[20:21], 2
	v_add_co_u32 v48, vcc_lo, s12, v7
	v_add_co_ci_u32_e64 v49, null, s13, v8, vcc_lo
	v_add_co_u32 v50, vcc_lo, s14, v7
	v_add3_u32 v12, v12, v14, v15
	v_add_co_ci_u32_e64 v51, null, s15, v8, vcc_lo
	v_add_co_u32 v52, vcc_lo, s12, v9
	v_add_co_ci_u32_e64 v53, null, s13, v10, vcc_lo
	v_add_co_u32 v13, vcc_lo, v5, 10
	v_add_co_u32 v54, s1, s14, v9
	v_lshlrev_b64 v[7:8], 2, v[11:12]
	v_add_co_ci_u32_e64 v9, null, 0, v6, vcc_lo
	v_add_co_u32 v11, vcc_lo, v5, 9
	v_add_co_ci_u32_e64 v12, null, 0, v6, vcc_lo
	v_add_co_ci_u32_e64 v55, null, s15, v10, s1
	v_mul_lo_u32 v14, s11, v13
	v_mul_lo_u32 v15, s10, v9
	v_mad_u64_u32 v[9:10], null, s10, v13, 0
	v_mul_lo_u32 v13, s11, v11
	v_mul_lo_u32 v16, s10, v12
	v_mad_u64_u32 v[11:12], null, s10, v11, 0
	v_add_co_u32 v56, vcc_lo, s12, v7
	v_add_co_ci_u32_e64 v57, null, s13, v8, vcc_lo
	v_add_co_u32 v58, vcc_lo, s14, v7
	v_add3_u32 v10, v10, v15, v14
	v_add_co_ci_u32_e64 v59, null, s15, v8, vcc_lo
	v_add3_u32 v12, v12, v16, v13
	v_add_co_u32 v13, vcc_lo, v5, 8
	v_add_co_ci_u32_e64 v14, null, 0, v6, vcc_lo
	v_lshlrev_b64 v[7:8], 2, v[9:10]
	v_lshlrev_b64 v[9:10], 2, v[11:12]
	v_mul_lo_u32 v15, s11, v13
	v_mul_lo_u32 v14, s10, v14
	v_mad_u64_u32 v[11:12], null, s10, v13, 0
	v_add_co_u32 v60, vcc_lo, s12, v7
	v_add_co_ci_u32_e64 v61, null, s13, v8, vcc_lo
	v_add_co_u32 v62, vcc_lo, s14, v7
	v_add_co_ci_u32_e64 v63, null, s15, v8, vcc_lo
	v_add_co_u32 v64, vcc_lo, s12, v9
	v_add3_u32 v12, v12, v14, v15
	v_add_co_ci_u32_e64 v65, null, s13, v10, vcc_lo
	v_add_co_u32 v13, vcc_lo, v5, 7
	v_add_co_u32 v66, s1, s14, v9
	v_add_co_ci_u32_e64 v9, null, 0, v6, vcc_lo
	v_lshlrev_b64 v[7:8], 2, v[11:12]
	v_add_co_u32 v11, vcc_lo, v5, 6
	v_add_co_ci_u32_e64 v12, null, 0, v6, vcc_lo
	v_add_co_ci_u32_e64 v67, null, s15, v10, s1
	v_mul_lo_u32 v14, s11, v13
	v_mul_lo_u32 v15, s10, v9
	v_mad_u64_u32 v[9:10], null, s10, v13, 0
	v_mul_lo_u32 v13, s11, v11
	v_mul_lo_u32 v16, s10, v12
	v_mad_u64_u32 v[11:12], null, s10, v11, 0
	v_add_co_u32 v68, vcc_lo, s12, v7
	v_add3_u32 v10, v10, v15, v14
	v_add_co_ci_u32_e64 v69, null, s13, v8, vcc_lo
	v_add_co_u32 v70, vcc_lo, s14, v7
	v_add_co_ci_u32_e64 v71, null, s15, v8, vcc_lo
	v_add3_u32 v12, v12, v16, v13
	v_add_co_u32 v13, vcc_lo, v5, 5
	v_lshlrev_b64 v[7:8], 2, v[9:10]
	v_add_co_ci_u32_e64 v14, null, 0, v6, vcc_lo
	v_lshlrev_b64 v[9:10], 2, v[11:12]
	v_mul_lo_u32 v15, s11, v13
	v_mad_u64_u32 v[11:12], null, s10, v13, 0
	v_add_co_u32 v72, vcc_lo, s12, v7
	v_mul_lo_u32 v14, s10, v14
	v_add_co_ci_u32_e64 v73, null, s13, v8, vcc_lo
	v_add_co_u32 v74, vcc_lo, s14, v7
	v_add_co_ci_u32_e64 v75, null, s15, v8, vcc_lo
	v_add_co_u32 v76, vcc_lo, s12, v9
	;; [unrolled: 2-line block ×3, first 2 shown]
	v_add3_u32 v12, v12, v14, v15
	v_add_co_u32 v78, s1, s14, v9
	v_add_co_ci_u32_e64 v9, null, 0, v6, vcc_lo
	v_add_co_ci_u32_e64 v79, null, s15, v10, s1
	v_lshlrev_b64 v[7:8], 2, v[11:12]
	v_mul_lo_u32 v14, s11, v13
	v_add_co_u32 v11, vcc_lo, v5, 3
	v_mul_lo_u32 v15, s10, v9
	v_mad_u64_u32 v[9:10], null, s10, v13, 0
	v_add_co_ci_u32_e64 v12, null, 0, v6, vcc_lo
	v_mul_lo_u32 v13, s11, v11
	v_add_co_u32 v80, vcc_lo, s12, v7
	v_mul_lo_u32 v16, s10, v12
	v_mad_u64_u32 v[11:12], null, s10, v11, 0
	v_add3_u32 v10, v10, v15, v14
	v_add_co_ci_u32_e64 v81, null, s13, v8, vcc_lo
	v_add_co_u32 v82, vcc_lo, s14, v7
	v_add_co_ci_u32_e64 v83, null, s15, v8, vcc_lo
	v_lshlrev_b64 v[7:8], 2, v[9:10]
	v_add_co_u32 v9, vcc_lo, v5, 2
	v_add3_u32 v12, v12, v16, v13
	v_add_co_ci_u32_e64 v10, null, 0, v6, vcc_lo
	v_add_co_u32 v84, vcc_lo, s12, v7
	v_lshlrev_b64 v[5:6], 2, v[11:12]
	v_mul_lo_u32 v11, s11, v9
	v_mul_lo_u32 v12, s10, v10
	v_mad_u64_u32 v[9:10], null, s10, v9, 0
	v_add_co_ci_u32_e64 v85, null, s13, v8, vcc_lo
	v_add_co_u32 v86, vcc_lo, s14, v7
	v_add_co_ci_u32_e64 v87, null, s15, v8, vcc_lo
	v_add_co_u32 v88, vcc_lo, s12, v5
	v_add_co_ci_u32_e64 v89, null, s13, v6, vcc_lo
	v_add3_u32 v10, v10, v12, v11
	v_add_co_u32 v90, vcc_lo, s14, v5
	v_add_co_ci_u32_e64 v91, null, s15, v6, vcc_lo
	v_add_co_u32 v3, vcc_lo, v3, s10
	v_add_co_ci_u32_e64 v4, null, s11, v4, vcc_lo
	v_lshlrev_b64 v[5:6], 2, v[9:10]
	s_add_u32 s22, s16, 0xff
	s_addc_u32 s23, 0, 0
	v_lshlrev_b64 v[3:4], 2, v[3:4]
	v_add_co_u32 v92, vcc_lo, s12, v5
	v_add_co_ci_u32_e64 v93, null, s13, v6, vcc_lo
	v_add_co_u32 v94, vcc_lo, s14, v5
	v_add_co_ci_u32_e64 v95, null, s15, v6, vcc_lo
	;; [unrolled: 2-line block ×4, first 2 shown]
.LBB151_3:                              ; =>This Inner Loop Header: Depth=1
	v_cmp_ge_i64_e64 s1, s[22:23], s[8:9]
	v_add_co_u32 v101, s28, v109, s22
	v_add_co_ci_u32_e64 v102, null, 0, s23, s28
                                        ; implicit-def: $vgpr3_vgpr4_vgpr5_vgpr6_vgpr7_vgpr8_vgpr9_vgpr10_vgpr11_vgpr12_vgpr13_vgpr14_vgpr15_vgpr16_vgpr17_vgpr18
                                        ; implicit-def: $vgpr98
                                        ; implicit-def: $vgpr19_vgpr20_vgpr21_vgpr22_vgpr23_vgpr24_vgpr25_vgpr26_vgpr27_vgpr28_vgpr29_vgpr30_vgpr31_vgpr32_vgpr33_vgpr34
                                        ; implicit-def: $vgpr3
	s_and_b32 vcc_lo, exec_lo, s1
	s_mov_b32 s1, -1
	s_cbranch_vccz .LBB151_41
; %bb.4:                                ;   in Loop: Header=BB151_3 Depth=1
	s_load_dword s1, s[18:19], 0xc
	v_mov_b32_e32 v103, 0
	s_waitcnt lgkmcnt(0)
	s_and_b32 s1, s1, 0xffff
	v_mad_u32_u24 v3, v1, s1, v0
	s_mov_b32 s1, exec_lo
	v_and_b32_e32 v3, 31, v3
	v_cmpx_gt_u32_e32 16, v3
	s_cbranch_execz .LBB151_8
; %bb.5:                                ;   in Loop: Header=BB151_3 Depth=1
	v_add_co_u32 v3, vcc_lo, v101, v3
	v_add_co_ci_u32_e64 v4, null, 0, v102, vcc_lo
	v_mov_b32_e32 v103, 0
	v_add_co_u32 v3, vcc_lo, 0xffffff01, v3
	v_add_co_ci_u32_e64 v4, null, -1, v4, vcc_lo
	s_mov_b32 s28, exec_lo
	v_cmpx_gt_i64_e64 s[8:9], v[3:4]
	s_cbranch_execz .LBB151_7
; %bb.6:                                ;   in Loop: Header=BB151_3 Depth=1
	v_lshlrev_b64 v[3:4], 2, v[3:4]
	v_add_co_u32 v3, vcc_lo, s2, v3
	v_add_co_ci_u32_e64 v4, null, s3, v4, vcc_lo
	global_load_dword v103, v[3:4], off
.LBB151_7:                              ;   in Loop: Header=BB151_3 Depth=1
	s_or_b32 exec_lo, exec_lo, s28
.LBB151_8:                              ;   in Loop: Header=BB151_3 Depth=1
	s_or_b32 exec_lo, exec_lo, s1
	v_add_co_u32 v18, vcc_lo, 0xffffff01, v101
	v_add_co_ci_u32_e64 v19, null, -1, v102, vcc_lo
	v_mov_b32_e32 v17, v2
	v_mov_b32_e32 v3, v2
	;; [unrolled: 1-line block ×15, first 2 shown]
	v_cmp_gt_i64_e32 vcc_lo, s[8:9], v[18:19]
	v_mov_b32_e32 v34, v17
	v_mov_b32_e32 v31, v14
	;; [unrolled: 1-line block ×32, first 2 shown]
	s_and_b32 s28, s0, vcc_lo
	s_and_saveexec_b32 s1, s28
	s_cbranch_execz .LBB151_10
; %bb.9:                                ;   in Loop: Header=BB151_3 Depth=1
	v_add_co_u32 v3, vcc_lo, v110, v35
	v_add_co_ci_u32_e64 v4, null, v37, v36, vcc_lo
	v_add_co_u32 v5, vcc_lo, v38, v35
	v_add_co_ci_u32_e64 v6, null, v39, v36, vcc_lo
	global_load_dword v3, v[3:4], off
	global_load_dword v19, v[5:6], off
	v_mov_b32_e32 v4, v2
	v_mov_b32_e32 v5, v2
	;; [unrolled: 1-line block ×30, first 2 shown]
.LBB151_10:                             ;   in Loop: Header=BB151_3 Depth=1
	s_or_b32 exec_lo, exec_lo, s1
	v_add_co_u32 v105, vcc_lo, 0xffffff02, v101
	v_add_co_ci_u32_e64 v106, null, -1, v102, vcc_lo
	v_cmp_gt_i64_e32 vcc_lo, s[8:9], v[105:106]
	s_and_b32 s28, s0, vcc_lo
	s_and_saveexec_b32 s1, s28
	s_cbranch_execz .LBB151_12
; %bb.11:                               ;   in Loop: Header=BB151_3 Depth=1
	v_add_co_u32 v105, vcc_lo, v96, v35
	v_add_co_ci_u32_e64 v106, null, v97, v36, vcc_lo
	v_add_co_u32 v107, vcc_lo, v104, v35
	v_add_co_ci_u32_e64 v108, null, v99, v36, vcc_lo
	global_load_dword v4, v[105:106], off
	global_load_dword v20, v[107:108], off
.LBB151_12:                             ;   in Loop: Header=BB151_3 Depth=1
	s_or_b32 exec_lo, exec_lo, s1
	v_add_co_u32 v105, vcc_lo, 0xffffff03, v101
	v_add_co_ci_u32_e64 v106, null, -1, v102, vcc_lo
	v_cmp_gt_i64_e32 vcc_lo, s[8:9], v[105:106]
	s_and_b32 s28, s0, vcc_lo
	s_and_saveexec_b32 s1, s28
	s_cbranch_execz .LBB151_14
; %bb.13:                               ;   in Loop: Header=BB151_3 Depth=1
	v_add_co_u32 v105, vcc_lo, v92, v35
	v_add_co_ci_u32_e64 v106, null, v93, v36, vcc_lo
	v_add_co_u32 v107, vcc_lo, v94, v35
	v_add_co_ci_u32_e64 v108, null, v95, v36, vcc_lo
	global_load_dword v5, v[105:106], off
	global_load_dword v21, v[107:108], off
.LBB151_14:                             ;   in Loop: Header=BB151_3 Depth=1
	;; [unrolled: 15-line block ×15, first 2 shown]
	s_or_b32 exec_lo, exec_lo, s1
	s_waitcnt vmcnt(0)
	ds_bpermute_b32 v98, v2, v103
	ds_bpermute_b32 v105, v2, v103 offset:4
	ds_bpermute_b32 v106, v2, v103 offset:8
	v_mul_f32_e32 v3, v19, v3
	ds_bpermute_b32 v19, v2, v103 offset:12
	v_mul_f32_e32 v4, v20, v4
	ds_bpermute_b32 v20, v2, v103 offset:16
	s_mov_b32 s1, 0
	s_waitcnt lgkmcnt(4)
	v_fma_f32 v98, v3, v98, v100
	v_mul_f32_e32 v3, v21, v5
	ds_bpermute_b32 v5, v2, v103 offset:20
	s_waitcnt lgkmcnt(4)
	v_fmac_f32_e32 v98, v4, v105
	v_mul_f32_e32 v4, v22, v6
	ds_bpermute_b32 v6, v2, v103 offset:24
	s_waitcnt lgkmcnt(4)
	v_fmac_f32_e32 v98, v3, v106
	;; [unrolled: 4-line block ×9, first 2 shown]
	v_mul_f32_e32 v4, v30, v14
	v_mul_f32_e32 v9, v31, v15
	s_waitcnt lgkmcnt(3)
	v_fmac_f32_e32 v98, v3, v5
	ds_bpermute_b32 v5, v2, v103 offset:56
	ds_bpermute_b32 v3, v2, v103 offset:60
	s_waitcnt lgkmcnt(4)
	v_fmac_f32_e32 v98, v4, v6
	v_mul_f32_e32 v4, v32, v16
	s_waitcnt lgkmcnt(3)
	v_fmac_f32_e32 v98, v9, v7
	s_waitcnt lgkmcnt(2)
	v_fmac_f32_e32 v98, v4, v8
	v_mul_f32_e32 v4, v33, v17
	s_waitcnt lgkmcnt(1)
	v_fmac_f32_e32 v98, v4, v5
.LBB151_41:                             ;   in Loop: Header=BB151_3 Depth=1
	s_and_b32 vcc_lo, exec_lo, s1
	s_cbranch_vccz .LBB151_64
; %bb.42:                               ;   in Loop: Header=BB151_3 Depth=1
	s_load_dword s1, s[18:19], 0x0
	v_mov_b32_e32 v98, 0
	s_waitcnt lgkmcnt(0)
	s_cmp_lt_u32 s6, s1
	s_cselect_b32 s1, 12, 18
	s_add_u32 s28, s18, s1
	s_addc_u32 s29, s19, 0
	s_mov_b32 s1, exec_lo
	global_load_ushort v3, v2, s[28:29]
	s_waitcnt vmcnt(0)
	v_mad_u32_u24 v3, v1, v3, v0
	v_and_b32_e32 v3, 31, v3
	v_cmpx_gt_u32_e32 16, v3
	s_cbranch_execz .LBB151_46
; %bb.43:                               ;   in Loop: Header=BB151_3 Depth=1
	v_add_co_u32 v3, vcc_lo, v101, v3
	v_add_co_ci_u32_e64 v4, null, 0, v102, vcc_lo
	v_mov_b32_e32 v98, 0
	v_add_co_u32 v3, vcc_lo, 0xffffff01, v3
	v_add_co_ci_u32_e64 v4, null, -1, v4, vcc_lo
	s_mov_b32 s28, exec_lo
	v_cmpx_gt_i64_e64 s[8:9], v[3:4]
	s_cbranch_execz .LBB151_45
; %bb.44:                               ;   in Loop: Header=BB151_3 Depth=1
	v_lshlrev_b64 v[3:4], 2, v[3:4]
	v_add_co_u32 v3, vcc_lo, s2, v3
	v_add_co_ci_u32_e64 v4, null, s3, v4, vcc_lo
	global_load_dword v98, v[3:4], off
.LBB151_45:                             ;   in Loop: Header=BB151_3 Depth=1
	s_or_b32 exec_lo, exec_lo, s28
.LBB151_46:                             ;   in Loop: Header=BB151_3 Depth=1
	s_or_b32 exec_lo, exec_lo, s1
	v_mov_b32_e32 v17, v2
	v_mov_b32_e32 v3, v2
	;; [unrolled: 1-line block ×47, first 2 shown]
	s_and_saveexec_b32 s1, s0
	s_cbranch_execnz .LBB151_66
; %bb.47:                               ;   in Loop: Header=BB151_3 Depth=1
	s_or_b32 exec_lo, exec_lo, s1
	s_and_saveexec_b32 s1, s0
	s_cbranch_execnz .LBB151_67
.LBB151_48:                             ;   in Loop: Header=BB151_3 Depth=1
	s_or_b32 exec_lo, exec_lo, s1
	s_and_saveexec_b32 s1, s0
	s_cbranch_execnz .LBB151_68
.LBB151_49:                             ;   in Loop: Header=BB151_3 Depth=1
	s_or_b32 exec_lo, exec_lo, s1
	s_and_saveexec_b32 s1, s0
	s_cbranch_execnz .LBB151_69
.LBB151_50:                             ;   in Loop: Header=BB151_3 Depth=1
	s_or_b32 exec_lo, exec_lo, s1
	s_and_saveexec_b32 s1, s0
	s_cbranch_execnz .LBB151_70
.LBB151_51:                             ;   in Loop: Header=BB151_3 Depth=1
	s_or_b32 exec_lo, exec_lo, s1
	s_and_saveexec_b32 s1, s0
	s_cbranch_execnz .LBB151_71
.LBB151_52:                             ;   in Loop: Header=BB151_3 Depth=1
	s_or_b32 exec_lo, exec_lo, s1
	s_and_saveexec_b32 s1, s0
	s_cbranch_execnz .LBB151_72
.LBB151_53:                             ;   in Loop: Header=BB151_3 Depth=1
	s_or_b32 exec_lo, exec_lo, s1
	s_and_saveexec_b32 s1, s0
	s_cbranch_execnz .LBB151_73
.LBB151_54:                             ;   in Loop: Header=BB151_3 Depth=1
	s_or_b32 exec_lo, exec_lo, s1
	s_and_saveexec_b32 s1, s0
	s_cbranch_execnz .LBB151_74
.LBB151_55:                             ;   in Loop: Header=BB151_3 Depth=1
	s_or_b32 exec_lo, exec_lo, s1
	s_and_saveexec_b32 s1, s0
	s_cbranch_execnz .LBB151_75
.LBB151_56:                             ;   in Loop: Header=BB151_3 Depth=1
	s_or_b32 exec_lo, exec_lo, s1
	s_and_saveexec_b32 s1, s0
	s_cbranch_execnz .LBB151_76
.LBB151_57:                             ;   in Loop: Header=BB151_3 Depth=1
	s_or_b32 exec_lo, exec_lo, s1
	s_and_saveexec_b32 s1, s0
	s_cbranch_execnz .LBB151_77
.LBB151_58:                             ;   in Loop: Header=BB151_3 Depth=1
	s_or_b32 exec_lo, exec_lo, s1
	s_and_saveexec_b32 s1, s0
	s_cbranch_execnz .LBB151_78
.LBB151_59:                             ;   in Loop: Header=BB151_3 Depth=1
	s_or_b32 exec_lo, exec_lo, s1
	s_and_saveexec_b32 s1, s0
	s_cbranch_execnz .LBB151_79
.LBB151_60:                             ;   in Loop: Header=BB151_3 Depth=1
	s_or_b32 exec_lo, exec_lo, s1
	s_and_saveexec_b32 s1, s0
	s_cbranch_execnz .LBB151_80
.LBB151_61:                             ;   in Loop: Header=BB151_3 Depth=1
	s_or_b32 exec_lo, exec_lo, s1
	s_and_saveexec_b32 s1, s0
	s_cbranch_execz .LBB151_63
.LBB151_62:                             ;   in Loop: Header=BB151_3 Depth=1
	v_add_co_u32 v101, vcc_lo, v40, v35
	v_add_co_ci_u32_e64 v102, null, v41, v36, vcc_lo
	v_add_co_u32 v105, vcc_lo, v42, v35
	v_add_co_ci_u32_e64 v106, null, v43, v36, vcc_lo
	global_load_dword v18, v[101:102], off
	global_load_dword v34, v[105:106], off
.LBB151_63:                             ;   in Loop: Header=BB151_3 Depth=1
	s_or_b32 exec_lo, exec_lo, s1
	s_waitcnt vmcnt(0)
	ds_bpermute_b32 v101, v2, v98
	ds_bpermute_b32 v102, v2, v98 offset:4
	ds_bpermute_b32 v103, v2, v98 offset:8
	v_mul_f32_e32 v3, v19, v3
	ds_bpermute_b32 v19, v2, v98 offset:12
	v_mul_f32_e32 v4, v20, v4
	ds_bpermute_b32 v20, v2, v98 offset:16
	s_waitcnt lgkmcnt(4)
	v_fmac_f32_e32 v100, v3, v101
	v_mul_f32_e32 v3, v21, v5
	ds_bpermute_b32 v5, v2, v98 offset:20
	s_waitcnt lgkmcnt(4)
	v_fmac_f32_e32 v100, v4, v102
	;; [unrolled: 4-line block ×10, first 2 shown]
	v_mul_f32_e32 v4, v30, v14
	s_waitcnt lgkmcnt(3)
	v_fmac_f32_e32 v100, v3, v5
	ds_bpermute_b32 v5, v2, v98 offset:56
	v_mul_f32_e32 v3, v31, v15
	s_waitcnt lgkmcnt(3)
	v_fmac_f32_e32 v100, v4, v6
	v_mul_f32_e32 v4, v32, v16
	s_waitcnt lgkmcnt(2)
	v_fmac_f32_e32 v100, v3, v7
	ds_bpermute_b32 v3, v2, v98 offset:60
	s_waitcnt lgkmcnt(2)
	v_fmac_f32_e32 v100, v4, v8
	v_mul_f32_e32 v4, v33, v17
	s_waitcnt lgkmcnt(1)
	v_fmac_f32_e32 v100, v4, v5
	v_mov_b32_e32 v98, v100
.LBB151_64:                             ;   in Loop: Header=BB151_3 Depth=1
	v_add_co_u32 v110, vcc_lo, v110, s20
	v_add_co_ci_u32_e64 v37, null, s21, v37, vcc_lo
	v_add_co_u32 v38, vcc_lo, v38, s20
	v_add_co_ci_u32_e64 v39, null, s21, v39, vcc_lo
	;; [unrolled: 2-line block ×28, first 2 shown]
	v_add_co_u32 v92, vcc_lo, v92, s20
	s_add_u32 s24, s24, s27
	v_add_co_ci_u32_e64 v93, null, s21, v93, vcc_lo
	v_add_co_u32 v94, vcc_lo, v94, s20
	v_mul_f32_e32 v4, v18, v34
	s_addc_u32 s25, s25, 0
	v_add_co_ci_u32_e64 v95, null, s21, v95, vcc_lo
	v_add_co_u32 v96, vcc_lo, v96, s20
	v_cmp_lt_i64_e64 s1, s[24:25], s[8:9]
	v_add_co_ci_u32_e64 v97, null, s21, v97, vcc_lo
	v_add_co_u32 v104, vcc_lo, v104, s20
	s_waitcnt lgkmcnt(0)
	v_fmac_f32_e32 v98, v4, v3
	v_add_co_ci_u32_e64 v99, null, s21, v99, vcc_lo
	s_add_u32 s22, s22, s27
	s_addc_u32 s23, s23, 0
	s_and_b32 vcc_lo, exec_lo, s1
	s_cbranch_vccz .LBB151_82
; %bb.65:                               ;   in Loop: Header=BB151_3 Depth=1
	v_mov_b32_e32 v100, v98
	s_branch .LBB151_3
.LBB151_66:                             ;   in Loop: Header=BB151_3 Depth=1
	v_add_co_u32 v3, vcc_lo, v110, v35
	v_add_co_ci_u32_e64 v4, null, v37, v36, vcc_lo
	v_add_co_u32 v5, vcc_lo, v38, v35
	v_add_co_ci_u32_e64 v6, null, v39, v36, vcc_lo
	global_load_dword v3, v[3:4], off
	global_load_dword v19, v[5:6], off
	v_mov_b32_e32 v4, v2
	v_mov_b32_e32 v5, v2
	v_mov_b32_e32 v6, v2
	v_mov_b32_e32 v7, v2
	v_mov_b32_e32 v8, v2
	v_mov_b32_e32 v9, v2
	v_mov_b32_e32 v10, v2
	v_mov_b32_e32 v11, v2
	v_mov_b32_e32 v12, v2
	v_mov_b32_e32 v13, v2
	v_mov_b32_e32 v14, v2
	v_mov_b32_e32 v15, v2
	v_mov_b32_e32 v16, v2
	v_mov_b32_e32 v17, v2
	v_mov_b32_e32 v18, v2
	v_mov_b32_e32 v20, v2
	v_mov_b32_e32 v21, v2
	v_mov_b32_e32 v22, v2
	v_mov_b32_e32 v23, v2
	v_mov_b32_e32 v24, v2
	v_mov_b32_e32 v25, v2
	v_mov_b32_e32 v26, v2
	v_mov_b32_e32 v27, v2
	v_mov_b32_e32 v28, v2
	v_mov_b32_e32 v29, v2
	v_mov_b32_e32 v30, v2
	v_mov_b32_e32 v31, v2
	v_mov_b32_e32 v32, v2
	v_mov_b32_e32 v33, v2
	v_mov_b32_e32 v34, v2
	s_or_b32 exec_lo, exec_lo, s1
	s_and_saveexec_b32 s1, s0
	s_cbranch_execz .LBB151_48
.LBB151_67:                             ;   in Loop: Header=BB151_3 Depth=1
	v_add_co_u32 v101, vcc_lo, v96, v35
	v_add_co_ci_u32_e64 v102, null, v97, v36, vcc_lo
	v_add_co_u32 v105, vcc_lo, v104, v35
	v_add_co_ci_u32_e64 v106, null, v99, v36, vcc_lo
	global_load_dword v4, v[101:102], off
	global_load_dword v20, v[105:106], off
	s_or_b32 exec_lo, exec_lo, s1
	s_and_saveexec_b32 s1, s0
	s_cbranch_execz .LBB151_49
.LBB151_68:                             ;   in Loop: Header=BB151_3 Depth=1
	v_add_co_u32 v101, vcc_lo, v92, v35
	v_add_co_ci_u32_e64 v102, null, v93, v36, vcc_lo
	v_add_co_u32 v105, vcc_lo, v94, v35
	v_add_co_ci_u32_e64 v106, null, v95, v36, vcc_lo
	global_load_dword v5, v[101:102], off
	global_load_dword v21, v[105:106], off
	s_or_b32 exec_lo, exec_lo, s1
	s_and_saveexec_b32 s1, s0
	s_cbranch_execz .LBB151_50
.LBB151_69:                             ;   in Loop: Header=BB151_3 Depth=1
	v_add_co_u32 v101, vcc_lo, v88, v35
	v_add_co_ci_u32_e64 v102, null, v89, v36, vcc_lo
	v_add_co_u32 v105, vcc_lo, v90, v35
	v_add_co_ci_u32_e64 v106, null, v91, v36, vcc_lo
	global_load_dword v6, v[101:102], off
	global_load_dword v22, v[105:106], off
	s_or_b32 exec_lo, exec_lo, s1
	s_and_saveexec_b32 s1, s0
	s_cbranch_execz .LBB151_51
.LBB151_70:                             ;   in Loop: Header=BB151_3 Depth=1
	v_add_co_u32 v101, vcc_lo, v84, v35
	v_add_co_ci_u32_e64 v102, null, v85, v36, vcc_lo
	v_add_co_u32 v105, vcc_lo, v86, v35
	v_add_co_ci_u32_e64 v106, null, v87, v36, vcc_lo
	global_load_dword v7, v[101:102], off
	global_load_dword v23, v[105:106], off
	s_or_b32 exec_lo, exec_lo, s1
	s_and_saveexec_b32 s1, s0
	s_cbranch_execz .LBB151_52
.LBB151_71:                             ;   in Loop: Header=BB151_3 Depth=1
	v_add_co_u32 v101, vcc_lo, v80, v35
	v_add_co_ci_u32_e64 v102, null, v81, v36, vcc_lo
	v_add_co_u32 v105, vcc_lo, v82, v35
	v_add_co_ci_u32_e64 v106, null, v83, v36, vcc_lo
	global_load_dword v8, v[101:102], off
	global_load_dword v24, v[105:106], off
	s_or_b32 exec_lo, exec_lo, s1
	s_and_saveexec_b32 s1, s0
	s_cbranch_execz .LBB151_53
.LBB151_72:                             ;   in Loop: Header=BB151_3 Depth=1
	v_add_co_u32 v101, vcc_lo, v76, v35
	v_add_co_ci_u32_e64 v102, null, v77, v36, vcc_lo
	v_add_co_u32 v105, vcc_lo, v78, v35
	v_add_co_ci_u32_e64 v106, null, v79, v36, vcc_lo
	global_load_dword v9, v[101:102], off
	global_load_dword v25, v[105:106], off
	s_or_b32 exec_lo, exec_lo, s1
	s_and_saveexec_b32 s1, s0
	s_cbranch_execz .LBB151_54
.LBB151_73:                             ;   in Loop: Header=BB151_3 Depth=1
	v_add_co_u32 v101, vcc_lo, v72, v35
	v_add_co_ci_u32_e64 v102, null, v73, v36, vcc_lo
	v_add_co_u32 v105, vcc_lo, v74, v35
	v_add_co_ci_u32_e64 v106, null, v75, v36, vcc_lo
	global_load_dword v10, v[101:102], off
	global_load_dword v26, v[105:106], off
	s_or_b32 exec_lo, exec_lo, s1
	s_and_saveexec_b32 s1, s0
	s_cbranch_execz .LBB151_55
.LBB151_74:                             ;   in Loop: Header=BB151_3 Depth=1
	v_add_co_u32 v101, vcc_lo, v68, v35
	v_add_co_ci_u32_e64 v102, null, v69, v36, vcc_lo
	v_add_co_u32 v105, vcc_lo, v70, v35
	v_add_co_ci_u32_e64 v106, null, v71, v36, vcc_lo
	global_load_dword v11, v[101:102], off
	global_load_dword v27, v[105:106], off
	s_or_b32 exec_lo, exec_lo, s1
	s_and_saveexec_b32 s1, s0
	s_cbranch_execz .LBB151_56
.LBB151_75:                             ;   in Loop: Header=BB151_3 Depth=1
	v_add_co_u32 v101, vcc_lo, v64, v35
	v_add_co_ci_u32_e64 v102, null, v65, v36, vcc_lo
	v_add_co_u32 v105, vcc_lo, v66, v35
	v_add_co_ci_u32_e64 v106, null, v67, v36, vcc_lo
	global_load_dword v12, v[101:102], off
	global_load_dword v28, v[105:106], off
	s_or_b32 exec_lo, exec_lo, s1
	s_and_saveexec_b32 s1, s0
	s_cbranch_execz .LBB151_57
.LBB151_76:                             ;   in Loop: Header=BB151_3 Depth=1
	v_add_co_u32 v101, vcc_lo, v60, v35
	v_add_co_ci_u32_e64 v102, null, v61, v36, vcc_lo
	v_add_co_u32 v105, vcc_lo, v62, v35
	v_add_co_ci_u32_e64 v106, null, v63, v36, vcc_lo
	global_load_dword v13, v[101:102], off
	global_load_dword v29, v[105:106], off
	s_or_b32 exec_lo, exec_lo, s1
	s_and_saveexec_b32 s1, s0
	s_cbranch_execz .LBB151_58
.LBB151_77:                             ;   in Loop: Header=BB151_3 Depth=1
	v_add_co_u32 v101, vcc_lo, v56, v35
	v_add_co_ci_u32_e64 v102, null, v57, v36, vcc_lo
	v_add_co_u32 v105, vcc_lo, v58, v35
	v_add_co_ci_u32_e64 v106, null, v59, v36, vcc_lo
	global_load_dword v14, v[101:102], off
	global_load_dword v30, v[105:106], off
	s_or_b32 exec_lo, exec_lo, s1
	s_and_saveexec_b32 s1, s0
	s_cbranch_execz .LBB151_59
.LBB151_78:                             ;   in Loop: Header=BB151_3 Depth=1
	v_add_co_u32 v101, vcc_lo, v52, v35
	v_add_co_ci_u32_e64 v102, null, v53, v36, vcc_lo
	v_add_co_u32 v105, vcc_lo, v54, v35
	v_add_co_ci_u32_e64 v106, null, v55, v36, vcc_lo
	global_load_dword v15, v[101:102], off
	global_load_dword v31, v[105:106], off
	s_or_b32 exec_lo, exec_lo, s1
	s_and_saveexec_b32 s1, s0
	s_cbranch_execz .LBB151_60
.LBB151_79:                             ;   in Loop: Header=BB151_3 Depth=1
	v_add_co_u32 v101, vcc_lo, v48, v35
	v_add_co_ci_u32_e64 v102, null, v49, v36, vcc_lo
	v_add_co_u32 v105, vcc_lo, v50, v35
	v_add_co_ci_u32_e64 v106, null, v51, v36, vcc_lo
	global_load_dword v16, v[101:102], off
	global_load_dword v32, v[105:106], off
	s_or_b32 exec_lo, exec_lo, s1
	s_and_saveexec_b32 s1, s0
	s_cbranch_execz .LBB151_61
.LBB151_80:                             ;   in Loop: Header=BB151_3 Depth=1
	v_add_co_u32 v101, vcc_lo, v44, v35
	v_add_co_ci_u32_e64 v102, null, v45, v36, vcc_lo
	v_add_co_u32 v105, vcc_lo, v46, v35
	v_add_co_ci_u32_e64 v106, null, v47, v36, vcc_lo
	global_load_dword v17, v[101:102], off
	global_load_dword v33, v[105:106], off
	s_or_b32 exec_lo, exec_lo, s1
	s_and_saveexec_b32 s1, s0
	s_cbranch_execnz .LBB151_62
	s_branch .LBB151_63
.LBB151_81:
                                        ; implicit-def: $vgpr98
	s_branch .LBB151_83
.LBB151_82:
	s_cbranch_execnz .LBB151_132
.LBB151_83:
	v_mov_b32_e32 v98, 0
	s_andn2_b32 vcc_lo, exec_lo, s7
	s_cbranch_vccnz .LBB151_132
; %bb.84:
	buffer_store_dword v0, off, s[36:39], 0 offset:152 ; 4-byte Folded Spill
	v_add_nc_u32_e32 v3, s26, v0
	v_lshlrev_b32_e32 v0, 4, v1
	v_mov_b32_e32 v2, 0
	s_load_dword s7, s[4:5], 0x44
	s_add_u32 s0, s4, 64
	s_addc_u32 s1, s5, 0
	v_add_co_u32 v5, s18, v0, s16
	v_mov_b32_e32 v4, v2
	v_add_co_ci_u32_e64 v6, null, 0, 0, s18
	buffer_store_dword v0, off, s[36:39], 0 offset:160 ; 4-byte Folded Spill
	v_mul_lo_u32 v0, s11, v5
	v_lshlrev_b64 v[35:36], 2, v[3:4]
	v_mul_lo_u32 v7, s10, v6
	v_mad_u64_u32 v[3:4], null, s10, v5, 0
	buffer_store_dword v1, off, s[36:39], 0 offset:156 ; 4-byte Folded Spill
	v_mov_b32_e32 v100, 0
	v_add3_u32 v4, v4, v7, v0
	s_waitcnt lgkmcnt(0)
	s_lshl_b32 s7, s7, 8
	s_mul_i32 s18, s11, s7
	s_mul_hi_u32 s19, s10, s7
	v_lshlrev_b64 v[7:8], 2, v[3:4]
	s_add_i32 s19, s19, s18
	s_mul_i32 s18, s10, s7
	s_lshl_b64 s[18:19], s[18:19], 2
	s_add_u32 s20, s16, 0xff
	v_add_co_u32 v0, vcc_lo, s12, v7
	s_addc_u32 s21, 0, 0
	s_lshl_b64 s[22:23], s[16:17], 2
	buffer_store_dword v0, off, s[36:39], 0 ; 4-byte Folded Spill
	v_add_co_ci_u32_e64 v0, null, s13, v8, vcc_lo
	buffer_store_dword v0, off, s[36:39], 0 offset:4 ; 4-byte Folded Spill
	v_add_co_u32 v0, vcc_lo, s14, v7
	buffer_store_dword v0, off, s[36:39], 0 offset:8 ; 4-byte Folded Spill
	v_add_co_ci_u32_e64 v0, null, s15, v8, vcc_lo
	buffer_store_dword v0, off, s[36:39], 0 offset:12 ; 4-byte Folded Spill
	v_lshlrev_b32_e32 v0, 6, v1
	v_add_co_u32 v0, s22, v0, s22
	v_add_co_ci_u32_e64 v1, null, 0, s23, s22
	v_add_co_u32 v67, vcc_lo, v0, 4
	v_add_co_ci_u32_e64 v7, null, 0, v1, vcc_lo
	v_add_co_u32 v70, vcc_lo, v0, 8
	v_mad_u64_u32 v[37:38], null, s10, v67, s[12:13]
	v_mul_lo_u32 v69, s10, v7
	v_add_co_ci_u32_e64 v7, null, 0, v1, vcc_lo
	v_add_co_u32 v71, vcc_lo, v0, 12
	v_mul_lo_u32 v72, s11, v67
	v_mul_lo_u32 v81, s10, v7
	v_add_co_ci_u32_e64 v7, null, 0, v1, vcc_lo
	v_add_co_u32 v73, vcc_lo, v0, 16
	v_mad_u64_u32 v[67:68], null, s10, v67, s[14:15]
	v_mul_lo_u32 v74, s10, v7
	v_add_co_ci_u32_e64 v7, null, 0, v1, vcc_lo
	v_add_co_u32 v75, vcc_lo, v0, 20
	v_add3_u32 v38, v72, v38, v69
	v_mul_lo_u32 v76, s10, v7
	v_add_co_ci_u32_e64 v7, null, 0, v1, vcc_lo
	v_add_co_u32 v32, vcc_lo, v0, 24
	v_mad_u64_u32 v[41:42], null, s10, v71, s[12:13]
	v_mul_lo_u32 v77, s10, v7
	v_add_co_ci_u32_e64 v7, null, 0, v1, vcc_lo
	v_add_co_u32 v31, vcc_lo, v0, 28
	v_mul_lo_u32 v80, s11, v71
	v_mul_lo_u32 v33, s10, v7
	v_add_co_ci_u32_e64 v7, null, 0, v1, vcc_lo
	v_add_co_u32 v26, vcc_lo, v0, 32
	v_add3_u32 v68, v72, v68, v69
	v_mul_lo_u32 v29, s10, v7
	v_add_co_ci_u32_e64 v7, null, 0, v1, vcc_lo
	v_add_co_u32 v25, vcc_lo, v0, 36
	v_mad_u64_u32 v[71:72], null, s10, v71, s[14:15]
	v_mul_lo_u32 v27, s10, v7
	v_add_co_ci_u32_e64 v7, null, 0, v1, vcc_lo
	v_add_co_u32 v20, vcc_lo, v0, 40
	v_add3_u32 v42, v80, v42, v74
	v_mul_lo_u32 v23, s10, v7
	v_add_co_ci_u32_e64 v7, null, 0, v1, vcc_lo
	v_add_co_u32 v19, vcc_lo, v0, 44
	v_mad_u64_u32 v[43:44], null, s10, v73, s[12:13]
	v_mul_lo_u32 v21, s10, v7
	v_add_co_ci_u32_e64 v7, null, 0, v1, vcc_lo
	v_add_co_u32 v14, vcc_lo, v0, 48
	v_mul_lo_u32 v79, s11, v73
	v_mul_lo_u32 v17, s10, v7
	v_add_co_ci_u32_e64 v7, null, 0, v1, vcc_lo
	v_add_co_u32 v11, vcc_lo, v0, 52
	v_add3_u32 v72, v80, v72, v74
	v_mul_lo_u32 v15, s10, v7
	v_add_co_ci_u32_e64 v7, null, 0, v1, vcc_lo
	v_add_co_u32 v8, vcc_lo, v0, 56
	v_mad_u64_u32 v[73:74], null, s10, v73, s[14:15]
	v_mul_lo_u32 v12, s10, v7
	v_add_co_ci_u32_e64 v7, null, 0, v1, vcc_lo
	v_add_co_u32 v0, vcc_lo, v0, 60
	v_add_co_ci_u32_e64 v1, null, 0, v1, vcc_lo
	v_mul_lo_u32 v9, s10, v7
	v_mad_u64_u32 v[65:66], null, s10, v0, s[12:13]
	v_mul_lo_u32 v1, s10, v1
	v_mul_lo_u32 v7, s11, v0
	v_mad_u64_u32 v[95:96], null, s10, v0, s[14:15]
	v_add_co_u32 v0, vcc_lo, v5, 15
	v_mad_u64_u32 v[63:64], null, s10, v8, s[12:13]
	v_mul_lo_u32 v10, s11, v8
	v_add3_u32 v66, v7, v66, v1
	v_add3_u32 v96, v7, v96, v1
	v_add_co_ci_u32_e64 v1, null, 0, v6, vcc_lo
	v_mad_u64_u32 v[93:94], null, s10, v8, s[14:15]
	v_mul_lo_u32 v7, s11, v0
	v_mul_lo_u32 v8, s10, v1
	v_mad_u64_u32 v[0:1], null, s10, v0, 0
	v_mad_u64_u32 v[39:40], null, s10, v70, s[12:13]
	v_mul_lo_u32 v82, s11, v70
	v_add3_u32 v44, v79, v44, v76
	v_mad_u64_u32 v[45:46], null, s10, v75, s[12:13]
	v_add3_u32 v1, v1, v8, v7
	v_mul_lo_u32 v78, s11, v75
	v_mad_u64_u32 v[69:70], null, s10, v70, s[14:15]
	v_add3_u32 v74, v79, v74, v76
	v_lshlrev_b64 v[0:1], 2, v[0:1]
	v_mad_u64_u32 v[75:76], null, s10, v75, s[14:15]
	v_add3_u32 v40, v82, v40, v81
	v_add3_u32 v46, v78, v46, v77
	v_mad_u64_u32 v[47:48], null, s10, v32, s[12:13]
	v_add_co_u32 v7, vcc_lo, s12, v0
	v_mul_lo_u32 v34, s11, v32
	v_mad_u64_u32 v[49:50], null, s10, v31, s[12:13]
	buffer_store_dword v7, off, s[36:39], 0 offset:16 ; 4-byte Folded Spill
	v_add_co_ci_u32_e64 v7, null, s13, v1, vcc_lo
	v_add_co_u32 v0, vcc_lo, s14, v0
	v_mul_lo_u32 v30, s11, v31
	buffer_store_dword v7, off, s[36:39], 0 offset:20 ; 4-byte Folded Spill
	v_mad_u64_u32 v[51:52], null, s10, v26, s[12:13]
	buffer_store_dword v0, off, s[36:39], 0 offset:24 ; 4-byte Folded Spill
	v_add_co_ci_u32_e64 v0, null, s15, v1, vcc_lo
	v_mul_lo_u32 v28, s11, v26
	v_mad_u64_u32 v[53:54], null, s10, v25, s[12:13]
	buffer_store_dword v0, off, s[36:39], 0 offset:28 ; 4-byte Folded Spill
	v_add_co_u32 v0, vcc_lo, v5, 14
	v_add_co_ci_u32_e64 v1, null, 0, v6, vcc_lo
	v_mul_lo_u32 v24, s11, v25
	v_mul_lo_u32 v7, s11, v0
	v_mad_u64_u32 v[55:56], null, s10, v20, s[12:13]
	v_mul_lo_u32 v8, s10, v1
	v_mad_u64_u32 v[0:1], null, s10, v0, 0
	;; [unrolled: 2-line block ×4, first 2 shown]
	v_add3_u32 v1, v1, v8, v7
	v_mul_lo_u32 v16, s11, v14
	v_mad_u64_u32 v[61:62], null, s10, v11, s[12:13]
	v_mul_lo_u32 v13, s11, v11
	v_lshlrev_b64 v[0:1], 2, v[0:1]
	v_add3_u32 v70, v82, v70, v81
	v_add3_u32 v76, v78, v76, v77
	v_mad_u64_u32 v[77:78], null, s10, v32, s[14:15]
	v_mad_u64_u32 v[79:80], null, s10, v31, s[14:15]
	v_add_co_u32 v7, vcc_lo, s12, v0
	v_mad_u64_u32 v[81:82], null, s10, v26, s[14:15]
	v_mad_u64_u32 v[83:84], null, s10, v25, s[14:15]
	buffer_store_dword v7, off, s[36:39], 0 offset:32 ; 4-byte Folded Spill
	v_add_co_ci_u32_e64 v7, null, s13, v1, vcc_lo
	v_add_co_u32 v0, vcc_lo, s14, v0
	v_mad_u64_u32 v[85:86], null, s10, v20, s[14:15]
	buffer_store_dword v7, off, s[36:39], 0 offset:36 ; 4-byte Folded Spill
	buffer_store_dword v0, off, s[36:39], 0 offset:40 ; 4-byte Folded Spill
	v_add_co_ci_u32_e64 v0, null, s15, v1, vcc_lo
	v_mad_u64_u32 v[87:88], null, s10, v19, s[14:15]
	v_mad_u64_u32 v[89:90], null, s10, v14, s[14:15]
	buffer_store_dword v0, off, s[36:39], 0 offset:44 ; 4-byte Folded Spill
	v_add_co_u32 v0, vcc_lo, v5, 13
	v_add_co_ci_u32_e64 v1, null, 0, v6, vcc_lo
	v_mad_u64_u32 v[91:92], null, s10, v11, s[14:15]
	v_mul_lo_u32 v7, s11, v0
	v_mul_lo_u32 v8, s10, v1
	v_mad_u64_u32 v[0:1], null, s10, v0, 0
	v_add3_u32 v48, v34, v48, v33
	v_add3_u32 v50, v30, v50, v29
	;; [unrolled: 1-line block ×11, first 2 shown]
	v_lshlrev_b64 v[0:1], 2, v[0:1]
	v_add3_u32 v80, v30, v80, v29
	v_add3_u32 v82, v28, v82, v27
	;; [unrolled: 1-line block ×5, first 2 shown]
	v_add_co_u32 v7, vcc_lo, s12, v0
	v_add3_u32 v90, v16, v90, v15
	v_add3_u32 v92, v13, v92, v12
	;; [unrolled: 1-line block ×3, first 2 shown]
	buffer_store_dword v7, off, s[36:39], 0 offset:48 ; 4-byte Folded Spill
	v_add_co_ci_u32_e64 v7, null, s13, v1, vcc_lo
	v_add_co_u32 v0, vcc_lo, s14, v0
	buffer_store_dword v7, off, s[36:39], 0 offset:52 ; 4-byte Folded Spill
	buffer_store_dword v0, off, s[36:39], 0 offset:56 ; 4-byte Folded Spill
	v_add_co_ci_u32_e64 v0, null, s15, v1, vcc_lo
	buffer_store_dword v0, off, s[36:39], 0 offset:60 ; 4-byte Folded Spill
	v_add_co_u32 v0, vcc_lo, v5, 12
	v_add_co_ci_u32_e64 v1, null, 0, v6, vcc_lo
	v_mul_lo_u32 v7, s11, v0
	v_mul_lo_u32 v8, s10, v1
	v_mad_u64_u32 v[0:1], null, s10, v0, 0
	v_add3_u32 v1, v1, v8, v7
	v_lshlrev_b64 v[0:1], 2, v[0:1]
	v_add_co_u32 v7, vcc_lo, s12, v0
	buffer_store_dword v7, off, s[36:39], 0 offset:64 ; 4-byte Folded Spill
	v_add_co_ci_u32_e64 v7, null, s13, v1, vcc_lo
	v_add_co_u32 v0, vcc_lo, s14, v0
	buffer_store_dword v7, off, s[36:39], 0 offset:68 ; 4-byte Folded Spill
	buffer_store_dword v0, off, s[36:39], 0 offset:72 ; 4-byte Folded Spill
	v_add_co_ci_u32_e64 v0, null, s15, v1, vcc_lo
	buffer_store_dword v0, off, s[36:39], 0 offset:76 ; 4-byte Folded Spill
	v_add_co_u32 v0, vcc_lo, v5, 11
	v_add_co_ci_u32_e64 v1, null, 0, v6, vcc_lo
	v_mul_lo_u32 v7, s11, v0
	v_mul_lo_u32 v8, s10, v1
	v_mad_u64_u32 v[0:1], null, s10, v0, 0
	v_add3_u32 v1, v1, v8, v7
	v_lshlrev_b64 v[0:1], 2, v[0:1]
	v_add_co_u32 v7, vcc_lo, s12, v0
	;; [unrolled: 15-line block ×6, first 2 shown]
	buffer_store_dword v7, off, s[36:39], 0 offset:144 ; 4-byte Folded Spill
	v_add_co_ci_u32_e64 v7, null, s13, v1, vcc_lo
	v_add_co_u32 v103, vcc_lo, s14, v0
	v_add_co_ci_u32_e64 v104, null, s15, v1, vcc_lo
	v_add_co_u32 v0, vcc_lo, v5, 6
	v_add_co_ci_u32_e64 v1, null, 0, v6, vcc_lo
	buffer_store_dword v7, off, s[36:39], 0 offset:148 ; 4-byte Folded Spill
	v_mul_lo_u32 v7, s11, v0
	v_mul_lo_u32 v8, s10, v1
	v_mad_u64_u32 v[0:1], null, s10, v0, 0
	v_add3_u32 v1, v1, v8, v7
	v_lshlrev_b64 v[0:1], 2, v[0:1]
	v_add_co_u32 v105, vcc_lo, s12, v0
	v_add_co_ci_u32_e64 v106, null, s13, v1, vcc_lo
	v_add_co_u32 v107, vcc_lo, s14, v0
	v_add_co_ci_u32_e64 v108, null, s15, v1, vcc_lo
	v_add_co_u32 v0, vcc_lo, v5, 5
	v_add_co_ci_u32_e64 v1, null, 0, v6, vcc_lo
	v_mul_lo_u32 v7, s11, v0
	v_mul_lo_u32 v8, s10, v1
	v_mad_u64_u32 v[0:1], null, s10, v0, 0
	v_add3_u32 v1, v1, v8, v7
	v_lshlrev_b64 v[0:1], 2, v[0:1]
	v_add_co_u32 v109, vcc_lo, s12, v0
	v_add_co_ci_u32_e64 v110, null, s13, v1, vcc_lo
	v_add_co_u32 v111, vcc_lo, s14, v0
	v_add_co_ci_u32_e64 v112, null, s15, v1, vcc_lo
	v_add_co_u32 v0, vcc_lo, v5, 4
	v_add_co_ci_u32_e64 v1, null, 0, v6, vcc_lo
	;; [unrolled: 11-line block ×5, first 2 shown]
	v_lshlrev_b64 v[0:1], 2, v[0:1]
	v_add_co_u32 v125, vcc_lo, s12, v0
	v_add_co_ci_u32_e64 v126, null, s13, v1, vcc_lo
	v_add_co_u32 v127, vcc_lo, s14, v0
	v_add_co_ci_u32_e64 v97, null, s15, v1, vcc_lo
.LBB151_85:                             ; =>This Inner Loop Header: Depth=1
	buffer_load_dword v0, off, s[36:39], 0 offset:160 ; 4-byte Folded Reload
	v_cmp_ge_i64_e64 s13, s[20:21], s[8:9]
                                        ; implicit-def: $vgpr98
	s_and_b32 vcc_lo, exec_lo, s13
	s_waitcnt vmcnt(0)
	v_add_co_u32 v0, s12, v0, s20
	v_add_co_ci_u32_e64 v1, null, 0, s21, s12
	s_mov_b32 s12, -1
	s_cbranch_vccz .LBB151_123
; %bb.86:                               ;   in Loop: Header=BB151_85 Depth=1
	s_load_dword s12, s[0:1], 0xc
	s_clause 0x1
	buffer_load_dword v3, off, s[36:39], 0 offset:152
	buffer_load_dword v4, off, s[36:39], 0 offset:156
	v_mov_b32_e32 v99, 0
	s_waitcnt lgkmcnt(0)
	s_and_b32 s12, s12, 0xffff
	s_waitcnt vmcnt(0)
	v_mad_u32_u24 v3, v4, s12, v3
	s_mov_b32 s12, exec_lo
	v_and_b32_e32 v3, 31, v3
	v_cmpx_gt_u32_e32 16, v3
	s_cbranch_execz .LBB151_90
; %bb.87:                               ;   in Loop: Header=BB151_85 Depth=1
	v_add_co_u32 v3, vcc_lo, v0, v3
	v_add_co_ci_u32_e64 v4, null, 0, v1, vcc_lo
	v_mov_b32_e32 v99, 0
	v_add_co_u32 v3, vcc_lo, 0xffffff01, v3
	v_add_co_ci_u32_e64 v4, null, -1, v4, vcc_lo
	s_mov_b32 s13, exec_lo
	v_cmpx_gt_i64_e64 s[8:9], v[3:4]
	s_cbranch_execz .LBB151_89
; %bb.88:                               ;   in Loop: Header=BB151_85 Depth=1
	v_lshlrev_b64 v[3:4], 2, v[3:4]
	v_add_co_u32 v3, vcc_lo, s2, v3
	v_add_co_ci_u32_e64 v4, null, s3, v4, vcc_lo
	global_load_dword v99, v[3:4], off
.LBB151_89:                             ;   in Loop: Header=BB151_85 Depth=1
	s_or_b32 exec_lo, exec_lo, s13
.LBB151_90:                             ;   in Loop: Header=BB151_85 Depth=1
	s_or_b32 exec_lo, exec_lo, s12
	v_add_co_u32 v18, vcc_lo, 0xffffff01, v0
	v_add_co_ci_u32_e64 v19, null, -1, v1, vcc_lo
	v_mov_b32_e32 v17, v2
	v_mov_b32_e32 v3, v2
	;; [unrolled: 1-line block ×15, first 2 shown]
	v_cmp_gt_i64_e32 vcc_lo, s[8:9], v[18:19]
	v_mov_b32_e32 v34, v17
	v_mov_b32_e32 v31, v14
	;; [unrolled: 1-line block ×32, first 2 shown]
	s_and_saveexec_b32 s12, vcc_lo
	s_cbranch_execz .LBB151_92
; %bb.91:                               ;   in Loop: Header=BB151_85 Depth=1
	s_clause 0x2
	buffer_load_dword v3, off, s[36:39], 0
	buffer_load_dword v4, off, s[36:39], 0 offset:4
	buffer_load_dword v5, off, s[36:39], 0 offset:8
	v_mov_b32_e32 v6, v2
	v_mov_b32_e32 v7, v2
	;; [unrolled: 1-line block ×27, first 2 shown]
	s_waitcnt vmcnt(2)
	v_add_co_u32 v3, vcc_lo, v3, v35
	s_waitcnt vmcnt(1)
	v_add_co_ci_u32_e64 v4, null, v4, v36, vcc_lo
	s_waitcnt vmcnt(0)
	v_add_co_u32 v19, vcc_lo, v5, v35
	buffer_load_dword v5, off, s[36:39], 0 offset:12 ; 4-byte Folded Reload
	global_load_dword v3, v[3:4], off
	v_mov_b32_e32 v4, v2
	s_waitcnt vmcnt(1)
	v_add_co_ci_u32_e64 v20, null, v5, v36, vcc_lo
	v_mov_b32_e32 v5, v2
	global_load_dword v19, v[19:20], off
	v_mov_b32_e32 v20, v2
.LBB151_92:                             ;   in Loop: Header=BB151_85 Depth=1
	s_or_b32 exec_lo, exec_lo, s12
	v_add_co_u32 v101, vcc_lo, 0xffffff02, v0
	v_add_co_ci_u32_e64 v102, null, -1, v1, vcc_lo
	s_mov_b32 s12, exec_lo
	v_cmpx_gt_i64_e64 s[8:9], v[101:102]
	s_cbranch_execz .LBB151_94
; %bb.93:                               ;   in Loop: Header=BB151_85 Depth=1
	v_add_co_u32 v101, vcc_lo, v125, v35
	v_add_co_ci_u32_e64 v102, null, v126, v36, vcc_lo
	global_load_dword v4, v[101:102], off
	v_add_co_u32 v101, vcc_lo, v127, v35
	v_add_co_ci_u32_e64 v102, null, v97, v36, vcc_lo
	global_load_dword v20, v[101:102], off
.LBB151_94:                             ;   in Loop: Header=BB151_85 Depth=1
	s_or_b32 exec_lo, exec_lo, s12
	v_add_co_u32 v101, vcc_lo, 0xffffff03, v0
	v_add_co_ci_u32_e64 v102, null, -1, v1, vcc_lo
	s_mov_b32 s12, exec_lo
	v_cmpx_gt_i64_e64 s[8:9], v[101:102]
	s_cbranch_execz .LBB151_96
; %bb.95:                               ;   in Loop: Header=BB151_85 Depth=1
	v_add_co_u32 v101, vcc_lo, v121, v35
	v_add_co_ci_u32_e64 v102, null, v122, v36, vcc_lo
	global_load_dword v5, v[101:102], off
	v_add_co_u32 v101, vcc_lo, v123, v35
	v_add_co_ci_u32_e64 v102, null, v124, v36, vcc_lo
	global_load_dword v21, v[101:102], off
.LBB151_96:                             ;   in Loop: Header=BB151_85 Depth=1
	;; [unrolled: 14-line block ×3, first 2 shown]
	s_or_b32 exec_lo, exec_lo, s12
	v_add_co_u32 v101, vcc_lo, 0xffffff05, v0
	v_add_co_ci_u32_e64 v102, null, -1, v1, vcc_lo
	s_mov_b32 s12, exec_lo
	v_cmpx_gt_i64_e64 s[8:9], v[101:102]
	s_cbranch_execz .LBB151_100
; %bb.99:                               ;   in Loop: Header=BB151_85 Depth=1
	v_add_co_u32 v101, vcc_lo, v113, v35
	v_add_co_ci_u32_e64 v102, null, v114, v36, vcc_lo
	global_load_dword v7, v[101:102], off
	v_add_co_u32 v101, vcc_lo, v115, v35
	v_add_co_ci_u32_e64 v102, null, v116, v36, vcc_lo
	global_load_dword v23, v[101:102], off
.LBB151_100:                            ;   in Loop: Header=BB151_85 Depth=1
	s_or_b32 exec_lo, exec_lo, s12
	v_add_co_u32 v101, vcc_lo, 0xffffff06, v0
	v_add_co_ci_u32_e64 v102, null, -1, v1, vcc_lo
	s_mov_b32 s12, exec_lo
	v_cmpx_gt_i64_e64 s[8:9], v[101:102]
	s_cbranch_execz .LBB151_102
; %bb.101:                              ;   in Loop: Header=BB151_85 Depth=1
	v_add_co_u32 v101, vcc_lo, v109, v35
	v_add_co_ci_u32_e64 v102, null, v110, v36, vcc_lo
	global_load_dword v8, v[101:102], off
	v_add_co_u32 v101, vcc_lo, v111, v35
	v_add_co_ci_u32_e64 v102, null, v112, v36, vcc_lo
	global_load_dword v24, v[101:102], off
.LBB151_102:                            ;   in Loop: Header=BB151_85 Depth=1
	s_or_b32 exec_lo, exec_lo, s12
	v_add_co_u32 v101, vcc_lo, 0xffffff07, v0
	v_add_co_ci_u32_e64 v102, null, -1, v1, vcc_lo
	s_mov_b32 s12, exec_lo
	v_cmpx_gt_i64_e64 s[8:9], v[101:102]
	s_cbranch_execz .LBB151_104
; %bb.103:                              ;   in Loop: Header=BB151_85 Depth=1
	v_add_co_u32 v101, vcc_lo, v105, v35
	v_add_co_ci_u32_e64 v102, null, v106, v36, vcc_lo
	global_load_dword v9, v[101:102], off
	v_add_co_u32 v101, vcc_lo, v107, v35
	v_add_co_ci_u32_e64 v102, null, v108, v36, vcc_lo
	global_load_dword v25, v[101:102], off
.LBB151_104:                            ;   in Loop: Header=BB151_85 Depth=1
	s_or_b32 exec_lo, exec_lo, s12
	v_add_co_u32 v101, vcc_lo, 0xffffff08, v0
	v_add_co_ci_u32_e64 v102, null, -1, v1, vcc_lo
	s_mov_b32 s12, exec_lo
	v_cmpx_gt_i64_e64 s[8:9], v[101:102]
	s_cbranch_execz .LBB151_106
; %bb.105:                              ;   in Loop: Header=BB151_85 Depth=1
	buffer_load_dword v10, off, s[36:39], 0 offset:144 ; 4-byte Folded Reload
	s_waitcnt vmcnt(0)
	v_add_co_u32 v101, vcc_lo, v10, v35
	buffer_load_dword v10, off, s[36:39], 0 offset:148 ; 4-byte Folded Reload
	s_waitcnt vmcnt(0)
	v_add_co_ci_u32_e64 v102, null, v10, v36, vcc_lo
	global_load_dword v10, v[101:102], off
	v_add_co_u32 v101, vcc_lo, v103, v35
	v_add_co_ci_u32_e64 v102, null, v104, v36, vcc_lo
	global_load_dword v26, v[101:102], off
.LBB151_106:                            ;   in Loop: Header=BB151_85 Depth=1
	s_or_b32 exec_lo, exec_lo, s12
	v_add_co_u32 v101, vcc_lo, 0xffffff09, v0
	v_add_co_ci_u32_e64 v102, null, -1, v1, vcc_lo
	s_mov_b32 s12, exec_lo
	v_cmpx_gt_i64_e64 s[8:9], v[101:102]
	s_cbranch_execz .LBB151_108
; %bb.107:                              ;   in Loop: Header=BB151_85 Depth=1
	s_clause 0x1
	buffer_load_dword v11, off, s[36:39], 0 offset:128
	buffer_load_dword v27, off, s[36:39], 0 offset:136
	s_waitcnt vmcnt(1)
	v_add_co_u32 v101, vcc_lo, v11, v35
	buffer_load_dword v11, off, s[36:39], 0 offset:132 ; 4-byte Folded Reload
	s_waitcnt vmcnt(0)
	v_add_co_ci_u32_e64 v102, null, v11, v36, vcc_lo
	global_load_dword v11, v[101:102], off
	v_add_co_u32 v101, vcc_lo, v27, v35
	buffer_load_dword v27, off, s[36:39], 0 offset:140 ; 4-byte Folded Reload
	s_waitcnt vmcnt(0)
	v_add_co_ci_u32_e64 v102, null, v27, v36, vcc_lo
	global_load_dword v27, v[101:102], off
.LBB151_108:                            ;   in Loop: Header=BB151_85 Depth=1
	s_or_b32 exec_lo, exec_lo, s12
	v_add_co_u32 v101, vcc_lo, 0xffffff0a, v0
	v_add_co_ci_u32_e64 v102, null, -1, v1, vcc_lo
	s_mov_b32 s12, exec_lo
	v_cmpx_gt_i64_e64 s[8:9], v[101:102]
	s_cbranch_execz .LBB151_110
; %bb.109:                              ;   in Loop: Header=BB151_85 Depth=1
	s_clause 0x1
	buffer_load_dword v12, off, s[36:39], 0 offset:112
	buffer_load_dword v28, off, s[36:39], 0 offset:120
	s_waitcnt vmcnt(1)
	v_add_co_u32 v101, vcc_lo, v12, v35
	buffer_load_dword v12, off, s[36:39], 0 offset:116 ; 4-byte Folded Reload
	s_waitcnt vmcnt(0)
	v_add_co_ci_u32_e64 v102, null, v12, v36, vcc_lo
	global_load_dword v12, v[101:102], off
	v_add_co_u32 v101, vcc_lo, v28, v35
	buffer_load_dword v28, off, s[36:39], 0 offset:124 ; 4-byte Folded Reload
	s_waitcnt vmcnt(0)
	v_add_co_ci_u32_e64 v102, null, v28, v36, vcc_lo
	global_load_dword v28, v[101:102], off
.LBB151_110:                            ;   in Loop: Header=BB151_85 Depth=1
	s_or_b32 exec_lo, exec_lo, s12
	v_add_co_u32 v101, vcc_lo, 0xffffff0b, v0
	v_add_co_ci_u32_e64 v102, null, -1, v1, vcc_lo
	s_mov_b32 s12, exec_lo
	v_cmpx_gt_i64_e64 s[8:9], v[101:102]
	s_cbranch_execz .LBB151_112
; %bb.111:                              ;   in Loop: Header=BB151_85 Depth=1
	s_clause 0x1
	buffer_load_dword v13, off, s[36:39], 0 offset:96
	buffer_load_dword v29, off, s[36:39], 0 offset:104
	s_waitcnt vmcnt(1)
	v_add_co_u32 v101, vcc_lo, v13, v35
	buffer_load_dword v13, off, s[36:39], 0 offset:100 ; 4-byte Folded Reload
	s_waitcnt vmcnt(0)
	v_add_co_ci_u32_e64 v102, null, v13, v36, vcc_lo
	global_load_dword v13, v[101:102], off
	v_add_co_u32 v101, vcc_lo, v29, v35
	buffer_load_dword v29, off, s[36:39], 0 offset:108 ; 4-byte Folded Reload
	s_waitcnt vmcnt(0)
	v_add_co_ci_u32_e64 v102, null, v29, v36, vcc_lo
	global_load_dword v29, v[101:102], off
.LBB151_112:                            ;   in Loop: Header=BB151_85 Depth=1
	s_or_b32 exec_lo, exec_lo, s12
	v_add_co_u32 v101, vcc_lo, 0xffffff0c, v0
	v_add_co_ci_u32_e64 v102, null, -1, v1, vcc_lo
	s_mov_b32 s12, exec_lo
	v_cmpx_gt_i64_e64 s[8:9], v[101:102]
	s_cbranch_execz .LBB151_114
; %bb.113:                              ;   in Loop: Header=BB151_85 Depth=1
	s_clause 0x1
	buffer_load_dword v14, off, s[36:39], 0 offset:80
	buffer_load_dword v30, off, s[36:39], 0 offset:88
	s_waitcnt vmcnt(1)
	v_add_co_u32 v101, vcc_lo, v14, v35
	buffer_load_dword v14, off, s[36:39], 0 offset:84 ; 4-byte Folded Reload
	s_waitcnt vmcnt(0)
	v_add_co_ci_u32_e64 v102, null, v14, v36, vcc_lo
	global_load_dword v14, v[101:102], off
	v_add_co_u32 v101, vcc_lo, v30, v35
	buffer_load_dword v30, off, s[36:39], 0 offset:92 ; 4-byte Folded Reload
	s_waitcnt vmcnt(0)
	v_add_co_ci_u32_e64 v102, null, v30, v36, vcc_lo
	global_load_dword v30, v[101:102], off
.LBB151_114:                            ;   in Loop: Header=BB151_85 Depth=1
	s_or_b32 exec_lo, exec_lo, s12
	v_add_co_u32 v101, vcc_lo, 0xffffff0d, v0
	v_add_co_ci_u32_e64 v102, null, -1, v1, vcc_lo
	s_mov_b32 s12, exec_lo
	v_cmpx_gt_i64_e64 s[8:9], v[101:102]
	s_cbranch_execz .LBB151_116
; %bb.115:                              ;   in Loop: Header=BB151_85 Depth=1
	s_clause 0x1
	buffer_load_dword v15, off, s[36:39], 0 offset:64
	buffer_load_dword v31, off, s[36:39], 0 offset:72
	s_waitcnt vmcnt(1)
	v_add_co_u32 v101, vcc_lo, v15, v35
	buffer_load_dword v15, off, s[36:39], 0 offset:68 ; 4-byte Folded Reload
	s_waitcnt vmcnt(0)
	v_add_co_ci_u32_e64 v102, null, v15, v36, vcc_lo
	global_load_dword v15, v[101:102], off
	v_add_co_u32 v101, vcc_lo, v31, v35
	buffer_load_dword v31, off, s[36:39], 0 offset:76 ; 4-byte Folded Reload
	s_waitcnt vmcnt(0)
	v_add_co_ci_u32_e64 v102, null, v31, v36, vcc_lo
	global_load_dword v31, v[101:102], off
.LBB151_116:                            ;   in Loop: Header=BB151_85 Depth=1
	s_or_b32 exec_lo, exec_lo, s12
	v_add_co_u32 v101, vcc_lo, 0xffffff0e, v0
	v_add_co_ci_u32_e64 v102, null, -1, v1, vcc_lo
	s_mov_b32 s12, exec_lo
	v_cmpx_gt_i64_e64 s[8:9], v[101:102]
	s_cbranch_execz .LBB151_118
; %bb.117:                              ;   in Loop: Header=BB151_85 Depth=1
	s_clause 0x1
	buffer_load_dword v16, off, s[36:39], 0 offset:48
	buffer_load_dword v32, off, s[36:39], 0 offset:56
	s_waitcnt vmcnt(1)
	v_add_co_u32 v101, vcc_lo, v16, v35
	buffer_load_dword v16, off, s[36:39], 0 offset:52 ; 4-byte Folded Reload
	s_waitcnt vmcnt(0)
	v_add_co_ci_u32_e64 v102, null, v16, v36, vcc_lo
	global_load_dword v16, v[101:102], off
	v_add_co_u32 v101, vcc_lo, v32, v35
	buffer_load_dword v32, off, s[36:39], 0 offset:60 ; 4-byte Folded Reload
	s_waitcnt vmcnt(0)
	v_add_co_ci_u32_e64 v102, null, v32, v36, vcc_lo
	global_load_dword v32, v[101:102], off
.LBB151_118:                            ;   in Loop: Header=BB151_85 Depth=1
	s_or_b32 exec_lo, exec_lo, s12
	v_add_co_u32 v101, vcc_lo, 0xffffff0f, v0
	v_add_co_ci_u32_e64 v102, null, -1, v1, vcc_lo
	s_mov_b32 s12, exec_lo
	v_cmpx_gt_i64_e64 s[8:9], v[101:102]
	s_cbranch_execz .LBB151_120
; %bb.119:                              ;   in Loop: Header=BB151_85 Depth=1
	s_clause 0x1
	buffer_load_dword v17, off, s[36:39], 0 offset:32
	buffer_load_dword v33, off, s[36:39], 0 offset:40
	s_waitcnt vmcnt(1)
	v_add_co_u32 v101, vcc_lo, v17, v35
	buffer_load_dword v17, off, s[36:39], 0 offset:36 ; 4-byte Folded Reload
	s_waitcnt vmcnt(0)
	v_add_co_ci_u32_e64 v102, null, v17, v36, vcc_lo
	global_load_dword v17, v[101:102], off
	v_add_co_u32 v101, vcc_lo, v33, v35
	buffer_load_dword v33, off, s[36:39], 0 offset:44 ; 4-byte Folded Reload
	s_waitcnt vmcnt(0)
	v_add_co_ci_u32_e64 v102, null, v33, v36, vcc_lo
	global_load_dword v33, v[101:102], off
.LBB151_120:                            ;   in Loop: Header=BB151_85 Depth=1
	s_or_b32 exec_lo, exec_lo, s12
	v_add_co_u32 v101, vcc_lo, 0xffffff10, v0
	v_add_co_ci_u32_e64 v102, null, -1, v1, vcc_lo
	s_mov_b32 s12, exec_lo
	v_cmpx_gt_i64_e64 s[8:9], v[101:102]
	s_cbranch_execz .LBB151_122
; %bb.121:                              ;   in Loop: Header=BB151_85 Depth=1
	s_clause 0x1
	buffer_load_dword v18, off, s[36:39], 0 offset:16
	buffer_load_dword v34, off, s[36:39], 0 offset:24
	s_waitcnt vmcnt(1)
	v_add_co_u32 v101, vcc_lo, v18, v35
	buffer_load_dword v18, off, s[36:39], 0 offset:20 ; 4-byte Folded Reload
	s_waitcnt vmcnt(0)
	v_add_co_ci_u32_e64 v102, null, v18, v36, vcc_lo
	global_load_dword v18, v[101:102], off
	v_add_co_u32 v101, vcc_lo, v34, v35
	buffer_load_dword v34, off, s[36:39], 0 offset:28 ; 4-byte Folded Reload
	s_waitcnt vmcnt(0)
	v_add_co_ci_u32_e64 v102, null, v34, v36, vcc_lo
	global_load_dword v34, v[101:102], off
.LBB151_122:                            ;   in Loop: Header=BB151_85 Depth=1
	s_or_b32 exec_lo, exec_lo, s12
	s_waitcnt vmcnt(0)
	v_mul_f32_e32 v3, v19, v3
	ds_bpermute_b32 v19, v2, v99
	v_mul_f32_e32 v4, v20, v4
	ds_bpermute_b32 v20, v2, v99 offset:4
	v_mul_f32_e32 v5, v21, v5
	ds_bpermute_b32 v21, v2, v99 offset:8
	;; [unrolled: 2-line block ×4, first 2 shown]
	v_mul_f32_e32 v8, v24, v8
	v_mul_f32_e32 v9, v25, v9
	;; [unrolled: 1-line block ×11, first 2 shown]
	s_waitcnt lgkmcnt(4)
	v_fma_f32 v98, v3, v19, v100
	ds_bpermute_b32 v3, v2, v99 offset:20
	s_mov_b32 s12, 0
	s_waitcnt lgkmcnt(4)
	v_fmac_f32_e32 v98, v4, v20
	ds_bpermute_b32 v4, v2, v99 offset:24
	s_waitcnt lgkmcnt(4)
	v_fmac_f32_e32 v98, v5, v21
	ds_bpermute_b32 v5, v2, v99 offset:28
	;; [unrolled: 3-line block ×8, first 2 shown]
	s_waitcnt lgkmcnt(4)
	v_fmac_f32_e32 v98, v12, v7
	s_waitcnt lgkmcnt(3)
	v_fmac_f32_e32 v98, v13, v3
	ds_bpermute_b32 v3, v2, v99 offset:56
	s_waitcnt lgkmcnt(3)
	v_fmac_f32_e32 v98, v14, v4
	ds_bpermute_b32 v4, v2, v99 offset:60
	s_waitcnt lgkmcnt(3)
	v_fmac_f32_e32 v98, v15, v5
	s_waitcnt lgkmcnt(2)
	v_fmac_f32_e32 v98, v16, v6
	s_waitcnt lgkmcnt(1)
	v_fmac_f32_e32 v98, v17, v3
	s_waitcnt lgkmcnt(0)
	v_fmac_f32_e32 v98, v18, v4
.LBB151_123:                            ;   in Loop: Header=BB151_85 Depth=1
	s_and_b32 vcc_lo, exec_lo, s12
	s_cbranch_vccz .LBB151_129
; %bb.124:                              ;   in Loop: Header=BB151_85 Depth=1
	s_load_dword s12, s[0:1], 0x0
	s_waitcnt lgkmcnt(0)
	s_cmp_lt_u32 s6, s12
	s_cselect_b32 s12, 12, 18
	s_add_u32 s12, s0, s12
	s_addc_u32 s13, s1, 0
	global_load_ushort v3, v2, s[12:13]
	s_clause 0x1
	buffer_load_dword v4, off, s[36:39], 0 offset:152
	buffer_load_dword v5, off, s[36:39], 0 offset:156
	s_mov_b32 s12, exec_lo
	s_waitcnt vmcnt(0)
	v_mad_u32_u24 v3, v5, v3, v4
	v_mov_b32_e32 v5, 0
	v_and_b32_e32 v3, 31, v3
	v_cmpx_gt_u32_e32 16, v3
	s_cbranch_execz .LBB151_128
; %bb.125:                              ;   in Loop: Header=BB151_85 Depth=1
	v_add_co_u32 v0, vcc_lo, v0, v3
	v_add_co_ci_u32_e64 v1, null, 0, v1, vcc_lo
	v_mov_b32_e32 v5, 0
	v_add_co_u32 v3, vcc_lo, 0xffffff01, v0
	v_add_co_ci_u32_e64 v4, null, -1, v1, vcc_lo
	s_mov_b32 s13, exec_lo
	v_cmpx_gt_i64_e64 s[8:9], v[3:4]
	s_cbranch_execz .LBB151_127
; %bb.126:                              ;   in Loop: Header=BB151_85 Depth=1
	v_lshlrev_b64 v[0:1], 2, v[3:4]
	v_add_co_u32 v0, vcc_lo, s2, v0
	v_add_co_ci_u32_e64 v1, null, s3, v1, vcc_lo
	global_load_dword v5, v[0:1], off
.LBB151_127:                            ;   in Loop: Header=BB151_85 Depth=1
	s_or_b32 exec_lo, exec_lo, s13
.LBB151_128:                            ;   in Loop: Header=BB151_85 Depth=1
	s_or_b32 exec_lo, exec_lo, s12
	s_clause 0x1
	buffer_load_dword v0, off, s[36:39], 0
	buffer_load_dword v1, off, s[36:39], 0 offset:4
	s_waitcnt vmcnt(1)
	v_add_co_u32 v0, vcc_lo, v0, v35
	s_waitcnt vmcnt(0)
	v_add_co_ci_u32_e64 v1, null, v1, v36, vcc_lo
	global_load_dword v3, v[0:1], off
	s_clause 0x1
	buffer_load_dword v0, off, s[36:39], 0 offset:8
	buffer_load_dword v1, off, s[36:39], 0 offset:12
	s_waitcnt vmcnt(1)
	v_add_co_u32 v0, vcc_lo, v0, v35
	s_waitcnt vmcnt(0)
	v_add_co_ci_u32_e64 v1, null, v1, v36, vcc_lo
	global_load_dword v0, v[0:1], off
	ds_bpermute_b32 v1, v2, v5
	s_waitcnt vmcnt(0)
	v_mul_f32_e32 v0, v3, v0
	s_waitcnt lgkmcnt(0)
	v_fmac_f32_e32 v100, v0, v1
	v_add_co_u32 v0, vcc_lo, v37, v35
	v_add_co_ci_u32_e64 v1, null, v38, v36, vcc_lo
	global_load_dword v3, v[0:1], off
	v_add_co_u32 v0, vcc_lo, v67, v35
	v_add_co_ci_u32_e64 v1, null, v68, v36, vcc_lo
	global_load_dword v0, v[0:1], off
	ds_bpermute_b32 v1, v2, v5 offset:4
	s_waitcnt vmcnt(0)
	v_mul_f32_e32 v0, v3, v0
	s_waitcnt lgkmcnt(0)
	v_fmac_f32_e32 v100, v0, v1
	v_add_co_u32 v0, vcc_lo, v39, v35
	v_add_co_ci_u32_e64 v1, null, v40, v36, vcc_lo
	global_load_dword v3, v[0:1], off
	v_add_co_u32 v0, vcc_lo, v69, v35
	v_add_co_ci_u32_e64 v1, null, v70, v36, vcc_lo
	global_load_dword v0, v[0:1], off
	ds_bpermute_b32 v1, v2, v5 offset:8
	;; [unrolled: 11-line block ×15, first 2 shown]
	s_waitcnt vmcnt(0)
	v_mul_f32_e32 v0, v3, v0
	s_waitcnt lgkmcnt(0)
	v_fmac_f32_e32 v100, v0, v1
	v_mov_b32_e32 v98, v100
.LBB151_129:                            ;   in Loop: Header=BB151_85 Depth=1
	buffer_load_dword v0, off, s[36:39], 0  ; 4-byte Folded Reload
	s_add_u32 s16, s16, s7
	s_addc_u32 s17, s17, 0
	s_add_u32 s20, s20, s7
	v_cmp_ge_i64_e64 s12, s[16:17], s[8:9]
	s_addc_u32 s21, s21, 0
	s_waitcnt vmcnt(0)
	v_add_co_u32 v0, vcc_lo, v0, s18
	buffer_store_dword v0, off, s[36:39], 0 ; 4-byte Folded Spill
	buffer_load_dword v0, off, s[36:39], 0 offset:4 ; 4-byte Folded Reload
	s_waitcnt vmcnt(0)
	v_add_co_ci_u32_e64 v0, null, s19, v0, vcc_lo
	buffer_store_dword v0, off, s[36:39], 0 offset:4 ; 4-byte Folded Spill
	buffer_load_dword v0, off, s[36:39], 0 offset:8 ; 4-byte Folded Reload
	s_waitcnt vmcnt(0)
	v_add_co_u32 v0, vcc_lo, v0, s18
	buffer_store_dword v0, off, s[36:39], 0 offset:8 ; 4-byte Folded Spill
	buffer_load_dword v0, off, s[36:39], 0 offset:12 ; 4-byte Folded Reload
	s_waitcnt vmcnt(0)
	v_add_co_ci_u32_e64 v0, null, s19, v0, vcc_lo
	v_add_co_u32 v37, vcc_lo, v37, s18
	v_add_co_ci_u32_e64 v38, null, s19, v38, vcc_lo
	buffer_store_dword v0, off, s[36:39], 0 offset:12 ; 4-byte Folded Spill
	buffer_load_dword v0, off, s[36:39], 0 offset:16 ; 4-byte Folded Reload
	v_add_co_u32 v39, vcc_lo, v39, s18
	v_add_co_ci_u32_e64 v40, null, s19, v40, vcc_lo
	v_add_co_u32 v41, vcc_lo, v41, s18
	v_add_co_ci_u32_e64 v42, null, s19, v42, vcc_lo
	;; [unrolled: 2-line block ×29, first 2 shown]
	s_waitcnt vmcnt(0)
	v_add_co_u32 v0, vcc_lo, v0, s18
	buffer_store_dword v0, off, s[36:39], 0 offset:16 ; 4-byte Folded Spill
	buffer_load_dword v0, off, s[36:39], 0 offset:20 ; 4-byte Folded Reload
	s_waitcnt vmcnt(0)
	v_add_co_ci_u32_e64 v0, null, s19, v0, vcc_lo
	buffer_store_dword v0, off, s[36:39], 0 offset:20 ; 4-byte Folded Spill
	buffer_load_dword v0, off, s[36:39], 0 offset:24 ; 4-byte Folded Reload
	s_waitcnt vmcnt(0)
	v_add_co_u32 v0, vcc_lo, v0, s18
	buffer_store_dword v0, off, s[36:39], 0 offset:24 ; 4-byte Folded Spill
	buffer_load_dword v0, off, s[36:39], 0 offset:28 ; 4-byte Folded Reload
	s_waitcnt vmcnt(0)
	v_add_co_ci_u32_e64 v0, null, s19, v0, vcc_lo
	buffer_store_dword v0, off, s[36:39], 0 offset:28 ; 4-byte Folded Spill
	buffer_load_dword v0, off, s[36:39], 0 offset:32 ; 4-byte Folded Reload
	;; [unrolled: 8-line block ×16, first 2 shown]
	s_waitcnt vmcnt(0)
	v_add_co_u32 v0, vcc_lo, v0, s18
	buffer_store_dword v0, off, s[36:39], 0 offset:144 ; 4-byte Folded Spill
	buffer_load_dword v0, off, s[36:39], 0 offset:148 ; 4-byte Folded Reload
	s_waitcnt vmcnt(0)
	v_add_co_ci_u32_e64 v0, null, s19, v0, vcc_lo
	v_add_co_u32 v103, vcc_lo, v103, s18
	v_add_co_ci_u32_e64 v104, null, s19, v104, vcc_lo
	v_add_co_u32 v105, vcc_lo, v105, s18
	;; [unrolled: 2-line block ×13, first 2 shown]
	v_add_co_ci_u32_e64 v97, null, s19, v97, vcc_lo
	s_and_b32 vcc_lo, exec_lo, s12
	buffer_store_dword v0, off, s[36:39], 0 offset:148 ; 4-byte Folded Spill
	s_cbranch_vccnz .LBB151_131
; %bb.130:                              ;   in Loop: Header=BB151_85 Depth=1
	v_mov_b32_e32 v100, v98
	s_branch .LBB151_85
.LBB151_131:
	s_clause 0x1
	buffer_load_dword v0, off, s[36:39], 0 offset:152
	buffer_load_dword v1, off, s[36:39], 0 offset:156
.LBB151_132:
	s_waitcnt vmcnt(0)
	v_mad_u32_u24 v2, 0x41, v1, v0
	s_mov_b32 s0, exec_lo
	v_lshl_add_u32 v4, v2, 2, 0
	v_sub_nc_u32_e32 v3, v2, v1
	v_mov_b32_e32 v2, 0
	ds_write_b32 v4, v98
	ds_write_b32 v4, v2 offset:4160
	s_waitcnt lgkmcnt(0)
	s_waitcnt_vscnt null, 0x0
	s_barrier
	buffer_gl0_inv
	v_cmpx_gt_u32_e32 0x800, v3
	s_cbranch_execz .LBB151_142
; %bb.133:
	s_load_dwordx2 s[2:3], s[4:5], 0x30
	v_and_b32_e32 v1, 31, v0
	v_lshrrev_b32_e32 v11, 5, v3
	v_cmp_gt_u32_e32 vcc_lo, 16, v1
	v_mul_u32_u24_e32 v4, 0x41, v1
                                        ; implicit-def: $vgpr1
	s_and_saveexec_b32 s0, vcc_lo
	s_cbranch_execz .LBB151_135
; %bb.134:
	v_lshlrev_b32_e32 v1, 2, v11
	v_lshlrev_b32_e32 v2, 2, v4
	v_add3_u32 v1, 0, v1, v2
	ds_read_b32 v1, v1
.LBB151_135:
	s_or_b32 exec_lo, exec_lo, s0
	v_mbcnt_lo_u32_b32 v2, -1, 0
	s_mov_b32 s7, 0
	s_lshl_b64 s[4:5], s[6:7], 6
	s_waitcnt lgkmcnt(0)
	s_cmp_eq_u64 s[2:3], 0
	v_xor_b32_e32 v5, 8, v2
	v_xor_b32_e32 v6, 4, v2
	;; [unrolled: 1-line block ×3, first 2 shown]
	s_cselect_b32 s6, -1, 0
	v_cmp_gt_i32_e64 s0, 32, v5
	v_cndmask_b32_e64 v5, v2, v5, s0
	v_cmp_gt_i32_e64 s0, 32, v6
	v_lshlrev_b32_e32 v5, 2, v5
	v_cndmask_b32_e64 v6, v2, v6, s0
	ds_bpermute_b32 v7, v5, v1
	v_lshlrev_b32_e32 v6, 2, v6
	s_waitcnt lgkmcnt(0)
	v_add_f32_e32 v1, v1, v7
	v_xor_b32_e32 v7, 2, v2
	ds_bpermute_b32 v8, v6, v1
	v_cmp_gt_i32_e64 s0, 32, v7
	v_cndmask_b32_e64 v7, v2, v7, s0
	v_cmp_gt_i32_e64 s0, 32, v9
	v_lshlrev_b32_e32 v7, 2, v7
	v_cndmask_b32_e64 v2, v2, v9, s0
	v_cmp_ne_u32_e64 s0, 0, v0
	s_waitcnt lgkmcnt(0)
	v_add_f32_e32 v1, v1, v8
	ds_bpermute_b32 v8, v7, v1
	s_waitcnt lgkmcnt(0)
	v_add_f32_e32 v9, v1, v8
	v_lshlrev_b32_e32 v8, 2, v2
	v_or_b32_e32 v1, s4, v11
	v_mov_b32_e32 v2, s5
	ds_bpermute_b32 v10, v8, v9
	v_cmp_le_i64_e64 s1, s[10:11], v[1:2]
	s_or_b32 s1, s0, s1
	s_nor_b32 s1, s6, s1
	s_waitcnt lgkmcnt(0)
	v_add_f32_e32 v9, v9, v10
	s_and_saveexec_b32 s7, s1
	s_cbranch_execz .LBB151_137
; %bb.136:
	v_lshlrev_b64 v[1:2], 2, v[1:2]
	v_add_co_u32 v1, s1, s2, v1
	v_add_co_ci_u32_e64 v2, null, s3, v2, s1
	global_store_dword v[1:2], v9, off
.LBB151_137:
	s_or_b32 exec_lo, exec_lo, s7
	v_cmp_gt_u32_e64 s1, 0x400, v3
	s_and_b32 exec_lo, exec_lo, s1
	s_cbranch_execz .LBB151_142
; %bb.138:
	s_and_saveexec_b32 s1, vcc_lo
	s_cbranch_execz .LBB151_140
; %bb.139:
	v_lshlrev_b32_e32 v1, 2, v11
	v_lshlrev_b32_e32 v2, 2, v4
	v_add3_u32 v1, 0, v1, v2
	ds_read_b32 v9, v1 offset:128
.LBB151_140:
	s_or_b32 exec_lo, exec_lo, s1
	s_waitcnt lgkmcnt(0)
	ds_bpermute_b32 v1, v5, v9
	v_add_nc_u32_e32 v3, 32, v11
	v_mov_b32_e32 v4, s5
	v_or_b32_e32 v3, s4, v3
	v_cmp_le_i64_e32 vcc_lo, s[10:11], v[3:4]
	s_or_b32 s0, s0, vcc_lo
	s_nor_b32 s0, s6, s0
	s_waitcnt lgkmcnt(0)
	v_add_f32_e32 v1, v9, v1
	ds_bpermute_b32 v2, v6, v1
	s_waitcnt lgkmcnt(0)
	v_add_f32_e32 v1, v1, v2
	ds_bpermute_b32 v2, v7, v1
	;; [unrolled: 3-line block ×3, first 2 shown]
	s_and_saveexec_b32 s1, s0
	s_xor_b32 s1, exec_lo, s1
	s_cbranch_execz .LBB151_142
; %bb.141:
	v_add_co_u32 v3, s0, s4, v11
	v_add_co_ci_u32_e64 v4, null, s5, 0, s0
	s_waitcnt lgkmcnt(0)
	v_add_f32_e32 v2, v1, v2
	v_lshlrev_b64 v[3:4], 2, v[3:4]
	v_add_co_u32 v0, vcc_lo, s2, v3
	v_add_co_ci_u32_e64 v1, null, s3, v4, vcc_lo
	global_store_dword v[0:1], v2, off offset:128
.LBB151_142:
	s_endpgm
	.section	.rodata,"a",@progbits
	.p2align	6, 0x0
	.amdhsa_kernel _ZN2at6native12_GLOBAL__N_135GammaBetaBackwardCUDAKernelTemplateIffLj64ELj16ELj256ELb0ELb0ELb1EEEvllPKT_S5_PKT0_S8_PS3_S9_
		.amdhsa_group_segment_fixed_size 0
		.amdhsa_private_segment_fixed_size 168
		.amdhsa_kernarg_size 320
		.amdhsa_user_sgpr_count 6
		.amdhsa_user_sgpr_private_segment_buffer 1
		.amdhsa_user_sgpr_dispatch_ptr 0
		.amdhsa_user_sgpr_queue_ptr 0
		.amdhsa_user_sgpr_kernarg_segment_ptr 1
		.amdhsa_user_sgpr_dispatch_id 0
		.amdhsa_user_sgpr_flat_scratch_init 0
		.amdhsa_user_sgpr_private_segment_size 0
		.amdhsa_wavefront_size32 1
		.amdhsa_uses_dynamic_stack 0
		.amdhsa_system_sgpr_private_segment_wavefront_offset 1
		.amdhsa_system_sgpr_workgroup_id_x 1
		.amdhsa_system_sgpr_workgroup_id_y 1
		.amdhsa_system_sgpr_workgroup_id_z 0
		.amdhsa_system_sgpr_workgroup_info 0
		.amdhsa_system_vgpr_workitem_id 1
		.amdhsa_next_free_vgpr 128
		.amdhsa_next_free_sgpr 40
		.amdhsa_reserve_vcc 1
		.amdhsa_reserve_flat_scratch 0
		.amdhsa_float_round_mode_32 0
		.amdhsa_float_round_mode_16_64 0
		.amdhsa_float_denorm_mode_32 3
		.amdhsa_float_denorm_mode_16_64 3
		.amdhsa_dx10_clamp 1
		.amdhsa_ieee_mode 1
		.amdhsa_fp16_overflow 0
		.amdhsa_workgroup_processor_mode 1
		.amdhsa_memory_ordered 1
		.amdhsa_forward_progress 1
		.amdhsa_shared_vgpr_count 0
		.amdhsa_exception_fp_ieee_invalid_op 0
		.amdhsa_exception_fp_denorm_src 0
		.amdhsa_exception_fp_ieee_div_zero 0
		.amdhsa_exception_fp_ieee_overflow 0
		.amdhsa_exception_fp_ieee_underflow 0
		.amdhsa_exception_fp_ieee_inexact 0
		.amdhsa_exception_int_div_zero 0
	.end_amdhsa_kernel
	.section	.text._ZN2at6native12_GLOBAL__N_135GammaBetaBackwardCUDAKernelTemplateIffLj64ELj16ELj256ELb0ELb0ELb1EEEvllPKT_S5_PKT0_S8_PS3_S9_,"axG",@progbits,_ZN2at6native12_GLOBAL__N_135GammaBetaBackwardCUDAKernelTemplateIffLj64ELj16ELj256ELb0ELb0ELb1EEEvllPKT_S5_PKT0_S8_PS3_S9_,comdat
.Lfunc_end151:
	.size	_ZN2at6native12_GLOBAL__N_135GammaBetaBackwardCUDAKernelTemplateIffLj64ELj16ELj256ELb0ELb0ELb1EEEvllPKT_S5_PKT0_S8_PS3_S9_, .Lfunc_end151-_ZN2at6native12_GLOBAL__N_135GammaBetaBackwardCUDAKernelTemplateIffLj64ELj16ELj256ELb0ELb0ELb1EEEvllPKT_S5_PKT0_S8_PS3_S9_
                                        ; -- End function
	.set _ZN2at6native12_GLOBAL__N_135GammaBetaBackwardCUDAKernelTemplateIffLj64ELj16ELj256ELb0ELb0ELb1EEEvllPKT_S5_PKT0_S8_PS3_S9_.num_vgpr, 128
	.set _ZN2at6native12_GLOBAL__N_135GammaBetaBackwardCUDAKernelTemplateIffLj64ELj16ELj256ELb0ELb0ELb1EEEvllPKT_S5_PKT0_S8_PS3_S9_.num_agpr, 0
	.set _ZN2at6native12_GLOBAL__N_135GammaBetaBackwardCUDAKernelTemplateIffLj64ELj16ELj256ELb0ELb0ELb1EEEvllPKT_S5_PKT0_S8_PS3_S9_.numbered_sgpr, 40
	.set _ZN2at6native12_GLOBAL__N_135GammaBetaBackwardCUDAKernelTemplateIffLj64ELj16ELj256ELb0ELb0ELb1EEEvllPKT_S5_PKT0_S8_PS3_S9_.num_named_barrier, 0
	.set _ZN2at6native12_GLOBAL__N_135GammaBetaBackwardCUDAKernelTemplateIffLj64ELj16ELj256ELb0ELb0ELb1EEEvllPKT_S5_PKT0_S8_PS3_S9_.private_seg_size, 168
	.set _ZN2at6native12_GLOBAL__N_135GammaBetaBackwardCUDAKernelTemplateIffLj64ELj16ELj256ELb0ELb0ELb1EEEvllPKT_S5_PKT0_S8_PS3_S9_.uses_vcc, 1
	.set _ZN2at6native12_GLOBAL__N_135GammaBetaBackwardCUDAKernelTemplateIffLj64ELj16ELj256ELb0ELb0ELb1EEEvllPKT_S5_PKT0_S8_PS3_S9_.uses_flat_scratch, 0
	.set _ZN2at6native12_GLOBAL__N_135GammaBetaBackwardCUDAKernelTemplateIffLj64ELj16ELj256ELb0ELb0ELb1EEEvllPKT_S5_PKT0_S8_PS3_S9_.has_dyn_sized_stack, 0
	.set _ZN2at6native12_GLOBAL__N_135GammaBetaBackwardCUDAKernelTemplateIffLj64ELj16ELj256ELb0ELb0ELb1EEEvllPKT_S5_PKT0_S8_PS3_S9_.has_recursion, 0
	.set _ZN2at6native12_GLOBAL__N_135GammaBetaBackwardCUDAKernelTemplateIffLj64ELj16ELj256ELb0ELb0ELb1EEEvllPKT_S5_PKT0_S8_PS3_S9_.has_indirect_call, 0
	.section	.AMDGPU.csdata,"",@progbits
; Kernel info:
; codeLenInByte = 15652
; TotalNumSgprs: 42
; NumVgprs: 128
; ScratchSize: 168
; MemoryBound: 0
; FloatMode: 240
; IeeeMode: 1
; LDSByteSize: 0 bytes/workgroup (compile time only)
; SGPRBlocks: 0
; VGPRBlocks: 15
; NumSGPRsForWavesPerEU: 42
; NumVGPRsForWavesPerEU: 128
; Occupancy: 8
; WaveLimiterHint : 0
; COMPUTE_PGM_RSRC2:SCRATCH_EN: 1
; COMPUTE_PGM_RSRC2:USER_SGPR: 6
; COMPUTE_PGM_RSRC2:TRAP_HANDLER: 0
; COMPUTE_PGM_RSRC2:TGID_X_EN: 1
; COMPUTE_PGM_RSRC2:TGID_Y_EN: 1
; COMPUTE_PGM_RSRC2:TGID_Z_EN: 0
; COMPUTE_PGM_RSRC2:TIDIG_COMP_CNT: 1
	.section	.text._ZN2at6native12_GLOBAL__N_135GammaBetaBackwardCUDAKernelTemplateIffLj32ELj1ELj32ELb1ELb1ELb1EEEvllPKT_S5_PKT0_S8_PS3_S9_,"axG",@progbits,_ZN2at6native12_GLOBAL__N_135GammaBetaBackwardCUDAKernelTemplateIffLj32ELj1ELj32ELb1ELb1ELb1EEEvllPKT_S5_PKT0_S8_PS3_S9_,comdat
	.globl	_ZN2at6native12_GLOBAL__N_135GammaBetaBackwardCUDAKernelTemplateIffLj32ELj1ELj32ELb1ELb1ELb1EEEvllPKT_S5_PKT0_S8_PS3_S9_ ; -- Begin function _ZN2at6native12_GLOBAL__N_135GammaBetaBackwardCUDAKernelTemplateIffLj32ELj1ELj32ELb1ELb1ELb1EEEvllPKT_S5_PKT0_S8_PS3_S9_
	.p2align	8
	.type	_ZN2at6native12_GLOBAL__N_135GammaBetaBackwardCUDAKernelTemplateIffLj32ELj1ELj32ELb1ELb1ELb1EEEvllPKT_S5_PKT0_S8_PS3_S9_,@function
_ZN2at6native12_GLOBAL__N_135GammaBetaBackwardCUDAKernelTemplateIffLj32ELj1ELj32ELb1ELb1ELb1EEEvllPKT_S5_PKT0_S8_PS3_S9_: ; @_ZN2at6native12_GLOBAL__N_135GammaBetaBackwardCUDAKernelTemplateIffLj32ELj1ELj32ELb1ELb1ELb1EEEvllPKT_S5_PKT0_S8_PS3_S9_
; %bb.0:
	s_clause 0x1
	s_load_dwordx4 s[0:3], s[4:5], 0x0
	s_load_dwordx2 s[12:13], s[4:5], 0x30
	s_lshl_b32 s14, s7, 5
	s_mov_b32 s15, 0
	v_mov_b32_e32 v30, 0
	s_waitcnt lgkmcnt(0)
	v_cmp_le_i64_e64 s8, s[0:1], s[14:15]
	s_and_b32 vcc_lo, exec_lo, s8
	s_cbranch_vccnz .LBB152_5
; %bb.1:
	s_clause 0x3
	s_load_dword s16, s[4:5], 0x4c
	s_load_dword s17, s[4:5], 0x44
	s_load_dwordx4 s[8:11], s[4:5], 0x10
	s_load_dwordx2 s[18:19], s[4:5], 0x28
	v_lshlrev_b32_e32 v4, 5, v1
	v_mov_b32_e32 v3, 0
	v_lshl_or_b32 v2, s6, 5, v0
	v_mov_b32_e32 v8, 4
	v_mov_b32_e32 v9, 8
	;; [unrolled: 1-line block ×13, first 2 shown]
	s_waitcnt lgkmcnt(0)
	s_and_b32 s16, s16, 0xffff
	v_mov_b32_e32 v21, 56
	v_mad_u32_u24 v5, v1, s16, v0
	v_add_co_u32 v40, s16, v4, s14
	v_add_co_ci_u32_e64 v41, null, 0, 0, s16
	v_and_b32_e32 v30, 31, v5
	v_mul_lo_u32 v6, s3, v40
	v_mad_u64_u32 v[4:5], null, s2, v40, 0
	v_mul_lo_u32 v7, s2, v41
	s_lshl_b32 s16, s17, 5
	v_mov_b32_e32 v22, 60
	s_mul_i32 s20, s3, s16
	s_mul_hi_u32 s21, s2, s16
	v_mov_b32_e32 v23, 64
	v_mov_b32_e32 v24, 0x44
	;; [unrolled: 1-line block ×3, first 2 shown]
	v_add3_u32 v5, v5, v7, v6
	v_mov_b32_e32 v26, 0x4c
	v_mov_b32_e32 v27, 0x50
	;; [unrolled: 1-line block ×4, first 2 shown]
	v_lshlrev_b64 v[6:7], 2, v[4:5]
	v_add_co_u32 v4, vcc_lo, v40, v30
	v_add_co_ci_u32_e64 v5, null, 0, v41, vcc_lo
	v_lshlrev_b64 v[40:41], 2, v[2:3]
	v_mov_b32_e32 v31, 0x5c
	v_mov_b32_e32 v32, 0x60
	v_lshlrev_b64 v[42:43], 2, v[4:5]
	v_mov_b32_e32 v33, 0x64
	v_mov_b32_e32 v34, 0x68
	v_add_co_u32 v2, vcc_lo, v6, v40
	v_add_co_ci_u32_e64 v40, null, v7, v41, vcc_lo
	v_add_co_u32 v6, vcc_lo, s18, v42
	v_mov_b32_e32 v35, 0x6c
	v_mov_b32_e32 v36, 0x70
	;; [unrolled: 1-line block ×5, first 2 shown]
	v_add_co_ci_u32_e64 v7, null, s19, v43, vcc_lo
	v_mov_b32_e32 v30, 0
	s_mov_b32 s17, s15
	s_add_i32 s21, s21, s20
	s_mul_i32 s20, s2, s16
	s_lshl_b64 s[22:23], s[2:3], 2
	s_lshl_b64 s[18:19], s[20:21], 2
	;; [unrolled: 1-line block ×3, first 2 shown]
	s_branch .LBB152_3
.LBB152_2:                              ;   in Loop: Header=BB152_3 Depth=1
	s_or_b32 exec_lo, exec_lo, s17
	v_add_co_u32 v42, vcc_lo, s8, v2
	v_add_co_ci_u32_e64 v43, null, s9, v40, vcc_lo
	v_add_co_u32 v44, vcc_lo, s10, v2
	v_add_co_ci_u32_e64 v45, null, s11, v40, vcc_lo
	global_load_dword v48, v[42:43], off
	global_load_dword v49, v[44:45], off
	v_add_co_u32 v42, vcc_lo, v42, s22
	v_add_co_ci_u32_e64 v43, null, s23, v43, vcc_lo
	v_add_co_u32 v44, vcc_lo, v44, s22
	v_add_co_ci_u32_e64 v45, null, s23, v45, vcc_lo
	global_load_dword v50, v[42:43], off
	global_load_dword v51, v[44:45], off
	;; [unrolled: 6-line block ×6, first 2 shown]
	v_add_co_u32 v42, vcc_lo, v42, s22
	v_add_co_ci_u32_e64 v43, null, s23, v43, vcc_lo
	v_add_co_u32 v44, vcc_lo, v44, s22
	v_add_co_ci_u32_e64 v45, null, s23, v45, vcc_lo
	global_load_dword v60, v[42:43], off
	v_add_co_u32 v42, vcc_lo, v42, s22
	global_load_dword v61, v[44:45], off
	v_add_co_ci_u32_e64 v43, null, s23, v43, vcc_lo
	v_add_co_u32 v46, vcc_lo, v44, s22
	v_add_co_ci_u32_e64 v47, null, s23, v45, vcc_lo
	v_add_co_u32 v44, vcc_lo, v42, s22
	v_add_co_ci_u32_e64 v45, null, s23, v43, vcc_lo
	global_load_dword v62, v[42:43], off
	s_waitcnt vmcnt(15)
	ds_bpermute_b32 v43, v3, v41
	s_add_u32 s14, s14, s16
	s_addc_u32 s15, s15, 0
	v_cmp_lt_i64_e64 s17, s[14:15], s[0:1]
	s_waitcnt vmcnt(13)
	v_mul_f32_e32 v42, v48, v49
	global_load_dword v48, v[46:47], off
	global_load_dword v49, v[44:45], off
	s_waitcnt lgkmcnt(0)
	v_fmac_f32_e32 v30, v42, v43
	v_add_co_u32 v42, vcc_lo, v46, s22
	v_add_co_ci_u32_e64 v43, null, s23, v47, vcc_lo
	v_add_co_u32 v46, vcc_lo, v44, s22
	s_waitcnt vmcnt(13)
	v_mul_f32_e32 v44, v50, v51
	global_load_dword v50, v[42:43], off
	v_add_co_ci_u32_e64 v47, null, s23, v45, vcc_lo
	ds_bpermute_b32 v45, v8, v41
	global_load_dword v51, v[46:47], off
	s_waitcnt lgkmcnt(0)
	v_fmac_f32_e32 v30, v44, v45
	v_add_co_u32 v44, vcc_lo, v42, s22
	v_add_co_ci_u32_e64 v45, null, s23, v43, vcc_lo
	v_add_co_u32 v42, vcc_lo, v46, s22
	v_add_co_ci_u32_e64 v43, null, s23, v47, vcc_lo
	ds_bpermute_b32 v47, v9, v41
	s_waitcnt vmcnt(13)
	v_mul_f32_e32 v46, v52, v53
	global_load_dword v52, v[44:45], off
	global_load_dword v53, v[42:43], off
	s_waitcnt lgkmcnt(0)
	v_fmac_f32_e32 v30, v46, v47
	v_add_co_u32 v46, vcc_lo, v44, s22
	v_add_co_ci_u32_e64 v47, null, s23, v45, vcc_lo
	v_add_co_u32 v44, vcc_lo, v42, s22
	v_add_co_ci_u32_e64 v45, null, s23, v43, vcc_lo
	ds_bpermute_b32 v43, v10, v41
	s_waitcnt vmcnt(13)
	v_mul_f32_e32 v42, v54, v55
	global_load_dword v54, v[46:47], off
	global_load_dword v55, v[44:45], off
	s_waitcnt lgkmcnt(0)
	v_fmac_f32_e32 v30, v42, v43
	v_add_co_u32 v42, vcc_lo, v46, s22
	v_add_co_ci_u32_e64 v43, null, s23, v47, vcc_lo
	v_add_co_u32 v46, vcc_lo, v44, s22
	v_add_co_ci_u32_e64 v47, null, s23, v45, vcc_lo
	ds_bpermute_b32 v45, v11, v41
	s_waitcnt vmcnt(13)
	v_mul_f32_e32 v44, v56, v57
	global_load_dword v56, v[42:43], off
	global_load_dword v57, v[46:47], off
	s_waitcnt lgkmcnt(0)
	v_fmac_f32_e32 v30, v44, v45
	v_add_co_u32 v44, vcc_lo, v42, s22
	v_add_co_ci_u32_e64 v45, null, s23, v43, vcc_lo
	v_add_co_u32 v42, vcc_lo, v46, s22
	v_add_co_ci_u32_e64 v43, null, s23, v47, vcc_lo
	ds_bpermute_b32 v47, v12, v41
	s_waitcnt vmcnt(13)
	v_mul_f32_e32 v46, v58, v59
	global_load_dword v58, v[44:45], off
	global_load_dword v59, v[42:43], off
	s_waitcnt lgkmcnt(0)
	v_fmac_f32_e32 v30, v46, v47
	v_add_co_u32 v46, vcc_lo, v44, s22
	v_add_co_ci_u32_e64 v47, null, s23, v45, vcc_lo
	v_add_co_u32 v44, vcc_lo, v42, s22
	v_add_co_ci_u32_e64 v45, null, s23, v43, vcc_lo
	ds_bpermute_b32 v43, v13, v41
	s_waitcnt vmcnt(13)
	v_mul_f32_e32 v42, v60, v61
	global_load_dword v60, v[46:47], off
	global_load_dword v61, v[44:45], off
	s_waitcnt lgkmcnt(0)
	v_fmac_f32_e32 v30, v42, v43
	v_add_co_u32 v42, vcc_lo, v46, s22
	v_add_co_ci_u32_e64 v43, null, s23, v47, vcc_lo
	v_add_co_u32 v46, vcc_lo, v44, s22
	v_add_co_ci_u32_e64 v47, null, s23, v45, vcc_lo
	ds_bpermute_b32 v45, v14, v41
	s_waitcnt vmcnt(13)
	v_mul_f32_e32 v44, v62, v48
	global_load_dword v48, v[42:43], off
	global_load_dword v62, v[46:47], off
	s_waitcnt lgkmcnt(0)
	v_fmac_f32_e32 v30, v44, v45
	v_add_co_u32 v44, vcc_lo, v42, s22
	v_add_co_ci_u32_e64 v45, null, s23, v43, vcc_lo
	v_add_co_u32 v42, vcc_lo, v46, s22
	s_waitcnt vmcnt(13)
	v_mul_f32_e32 v46, v49, v50
	global_load_dword v49, v[44:45], off
	v_add_co_ci_u32_e64 v43, null, s23, v47, vcc_lo
	ds_bpermute_b32 v47, v15, v41
	global_load_dword v50, v[42:43], off
	s_waitcnt lgkmcnt(0)
	v_fmac_f32_e32 v30, v46, v47
	v_add_co_u32 v46, vcc_lo, v44, s22
	v_add_co_ci_u32_e64 v47, null, s23, v45, vcc_lo
	v_add_co_u32 v44, vcc_lo, v42, s22
	v_add_co_ci_u32_e64 v45, null, s23, v43, vcc_lo
	ds_bpermute_b32 v43, v16, v41
	s_waitcnt vmcnt(13)
	v_mul_f32_e32 v42, v51, v52
	global_load_dword v51, v[46:47], off
	global_load_dword v52, v[44:45], off
	s_waitcnt lgkmcnt(0)
	v_fmac_f32_e32 v30, v42, v43
	v_add_co_u32 v42, vcc_lo, v46, s22
	v_add_co_ci_u32_e64 v43, null, s23, v47, vcc_lo
	v_add_co_u32 v46, vcc_lo, v44, s22
	v_add_co_ci_u32_e64 v47, null, s23, v45, vcc_lo
	ds_bpermute_b32 v45, v17, v41
	s_waitcnt vmcnt(13)
	v_mul_f32_e32 v44, v53, v54
	global_load_dword v53, v[42:43], off
	;; [unrolled: 11-line block ×6, first 2 shown]
	global_load_dword v61, v[42:43], off
	s_waitcnt lgkmcnt(0)
	v_fmac_f32_e32 v30, v46, v47
	v_add_co_u32 v46, vcc_lo, v44, s22
	v_add_co_ci_u32_e64 v47, null, s23, v45, vcc_lo
	v_add_co_u32 v44, vcc_lo, v42, s22
	s_waitcnt vmcnt(13)
	v_mul_f32_e32 v42, v62, v49
	global_load_dword v49, v[46:47], off
	v_add_co_ci_u32_e64 v45, null, s23, v43, vcc_lo
	ds_bpermute_b32 v43, v22, v41
	global_load_dword v62, v[44:45], off
	s_waitcnt lgkmcnt(0)
	v_fmac_f32_e32 v30, v42, v43
	v_add_co_u32 v42, vcc_lo, v46, s22
	v_add_co_ci_u32_e64 v43, null, s23, v47, vcc_lo
	v_add_co_u32 v46, vcc_lo, v44, s22
	v_add_co_ci_u32_e64 v47, null, s23, v45, vcc_lo
	ds_bpermute_b32 v45, v23, v41
	s_waitcnt vmcnt(13)
	v_mul_f32_e32 v44, v50, v51
	global_load_dword v50, v[42:43], off
	global_load_dword v51, v[46:47], off
	s_waitcnt lgkmcnt(0)
	v_fmac_f32_e32 v30, v44, v45
	v_add_co_u32 v44, vcc_lo, v42, s22
	v_add_co_ci_u32_e64 v45, null, s23, v43, vcc_lo
	v_add_co_u32 v42, vcc_lo, v46, s22
	v_add_co_ci_u32_e64 v43, null, s23, v47, vcc_lo
	ds_bpermute_b32 v47, v24, v41
	s_waitcnt vmcnt(13)
	v_mul_f32_e32 v46, v52, v53
	global_load_dword v52, v[44:45], off
	;; [unrolled: 11-line block ×7, first 2 shown]
	global_load_dword v61, v[46:47], off
	s_waitcnt lgkmcnt(0)
	v_fmac_f32_e32 v30, v44, v45
	v_add_co_u32 v44, vcc_lo, v42, s22
	v_add_co_ci_u32_e64 v45, null, s23, v43, vcc_lo
	v_add_co_u32 v42, vcc_lo, v46, s22
	v_add_co_ci_u32_e64 v43, null, s23, v47, vcc_lo
	;; [unrolled: 2-line block ×3, first 2 shown]
	global_load_dword v44, v[44:45], off
	global_load_dword v42, v[42:43], off
	;; [unrolled: 1-line block ×3, first 2 shown]
	ds_bpermute_b32 v45, v31, v41
	s_waitcnt vmcnt(16)
	v_mul_f32_e32 v46, v62, v50
	ds_bpermute_b32 v47, v32, v41
	v_add_co_u32 v2, vcc_lo, v2, s18
	v_add_co_ci_u32_e64 v40, null, s19, v40, vcc_lo
	v_add_co_u32 v6, vcc_lo, v6, s20
	v_add_co_ci_u32_e64 v7, null, s21, v7, vcc_lo
	;; [unrolled: 2-line block ×3, first 2 shown]
	s_and_b32 vcc_lo, exec_lo, s17
	s_waitcnt lgkmcnt(1)
	v_fmac_f32_e32 v30, v46, v45
	ds_bpermute_b32 v45, v33, v41
	ds_bpermute_b32 v46, v34, v41
	s_waitcnt vmcnt(14)
	v_mul_f32_e32 v50, v51, v52
	ds_bpermute_b32 v51, v35, v41
	s_waitcnt lgkmcnt(3)
	v_fmac_f32_e32 v30, v50, v47
	ds_bpermute_b32 v50, v36, v41
	s_waitcnt vmcnt(12)
	v_mul_f32_e32 v47, v53, v54
	s_waitcnt lgkmcnt(3)
	v_fmac_f32_e32 v30, v47, v45
	ds_bpermute_b32 v47, v37, v41
	s_waitcnt vmcnt(10)
	v_mul_f32_e32 v45, v55, v56
	s_waitcnt lgkmcnt(3)
	v_fmac_f32_e32 v30, v45, v46
	ds_bpermute_b32 v46, v38, v41
	ds_bpermute_b32 v41, v39, v41
	s_waitcnt vmcnt(8)
	v_mul_f32_e32 v45, v57, v58
	s_waitcnt lgkmcnt(4)
	v_fmac_f32_e32 v30, v45, v51
	s_waitcnt vmcnt(6)
	v_mul_f32_e32 v45, v59, v48
	s_waitcnt lgkmcnt(3)
	v_fmac_f32_e32 v30, v45, v50
	;; [unrolled: 4-line block ×3, first 2 shown]
	s_waitcnt vmcnt(2)
	v_mul_f32_e32 v44, v61, v44
	s_waitcnt vmcnt(0)
	v_mul_f32_e32 v42, v42, v43
	s_waitcnt lgkmcnt(1)
	v_fmac_f32_e32 v30, v44, v46
	s_waitcnt lgkmcnt(0)
	v_fmac_f32_e32 v30, v42, v41
	s_cbranch_vccz .LBB152_5
.LBB152_3:                              ; =>This Inner Loop Header: Depth=1
	v_mov_b32_e32 v41, 0
	s_mov_b32 s17, exec_lo
	v_cmpx_gt_i64_e64 s[0:1], v[4:5]
	s_cbranch_execz .LBB152_2
; %bb.4:                                ;   in Loop: Header=BB152_3 Depth=1
	global_load_dword v41, v[6:7], off
	s_branch .LBB152_2
.LBB152_5:
	s_cmp_eq_u64 s[12:13], 0
	s_cbranch_scc1 .LBB152_7
; %bb.6:
	s_load_dword s0, s[4:5], 0x4c
	v_mov_b32_e32 v2, 0
	v_lshlrev_b32_e32 v0, 2, v0
	s_waitcnt lgkmcnt(0)
	s_lshr_b32 s0, s0, 16
	v_mad_u64_u32 v[1:2], null, s0, s7, v[1:2]
	s_mov_b32 s7, 0
	s_lshl_b64 s[0:1], s[6:7], 7
	v_mul_lo_u32 v3, v2, s2
	v_mul_lo_u32 v4, v1, s3
	v_mad_u64_u32 v[1:2], null, v1, s2, 0
	v_add3_u32 v2, v2, v4, v3
	v_lshlrev_b64 v[1:2], 2, v[1:2]
	v_add_co_u32 v1, vcc_lo, s12, v1
	v_add_co_ci_u32_e64 v2, null, s13, v2, vcc_lo
	v_add_co_u32 v1, vcc_lo, v1, s0
	v_add_co_ci_u32_e64 v2, null, s1, v2, vcc_lo
	;; [unrolled: 2-line block ×3, first 2 shown]
	global_store_dword v[0:1], v30, off
.LBB152_7:
	s_endpgm
	.section	.rodata,"a",@progbits
	.p2align	6, 0x0
	.amdhsa_kernel _ZN2at6native12_GLOBAL__N_135GammaBetaBackwardCUDAKernelTemplateIffLj32ELj1ELj32ELb1ELb1ELb1EEEvllPKT_S5_PKT0_S8_PS3_S9_
		.amdhsa_group_segment_fixed_size 0
		.amdhsa_private_segment_fixed_size 0
		.amdhsa_kernarg_size 320
		.amdhsa_user_sgpr_count 6
		.amdhsa_user_sgpr_private_segment_buffer 1
		.amdhsa_user_sgpr_dispatch_ptr 0
		.amdhsa_user_sgpr_queue_ptr 0
		.amdhsa_user_sgpr_kernarg_segment_ptr 1
		.amdhsa_user_sgpr_dispatch_id 0
		.amdhsa_user_sgpr_flat_scratch_init 0
		.amdhsa_user_sgpr_private_segment_size 0
		.amdhsa_wavefront_size32 1
		.amdhsa_uses_dynamic_stack 0
		.amdhsa_system_sgpr_private_segment_wavefront_offset 0
		.amdhsa_system_sgpr_workgroup_id_x 1
		.amdhsa_system_sgpr_workgroup_id_y 1
		.amdhsa_system_sgpr_workgroup_id_z 0
		.amdhsa_system_sgpr_workgroup_info 0
		.amdhsa_system_vgpr_workitem_id 1
		.amdhsa_next_free_vgpr 63
		.amdhsa_next_free_sgpr 24
		.amdhsa_reserve_vcc 1
		.amdhsa_reserve_flat_scratch 0
		.amdhsa_float_round_mode_32 0
		.amdhsa_float_round_mode_16_64 0
		.amdhsa_float_denorm_mode_32 3
		.amdhsa_float_denorm_mode_16_64 3
		.amdhsa_dx10_clamp 1
		.amdhsa_ieee_mode 1
		.amdhsa_fp16_overflow 0
		.amdhsa_workgroup_processor_mode 1
		.amdhsa_memory_ordered 1
		.amdhsa_forward_progress 1
		.amdhsa_shared_vgpr_count 0
		.amdhsa_exception_fp_ieee_invalid_op 0
		.amdhsa_exception_fp_denorm_src 0
		.amdhsa_exception_fp_ieee_div_zero 0
		.amdhsa_exception_fp_ieee_overflow 0
		.amdhsa_exception_fp_ieee_underflow 0
		.amdhsa_exception_fp_ieee_inexact 0
		.amdhsa_exception_int_div_zero 0
	.end_amdhsa_kernel
	.section	.text._ZN2at6native12_GLOBAL__N_135GammaBetaBackwardCUDAKernelTemplateIffLj32ELj1ELj32ELb1ELb1ELb1EEEvllPKT_S5_PKT0_S8_PS3_S9_,"axG",@progbits,_ZN2at6native12_GLOBAL__N_135GammaBetaBackwardCUDAKernelTemplateIffLj32ELj1ELj32ELb1ELb1ELb1EEEvllPKT_S5_PKT0_S8_PS3_S9_,comdat
.Lfunc_end152:
	.size	_ZN2at6native12_GLOBAL__N_135GammaBetaBackwardCUDAKernelTemplateIffLj32ELj1ELj32ELb1ELb1ELb1EEEvllPKT_S5_PKT0_S8_PS3_S9_, .Lfunc_end152-_ZN2at6native12_GLOBAL__N_135GammaBetaBackwardCUDAKernelTemplateIffLj32ELj1ELj32ELb1ELb1ELb1EEEvllPKT_S5_PKT0_S8_PS3_S9_
                                        ; -- End function
	.set _ZN2at6native12_GLOBAL__N_135GammaBetaBackwardCUDAKernelTemplateIffLj32ELj1ELj32ELb1ELb1ELb1EEEvllPKT_S5_PKT0_S8_PS3_S9_.num_vgpr, 63
	.set _ZN2at6native12_GLOBAL__N_135GammaBetaBackwardCUDAKernelTemplateIffLj32ELj1ELj32ELb1ELb1ELb1EEEvllPKT_S5_PKT0_S8_PS3_S9_.num_agpr, 0
	.set _ZN2at6native12_GLOBAL__N_135GammaBetaBackwardCUDAKernelTemplateIffLj32ELj1ELj32ELb1ELb1ELb1EEEvllPKT_S5_PKT0_S8_PS3_S9_.numbered_sgpr, 24
	.set _ZN2at6native12_GLOBAL__N_135GammaBetaBackwardCUDAKernelTemplateIffLj32ELj1ELj32ELb1ELb1ELb1EEEvllPKT_S5_PKT0_S8_PS3_S9_.num_named_barrier, 0
	.set _ZN2at6native12_GLOBAL__N_135GammaBetaBackwardCUDAKernelTemplateIffLj32ELj1ELj32ELb1ELb1ELb1EEEvllPKT_S5_PKT0_S8_PS3_S9_.private_seg_size, 0
	.set _ZN2at6native12_GLOBAL__N_135GammaBetaBackwardCUDAKernelTemplateIffLj32ELj1ELj32ELb1ELb1ELb1EEEvllPKT_S5_PKT0_S8_PS3_S9_.uses_vcc, 1
	.set _ZN2at6native12_GLOBAL__N_135GammaBetaBackwardCUDAKernelTemplateIffLj32ELj1ELj32ELb1ELb1ELb1EEEvllPKT_S5_PKT0_S8_PS3_S9_.uses_flat_scratch, 0
	.set _ZN2at6native12_GLOBAL__N_135GammaBetaBackwardCUDAKernelTemplateIffLj32ELj1ELj32ELb1ELb1ELb1EEEvllPKT_S5_PKT0_S8_PS3_S9_.has_dyn_sized_stack, 0
	.set _ZN2at6native12_GLOBAL__N_135GammaBetaBackwardCUDAKernelTemplateIffLj32ELj1ELj32ELb1ELb1ELb1EEEvllPKT_S5_PKT0_S8_PS3_S9_.has_recursion, 0
	.set _ZN2at6native12_GLOBAL__N_135GammaBetaBackwardCUDAKernelTemplateIffLj32ELj1ELj32ELb1ELb1ELb1EEEvllPKT_S5_PKT0_S8_PS3_S9_.has_indirect_call, 0
	.section	.AMDGPU.csdata,"",@progbits
; Kernel info:
; codeLenInByte = 3040
; TotalNumSgprs: 26
; NumVgprs: 63
; ScratchSize: 0
; MemoryBound: 0
; FloatMode: 240
; IeeeMode: 1
; LDSByteSize: 0 bytes/workgroup (compile time only)
; SGPRBlocks: 0
; VGPRBlocks: 7
; NumSGPRsForWavesPerEU: 26
; NumVGPRsForWavesPerEU: 63
; Occupancy: 16
; WaveLimiterHint : 0
; COMPUTE_PGM_RSRC2:SCRATCH_EN: 0
; COMPUTE_PGM_RSRC2:USER_SGPR: 6
; COMPUTE_PGM_RSRC2:TRAP_HANDLER: 0
; COMPUTE_PGM_RSRC2:TGID_X_EN: 1
; COMPUTE_PGM_RSRC2:TGID_Y_EN: 1
; COMPUTE_PGM_RSRC2:TGID_Z_EN: 0
; COMPUTE_PGM_RSRC2:TIDIG_COMP_CNT: 1
	.section	.text._ZN2at6native12_GLOBAL__N_135GammaBetaBackwardCUDAKernelTemplateIffLj32ELj1ELj32ELb1ELb0ELb1EEEvllPKT_S5_PKT0_S8_PS3_S9_,"axG",@progbits,_ZN2at6native12_GLOBAL__N_135GammaBetaBackwardCUDAKernelTemplateIffLj32ELj1ELj32ELb1ELb0ELb1EEEvllPKT_S5_PKT0_S8_PS3_S9_,comdat
	.globl	_ZN2at6native12_GLOBAL__N_135GammaBetaBackwardCUDAKernelTemplateIffLj32ELj1ELj32ELb1ELb0ELb1EEEvllPKT_S5_PKT0_S8_PS3_S9_ ; -- Begin function _ZN2at6native12_GLOBAL__N_135GammaBetaBackwardCUDAKernelTemplateIffLj32ELj1ELj32ELb1ELb0ELb1EEEvllPKT_S5_PKT0_S8_PS3_S9_
	.p2align	8
	.type	_ZN2at6native12_GLOBAL__N_135GammaBetaBackwardCUDAKernelTemplateIffLj32ELj1ELj32ELb1ELb0ELb1EEEvllPKT_S5_PKT0_S8_PS3_S9_,@function
_ZN2at6native12_GLOBAL__N_135GammaBetaBackwardCUDAKernelTemplateIffLj32ELj1ELj32ELb1ELb0ELb1EEEvllPKT_S5_PKT0_S8_PS3_S9_: ; @_ZN2at6native12_GLOBAL__N_135GammaBetaBackwardCUDAKernelTemplateIffLj32ELj1ELj32ELb1ELb0ELb1EEEvllPKT_S5_PKT0_S8_PS3_S9_
; %bb.0:
	s_mov_b64 s[38:39], s[2:3]
	s_mov_b64 s[36:37], s[0:1]
	s_mov_b32 s0, s7
	s_add_u32 s36, s36, s8
	s_clause 0x1
	s_load_dwordx8 s[8:15], s[4:5], 0x0
	s_load_dwordx2 s[16:17], s[4:5], 0x28
	s_addc_u32 s37, s37, 0
	s_lshl_b32 s7, s6, 5
	s_mov_b32 s19, 0
	s_or_b32 s18, s7, 31
	v_mov_b32_e32 v224, v0
	v_mov_b32_e32 v223, v1
	s_waitcnt lgkmcnt(0)
	v_cmp_le_i64_e64 s1, s[10:11], s[18:19]
	s_lshl_b32 s18, s0, 5
	v_cmp_gt_i64_e64 s26, s[8:9], s[18:19]
	s_and_b32 vcc_lo, exec_lo, s1
	v_cndmask_b32_e64 v0, 0, 1, s26
	v_cmp_ne_u32_e64 s1, 1, v0
	s_cbranch_vccz .LBB153_141
; %bb.1:
	v_mov_b32_e32 v202, 0
	s_and_b32 vcc_lo, exec_lo, s1
	s_cbranch_vccnz .LBB153_142
; %bb.2:
	v_lshlrev_b32_e32 v39, 5, v223
	v_mov_b32_e32 v2, 0
	v_add_nc_u32_e32 v0, s7, v224
	s_load_dword s2, s[4:5], 0x44
	s_add_u32 s20, s4, 64
	v_add_co_u32 v5, s1, v39, s18
	v_add_co_ci_u32_e64 v6, null, 0, 0, s1
	v_mov_b32_e32 v1, v2
	v_mul_lo_u32 v7, s11, v5
	v_mad_u64_u32 v[3:4], null, s10, v5, 0
	v_mul_lo_u32 v8, s10, v6
	v_cmp_gt_i64_e64 s1, s[10:11], v[0:1]
	v_lshlrev_b64 v[35:36], 2, v[0:1]
	s_addc_u32 s21, s5, 0
	v_mov_b32_e32 v40, v2
	v_mov_b32_e32 v167, 0
	s_mov_b64 s[24:25], s[18:19]
	v_add3_u32 v4, v4, v8, v7
	v_add_co_u32 v7, vcc_lo, v5, 31
	v_add_co_ci_u32_e64 v8, null, 0, v6, vcc_lo
	v_add_co_u32 v9, vcc_lo, v5, 30
	v_add_co_ci_u32_e64 v10, null, 0, v6, vcc_lo
	v_lshlrev_b64 v[0:1], 2, v[3:4]
	v_mul_lo_u32 v11, s11, v7
	v_mul_lo_u32 v12, s10, v8
	v_mad_u64_u32 v[7:8], null, s10, v7, 0
	v_mul_lo_u32 v13, s11, v9
	v_mul_lo_u32 v14, s10, v10
	v_mad_u64_u32 v[9:10], null, s10, v9, 0
	v_add_co_u32 v41, vcc_lo, s12, v0
	v_add_co_ci_u32_e64 v42, null, s13, v1, vcc_lo
	v_add_co_u32 v43, vcc_lo, s14, v0
	v_add3_u32 v8, v8, v12, v11
	v_add_co_ci_u32_e64 v44, null, s15, v1, vcc_lo
	v_add_co_u32 v11, vcc_lo, v5, 29
	v_add3_u32 v10, v10, v14, v13
	v_add_co_ci_u32_e64 v12, null, 0, v6, vcc_lo
	v_lshlrev_b64 v[0:1], 2, v[7:8]
	v_mul_lo_u32 v13, s11, v11
	v_lshlrev_b64 v[7:8], 2, v[9:10]
	v_mul_lo_u32 v12, s10, v12
	v_mad_u64_u32 v[9:10], null, s10, v11, 0
	v_add_co_u32 v45, vcc_lo, s12, v0
	v_add_co_ci_u32_e64 v46, null, s13, v1, vcc_lo
	v_add_co_u32 v47, vcc_lo, s14, v0
	v_add3_u32 v10, v10, v12, v13
	s_waitcnt lgkmcnt(0)
	s_lshl_b32 s27, s2, 5
	v_add_co_ci_u32_e64 v48, null, s15, v1, vcc_lo
	v_add_co_u32 v49, vcc_lo, s12, v7
	s_mul_i32 s2, s11, s27
	s_mul_hi_u32 s3, s10, s27
	v_add_co_ci_u32_e64 v50, null, s13, v8, vcc_lo
	v_add_co_u32 v11, vcc_lo, v5, 28
	s_add_i32 s23, s3, s2
	v_add_co_u32 v51, s2, s14, v7
	v_lshlrev_b64 v[0:1], 2, v[9:10]
	v_add_co_ci_u32_e64 v7, null, 0, v6, vcc_lo
	v_add_co_u32 v9, vcc_lo, v5, 27
	v_add_co_ci_u32_e64 v10, null, 0, v6, vcc_lo
	v_add_co_ci_u32_e64 v52, null, s15, v8, s2
	v_mul_lo_u32 v12, s11, v11
	v_mul_lo_u32 v13, s10, v7
	v_mad_u64_u32 v[7:8], null, s10, v11, 0
	v_mul_lo_u32 v11, s11, v9
	v_mul_lo_u32 v14, s10, v10
	v_mad_u64_u32 v[9:10], null, s10, v9, 0
	v_add_co_u32 v53, vcc_lo, s12, v0
	v_add_co_ci_u32_e64 v54, null, s13, v1, vcc_lo
	v_add_co_u32 v55, vcc_lo, s14, v0
	v_add_co_ci_u32_e64 v56, null, s15, v1, vcc_lo
	v_add3_u32 v10, v10, v14, v11
	v_add_co_u32 v11, vcc_lo, v5, 26
	v_add3_u32 v8, v8, v13, v12
	v_add_co_ci_u32_e64 v12, null, 0, v6, vcc_lo
	v_mul_lo_u32 v13, s11, v11
	s_mul_i32 s22, s10, s27
	v_lshlrev_b64 v[0:1], 2, v[7:8]
	v_lshlrev_b64 v[7:8], 2, v[9:10]
	v_mul_lo_u32 v12, s10, v12
	v_mad_u64_u32 v[9:10], null, s10, v11, 0
	v_add_co_u32 v57, vcc_lo, s12, v0
	v_add_co_ci_u32_e64 v58, null, s13, v1, vcc_lo
	v_add_co_u32 v59, vcc_lo, s14, v0
	v_add3_u32 v10, v10, v12, v13
	v_add_co_ci_u32_e64 v60, null, s15, v1, vcc_lo
	v_add_co_u32 v61, vcc_lo, s12, v7
	v_add_co_ci_u32_e64 v62, null, s13, v8, vcc_lo
	v_add_co_u32 v11, vcc_lo, v5, 25
	v_add_co_u32 v63, s2, s14, v7
	v_lshlrev_b64 v[0:1], 2, v[9:10]
	v_add_co_ci_u32_e64 v7, null, 0, v6, vcc_lo
	v_add_co_u32 v9, vcc_lo, v5, 24
	v_add_co_ci_u32_e64 v10, null, 0, v6, vcc_lo
	v_add_co_ci_u32_e64 v64, null, s15, v8, s2
	v_mul_lo_u32 v12, s11, v11
	v_mul_lo_u32 v13, s10, v7
	v_mad_u64_u32 v[7:8], null, s10, v11, 0
	v_mul_lo_u32 v11, s11, v9
	v_mul_lo_u32 v14, s10, v10
	v_mad_u64_u32 v[9:10], null, s10, v9, 0
	v_add_co_u32 v65, vcc_lo, s12, v0
	v_add_co_ci_u32_e64 v66, null, s13, v1, vcc_lo
	v_add_co_u32 v67, vcc_lo, s14, v0
	v_add_co_ci_u32_e64 v68, null, s15, v1, vcc_lo
	v_add3_u32 v10, v10, v14, v11
	v_add_co_u32 v11, vcc_lo, v5, 23
	v_add3_u32 v8, v8, v13, v12
	v_add_co_ci_u32_e64 v12, null, 0, v6, vcc_lo
	v_mul_lo_u32 v13, s11, v11
	v_lshlrev_b64 v[0:1], 2, v[7:8]
	v_lshlrev_b64 v[7:8], 2, v[9:10]
	v_mul_lo_u32 v12, s10, v12
	v_mad_u64_u32 v[9:10], null, s10, v11, 0
	v_add_co_u32 v69, vcc_lo, s12, v0
	v_add_co_ci_u32_e64 v70, null, s13, v1, vcc_lo
	v_add_co_u32 v71, vcc_lo, s14, v0
	v_add3_u32 v10, v10, v12, v13
	v_add_co_ci_u32_e64 v72, null, s15, v1, vcc_lo
	v_add_co_u32 v73, vcc_lo, s12, v7
	v_add_co_ci_u32_e64 v74, null, s13, v8, vcc_lo
	v_add_co_u32 v11, vcc_lo, v5, 22
	v_add_co_u32 v75, s2, s14, v7
	v_lshlrev_b64 v[0:1], 2, v[9:10]
	v_add_co_ci_u32_e64 v7, null, 0, v6, vcc_lo
	v_add_co_u32 v9, vcc_lo, v5, 21
	v_add_co_ci_u32_e64 v10, null, 0, v6, vcc_lo
	v_add_co_ci_u32_e64 v76, null, s15, v8, s2
	v_mul_lo_u32 v12, s11, v11
	v_mul_lo_u32 v13, s10, v7
	v_mad_u64_u32 v[7:8], null, s10, v11, 0
	v_mul_lo_u32 v11, s11, v9
	v_mul_lo_u32 v14, s10, v10
	v_mad_u64_u32 v[9:10], null, s10, v9, 0
	v_add_co_u32 v77, vcc_lo, s12, v0
	v_add_co_ci_u32_e64 v78, null, s13, v1, vcc_lo
	v_add_co_u32 v79, vcc_lo, s14, v0
	v_add_co_ci_u32_e64 v80, null, s15, v1, vcc_lo
	v_add3_u32 v10, v10, v14, v11
	v_add_co_u32 v11, vcc_lo, v5, 20
	v_add3_u32 v8, v8, v13, v12
	v_add_co_ci_u32_e64 v12, null, 0, v6, vcc_lo
	v_mul_lo_u32 v13, s11, v11
	;; [unrolled: 33-line block ×4, first 2 shown]
	v_lshlrev_b64 v[0:1], 2, v[7:8]
	v_lshlrev_b64 v[7:8], 2, v[9:10]
	v_mul_lo_u32 v12, s10, v12
	v_mad_u64_u32 v[9:10], null, s10, v11, 0
	v_add_co_u32 v105, vcc_lo, s12, v0
	v_add_co_ci_u32_e64 v106, null, s13, v1, vcc_lo
	v_add_co_u32 v107, vcc_lo, s14, v0
	v_add3_u32 v10, v10, v12, v13
	v_add_co_ci_u32_e64 v108, null, s15, v1, vcc_lo
	v_add_co_u32 v109, vcc_lo, s12, v7
	v_add_co_ci_u32_e64 v110, null, s13, v8, vcc_lo
	v_add_co_u32 v11, vcc_lo, v5, 13
	v_add_co_u32 v111, s2, s14, v7
	v_lshlrev_b64 v[0:1], 2, v[9:10]
	v_add_co_ci_u32_e64 v7, null, 0, v6, vcc_lo
	v_add_co_u32 v9, vcc_lo, v5, 12
	v_add_co_ci_u32_e64 v10, null, 0, v6, vcc_lo
	v_add_co_ci_u32_e64 v112, null, s15, v8, s2
	v_mul_lo_u32 v12, s11, v11
	v_mul_lo_u32 v13, s10, v7
	v_mad_u64_u32 v[7:8], null, s10, v11, 0
	v_mul_lo_u32 v11, s11, v9
	v_mul_lo_u32 v14, s10, v10
	v_mad_u64_u32 v[9:10], null, s10, v9, 0
	v_add_co_u32 v113, vcc_lo, s12, v0
	v_add_co_ci_u32_e64 v114, null, s13, v1, vcc_lo
	v_add_co_u32 v115, vcc_lo, s14, v0
	v_add3_u32 v8, v8, v13, v12
	v_add_co_ci_u32_e64 v116, null, s15, v1, vcc_lo
	v_add3_u32 v10, v10, v14, v11
	v_add_co_u32 v11, vcc_lo, v5, 11
	v_add_co_ci_u32_e64 v12, null, 0, v6, vcc_lo
	v_lshlrev_b64 v[0:1], 2, v[7:8]
	v_lshlrev_b64 v[7:8], 2, v[9:10]
	v_mul_lo_u32 v13, s11, v11
	v_mul_lo_u32 v12, s10, v12
	v_mad_u64_u32 v[9:10], null, s10, v11, 0
	v_add_co_u32 v117, vcc_lo, s12, v0
	v_add_co_ci_u32_e64 v118, null, s13, v1, vcc_lo
	v_add_co_u32 v119, vcc_lo, s14, v0
	v_add_co_ci_u32_e64 v120, null, s15, v1, vcc_lo
	v_add_co_u32 v121, vcc_lo, s12, v7
	v_add3_u32 v10, v10, v12, v13
	v_add_co_ci_u32_e64 v122, null, s13, v8, vcc_lo
	v_add_co_u32 v11, vcc_lo, v5, 10
	v_add_co_u32 v123, s2, s14, v7
	v_add_co_ci_u32_e64 v7, null, 0, v6, vcc_lo
	v_lshlrev_b64 v[0:1], 2, v[9:10]
	v_add_co_u32 v9, vcc_lo, v5, 9
	v_add_co_ci_u32_e64 v10, null, 0, v6, vcc_lo
	v_add_co_ci_u32_e64 v124, null, s15, v8, s2
	v_mul_lo_u32 v12, s11, v11
	v_mul_lo_u32 v13, s10, v7
	v_mad_u64_u32 v[7:8], null, s10, v11, 0
	v_mul_lo_u32 v11, s11, v9
	v_mul_lo_u32 v14, s10, v10
	v_mad_u64_u32 v[9:10], null, s10, v9, 0
	v_add_co_u32 v125, vcc_lo, s12, v0
	v_add3_u32 v8, v8, v13, v12
	v_add_co_ci_u32_e64 v126, null, s13, v1, vcc_lo
	v_add_co_u32 v127, vcc_lo, s14, v0
	v_add_co_ci_u32_e64 v128, null, s15, v1, vcc_lo
	v_add3_u32 v10, v10, v14, v11
	v_add_co_u32 v11, vcc_lo, v5, 8
	v_lshlrev_b64 v[0:1], 2, v[7:8]
	v_add_co_ci_u32_e64 v12, null, 0, v6, vcc_lo
	v_lshlrev_b64 v[7:8], 2, v[9:10]
	v_mul_lo_u32 v13, s11, v11
	v_mad_u64_u32 v[9:10], null, s10, v11, 0
	v_add_co_u32 v129, vcc_lo, s12, v0
	v_mul_lo_u32 v12, s10, v12
	v_add_co_ci_u32_e64 v130, null, s13, v1, vcc_lo
	v_add_co_u32 v131, vcc_lo, s14, v0
	v_add_co_ci_u32_e64 v132, null, s15, v1, vcc_lo
	v_add_co_u32 v133, vcc_lo, s12, v7
	;; [unrolled: 2-line block ×3, first 2 shown]
	v_add3_u32 v10, v10, v12, v13
	v_add_co_ci_u32_e64 v1, null, 0, v6, vcc_lo
	v_add_co_u32 v11, vcc_lo, v5, 6
	v_add_co_u32 v135, s2, s14, v7
	v_add_co_ci_u32_e64 v12, null, 0, v6, vcc_lo
	v_add_co_ci_u32_e64 v136, null, s15, v8, s2
	v_lshlrev_b64 v[7:8], 2, v[9:10]
	v_mul_lo_u32 v13, s11, v0
	v_mul_lo_u32 v14, s10, v1
	v_mad_u64_u32 v[9:10], null, s10, v0, 0
	v_mul_lo_u32 v15, s11, v11
	v_mul_lo_u32 v16, s10, v12
	v_mad_u64_u32 v[11:12], null, s10, v11, 0
	v_add_co_u32 v0, vcc_lo, s12, v7
	v_add3_u32 v10, v10, v14, v13
	v_add_co_ci_u32_e64 v1, null, s13, v8, vcc_lo
	v_add_co_u32 v137, vcc_lo, s14, v7
	v_add_co_ci_u32_e64 v138, null, s15, v8, vcc_lo
	v_add3_u32 v12, v12, v16, v15
	v_add_co_u32 v13, vcc_lo, v5, 5
	v_lshlrev_b64 v[7:8], 2, v[9:10]
	v_add_co_ci_u32_e64 v14, null, 0, v6, vcc_lo
	v_lshlrev_b64 v[9:10], 2, v[11:12]
	v_mul_lo_u32 v15, s11, v13
	v_mad_u64_u32 v[11:12], null, s10, v13, 0
	v_add_co_u32 v139, vcc_lo, s12, v7
	v_mul_lo_u32 v14, s10, v14
	v_add_co_ci_u32_e64 v140, null, s13, v8, vcc_lo
	v_add_co_u32 v141, vcc_lo, s14, v7
	v_add_co_ci_u32_e64 v142, null, s15, v8, vcc_lo
	v_add_co_u32 v143, vcc_lo, s12, v9
	v_add_co_ci_u32_e64 v144, null, s13, v10, vcc_lo
	v_add_co_u32 v13, vcc_lo, v5, 4
	v_add3_u32 v12, v12, v14, v15
	v_add_co_u32 v145, s2, s14, v9
	v_add_co_ci_u32_e64 v9, null, 0, v6, vcc_lo
	v_add_co_ci_u32_e64 v146, null, s15, v10, s2
	v_lshlrev_b64 v[7:8], 2, v[11:12]
	v_mul_lo_u32 v14, s11, v13
	v_add_co_u32 v11, vcc_lo, v5, 3
	v_mul_lo_u32 v15, s10, v9
	v_mad_u64_u32 v[9:10], null, s10, v13, 0
	v_add_co_ci_u32_e64 v12, null, 0, v6, vcc_lo
	v_mul_lo_u32 v13, s11, v11
	v_add_co_u32 v147, vcc_lo, s12, v7
	v_mul_lo_u32 v16, s10, v12
	v_mad_u64_u32 v[11:12], null, s10, v11, 0
	v_add3_u32 v10, v10, v15, v14
	v_add_co_ci_u32_e64 v148, null, s13, v8, vcc_lo
	v_add_co_u32 v149, vcc_lo, s14, v7
	v_add_co_ci_u32_e64 v150, null, s15, v8, vcc_lo
	v_lshlrev_b64 v[7:8], 2, v[9:10]
	v_add_co_u32 v9, vcc_lo, v5, 2
	v_add3_u32 v12, v12, v16, v13
	v_add_co_ci_u32_e64 v10, null, 0, v6, vcc_lo
	v_add_co_u32 v151, vcc_lo, s12, v7
	v_lshlrev_b64 v[5:6], 2, v[11:12]
	v_mul_lo_u32 v11, s11, v9
	v_mul_lo_u32 v12, s10, v10
	v_mad_u64_u32 v[9:10], null, s10, v9, 0
	v_add_co_ci_u32_e64 v152, null, s13, v8, vcc_lo
	v_add_co_u32 v153, vcc_lo, s14, v7
	v_add_co_ci_u32_e64 v154, null, s15, v8, vcc_lo
	v_add_co_u32 v155, vcc_lo, s12, v5
	v_add_co_ci_u32_e64 v156, null, s13, v6, vcc_lo
	v_add3_u32 v10, v10, v12, v11
	v_add_co_u32 v157, vcc_lo, s14, v5
	v_add_co_ci_u32_e64 v158, null, s15, v6, vcc_lo
	v_add_co_u32 v3, vcc_lo, v3, s10
	v_add_co_ci_u32_e64 v4, null, s11, v4, vcc_lo
	v_lshlrev_b64 v[5:6], 2, v[9:10]
	s_lshl_b64 s[2:3], s[22:23], 2
	s_mov_b64 s[22:23], 31
	v_lshlrev_b64 v[3:4], 2, v[3:4]
	v_add_co_u32 v159, vcc_lo, s12, v5
	v_add_co_ci_u32_e64 v160, null, s13, v6, vcc_lo
	v_add_co_u32 v161, vcc_lo, s14, v5
	v_add_co_ci_u32_e64 v162, null, s15, v6, vcc_lo
	;; [unrolled: 2-line block ×4, first 2 shown]
.LBB153_3:                              ; =>This Inner Loop Header: Depth=1
	s_add_u32 s28, s18, s22
	s_addc_u32 s29, 0, s23
	v_add_co_u32 v37, vcc_lo, s18, v39
	v_cmp_ge_i64_e64 s28, s[28:29], s[8:9]
	v_add_co_ci_u32_e64 v38, null, 0, v40, vcc_lo
                                        ; implicit-def: $vgpr3_vgpr4_vgpr5_vgpr6_vgpr7_vgpr8_vgpr9_vgpr10_vgpr11_vgpr12_vgpr13_vgpr14_vgpr15_vgpr16_vgpr17_vgpr18_vgpr19_vgpr20_vgpr21_vgpr22_vgpr23_vgpr24_vgpr25_vgpr26_vgpr27_vgpr28_vgpr29_vgpr30_vgpr31_vgpr32_vgpr33_vgpr34
                                        ; implicit-def: $vgpr202
                                        ; implicit-def: $vgpr192
                                        ; implicit-def: $vgpr3
	s_and_b32 vcc_lo, exec_lo, s28
	s_mov_b32 s28, -1
	s_cbranch_vccz .LBB153_71
; %bb.4:                                ;   in Loop: Header=BB153_3 Depth=1
	s_load_dword s28, s[20:21], 0xc
	v_mov_b32_e32 v169, 0
	v_mov_b32_e32 v168, 0
	s_waitcnt lgkmcnt(0)
	s_and_b32 s28, s28, 0xffff
	v_mad_u32_u24 v3, v223, s28, v224
	s_mov_b32 s28, exec_lo
	v_and_b32_e32 v3, 31, v3
	v_add_co_u32 v3, vcc_lo, v37, v3
	v_add_co_ci_u32_e64 v4, null, 0, v38, vcc_lo
	v_cmpx_gt_i64_e64 s[8:9], v[3:4]
	s_cbranch_execz .LBB153_6
; %bb.5:                                ;   in Loop: Header=BB153_3 Depth=1
	v_lshlrev_b64 v[3:4], 2, v[3:4]
	v_add_co_u32 v3, vcc_lo, s16, v3
	v_add_co_ci_u32_e64 v4, null, s17, v4, vcc_lo
	global_load_dword v168, v[3:4], off
.LBB153_6:                              ;   in Loop: Header=BB153_3 Depth=1
	s_or_b32 exec_lo, exec_lo, s28
	v_mov_b32_e32 v33, v2
	v_cmp_gt_i64_e32 vcc_lo, s[8:9], v[37:38]
	v_mov_b32_e32 v3, v2
	v_mov_b32_e32 v4, v2
	;; [unrolled: 1-line block ×62, first 2 shown]
	s_and_b32 s29, s1, vcc_lo
	s_and_saveexec_b32 s28, s29
	s_cbranch_execz .LBB153_8
; %bb.7:                                ;   in Loop: Header=BB153_3 Depth=1
	v_add_co_u32 v3, vcc_lo, v41, v35
	v_add_co_ci_u32_e64 v4, null, v42, v36, vcc_lo
	v_add_co_u32 v5, vcc_lo, v43, v35
	v_add_co_ci_u32_e64 v6, null, v44, v36, vcc_lo
	global_load_dword v3, v[3:4], off
	global_load_dword v169, v[5:6], off
	v_mov_b32_e32 v4, v2
	v_mov_b32_e32 v5, v2
	;; [unrolled: 1-line block ×31, first 2 shown]
.LBB153_8:                              ;   in Loop: Header=BB153_3 Depth=1
	s_or_b32 exec_lo, exec_lo, s28
	v_add_co_u32 v170, vcc_lo, v37, 1
	v_add_co_ci_u32_e64 v171, null, 0, v38, vcc_lo
	v_cmp_gt_i64_e32 vcc_lo, s[8:9], v[170:171]
	v_mov_b32_e32 v170, 0
	v_mov_b32_e32 v171, 0
	s_and_b32 s29, s1, vcc_lo
	s_and_saveexec_b32 s28, s29
	s_cbranch_execz .LBB153_10
; %bb.9:                                ;   in Loop: Header=BB153_3 Depth=1
	v_add_co_u32 v171, vcc_lo, v163, v35
	v_add_co_ci_u32_e64 v172, null, v164, v36, vcc_lo
	v_add_co_u32 v173, vcc_lo, v165, v35
	v_add_co_ci_u32_e64 v174, null, v166, v36, vcc_lo
	global_load_dword v4, v[171:172], off
	global_load_dword v171, v[173:174], off
.LBB153_10:                             ;   in Loop: Header=BB153_3 Depth=1
	s_or_b32 exec_lo, exec_lo, s28
	v_add_co_u32 v172, vcc_lo, v37, 2
	v_add_co_ci_u32_e64 v173, null, 0, v38, vcc_lo
	v_cmp_gt_i64_e32 vcc_lo, s[8:9], v[172:173]
	s_and_b32 s29, s1, vcc_lo
	s_and_saveexec_b32 s28, s29
	s_cbranch_execz .LBB153_12
; %bb.11:                               ;   in Loop: Header=BB153_3 Depth=1
	v_add_co_u32 v172, vcc_lo, v159, v35
	v_add_co_ci_u32_e64 v173, null, v160, v36, vcc_lo
	v_add_co_u32 v174, vcc_lo, v161, v35
	v_add_co_ci_u32_e64 v175, null, v162, v36, vcc_lo
	global_load_dword v5, v[172:173], off
	global_load_dword v170, v[174:175], off
.LBB153_12:                             ;   in Loop: Header=BB153_3 Depth=1
	s_or_b32 exec_lo, exec_lo, s28
	v_add_co_u32 v172, vcc_lo, v37, 3
	v_add_co_ci_u32_e64 v173, null, 0, v38, vcc_lo
	v_cmp_gt_i64_e32 vcc_lo, s[8:9], v[172:173]
	v_mov_b32_e32 v172, 0
	v_mov_b32_e32 v173, 0
	s_and_b32 s29, s1, vcc_lo
	s_and_saveexec_b32 s28, s29
	s_cbranch_execz .LBB153_14
; %bb.13:                               ;   in Loop: Header=BB153_3 Depth=1
	v_add_co_u32 v173, vcc_lo, v155, v35
	v_add_co_ci_u32_e64 v174, null, v156, v36, vcc_lo
	v_add_co_u32 v175, vcc_lo, v157, v35
	v_add_co_ci_u32_e64 v176, null, v158, v36, vcc_lo
	global_load_dword v6, v[173:174], off
	global_load_dword v173, v[175:176], off
.LBB153_14:                             ;   in Loop: Header=BB153_3 Depth=1
	s_or_b32 exec_lo, exec_lo, s28
	v_add_co_u32 v174, vcc_lo, v37, 4
	v_add_co_ci_u32_e64 v175, null, 0, v38, vcc_lo
	v_cmp_gt_i64_e32 vcc_lo, s[8:9], v[174:175]
	s_and_b32 s29, s1, vcc_lo
	s_and_saveexec_b32 s28, s29
	s_cbranch_execz .LBB153_16
; %bb.15:                               ;   in Loop: Header=BB153_3 Depth=1
	v_add_co_u32 v174, vcc_lo, v151, v35
	v_add_co_ci_u32_e64 v175, null, v152, v36, vcc_lo
	v_add_co_u32 v176, vcc_lo, v153, v35
	v_add_co_ci_u32_e64 v177, null, v154, v36, vcc_lo
	global_load_dword v7, v[174:175], off
	global_load_dword v172, v[176:177], off
.LBB153_16:                             ;   in Loop: Header=BB153_3 Depth=1
	s_or_b32 exec_lo, exec_lo, s28
	v_add_co_u32 v174, vcc_lo, v37, 5
	v_add_co_ci_u32_e64 v175, null, 0, v38, vcc_lo
	v_cmp_gt_i64_e32 vcc_lo, s[8:9], v[174:175]
	v_mov_b32_e32 v174, 0
	v_mov_b32_e32 v175, 0
	s_and_b32 s29, s1, vcc_lo
	s_and_saveexec_b32 s28, s29
	s_cbranch_execz .LBB153_18
; %bb.17:                               ;   in Loop: Header=BB153_3 Depth=1
	v_add_co_u32 v175, vcc_lo, v147, v35
	v_add_co_ci_u32_e64 v176, null, v148, v36, vcc_lo
	v_add_co_u32 v177, vcc_lo, v149, v35
	v_add_co_ci_u32_e64 v178, null, v150, v36, vcc_lo
	global_load_dword v8, v[175:176], off
	global_load_dword v175, v[177:178], off
.LBB153_18:                             ;   in Loop: Header=BB153_3 Depth=1
	;; [unrolled: 32-line block ×10, first 2 shown]
	s_or_b32 exec_lo, exec_lo, s28
	v_add_co_u32 v192, vcc_lo, v37, 22
	v_add_co_ci_u32_e64 v193, null, 0, v38, vcc_lo
	v_cmp_gt_i64_e32 vcc_lo, s[8:9], v[192:193]
	s_and_b32 s29, s1, vcc_lo
	s_and_saveexec_b32 s28, s29
	s_cbranch_execz .LBB153_52
; %bb.51:                               ;   in Loop: Header=BB153_3 Depth=1
	v_add_co_u32 v192, vcc_lo, v81, v35
	v_add_co_ci_u32_e64 v193, null, v82, v36, vcc_lo
	v_add_co_u32 v194, vcc_lo, v83, v35
	v_add_co_ci_u32_e64 v195, null, v84, v36, vcc_lo
	global_load_dword v25, v[192:193], off
	global_load_dword v190, v[194:195], off
.LBB153_52:                             ;   in Loop: Header=BB153_3 Depth=1
	s_or_b32 exec_lo, exec_lo, s28
	v_add_co_u32 v192, vcc_lo, v37, 23
	v_add_co_ci_u32_e64 v193, null, 0, v38, vcc_lo
	v_mov_b32_e32 v194, 0
	v_cmp_gt_i64_e32 vcc_lo, s[8:9], v[192:193]
	v_mov_b32_e32 v193, 0
	s_and_b32 s29, s1, vcc_lo
	s_and_saveexec_b32 s28, s29
	s_cbranch_execz .LBB153_54
; %bb.53:                               ;   in Loop: Header=BB153_3 Depth=1
	v_add_co_u32 v194, vcc_lo, v77, v35
	v_add_co_ci_u32_e64 v195, null, v78, v36, vcc_lo
	v_add_co_u32 v196, vcc_lo, v79, v35
	v_add_co_ci_u32_e64 v197, null, v80, v36, vcc_lo
	global_load_dword v26, v[194:195], off
	global_load_dword v194, v[196:197], off
.LBB153_54:                             ;   in Loop: Header=BB153_3 Depth=1
	s_or_b32 exec_lo, exec_lo, s28
	v_add_co_u32 v195, vcc_lo, v37, 24
	v_add_co_ci_u32_e64 v196, null, 0, v38, vcc_lo
	v_cmp_gt_i64_e32 vcc_lo, s[8:9], v[195:196]
	s_and_b32 s29, s1, vcc_lo
	s_and_saveexec_b32 s28, s29
	s_cbranch_execz .LBB153_56
; %bb.55:                               ;   in Loop: Header=BB153_3 Depth=1
	v_add_co_u32 v192, vcc_lo, v73, v35
	v_add_co_ci_u32_e64 v193, null, v74, v36, vcc_lo
	v_add_co_u32 v195, vcc_lo, v75, v35
	v_add_co_ci_u32_e64 v196, null, v76, v36, vcc_lo
	global_load_dword v27, v[192:193], off
	global_load_dword v193, v[195:196], off
.LBB153_56:                             ;   in Loop: Header=BB153_3 Depth=1
	s_or_b32 exec_lo, exec_lo, s28
	v_add_co_u32 v195, vcc_lo, v37, 25
	v_add_co_ci_u32_e64 v196, null, 0, v38, vcc_lo
	v_cmp_gt_i64_e32 vcc_lo, s[8:9], v[195:196]
	v_mov_b32_e32 v195, 0
	v_mov_b32_e32 v196, 0
	s_and_b32 s29, s1, vcc_lo
	s_and_saveexec_b32 s28, s29
	s_cbranch_execz .LBB153_58
; %bb.57:                               ;   in Loop: Header=BB153_3 Depth=1
	v_add_co_u32 v196, vcc_lo, v69, v35
	v_add_co_ci_u32_e64 v197, null, v70, v36, vcc_lo
	v_add_co_u32 v198, vcc_lo, v71, v35
	v_add_co_ci_u32_e64 v199, null, v72, v36, vcc_lo
	global_load_dword v28, v[196:197], off
	global_load_dword v196, v[198:199], off
.LBB153_58:                             ;   in Loop: Header=BB153_3 Depth=1
	s_or_b32 exec_lo, exec_lo, s28
	v_add_co_u32 v197, vcc_lo, v37, 26
	v_add_co_ci_u32_e64 v198, null, 0, v38, vcc_lo
	v_cmp_gt_i64_e32 vcc_lo, s[8:9], v[197:198]
	s_and_b32 s29, s1, vcc_lo
	s_and_saveexec_b32 s28, s29
	s_cbranch_execz .LBB153_60
; %bb.59:                               ;   in Loop: Header=BB153_3 Depth=1
	v_add_co_u32 v197, vcc_lo, v65, v35
	v_add_co_ci_u32_e64 v198, null, v66, v36, vcc_lo
	v_add_co_u32 v199, vcc_lo, v67, v35
	v_add_co_ci_u32_e64 v200, null, v68, v36, vcc_lo
	global_load_dword v29, v[197:198], off
	global_load_dword v195, v[199:200], off
.LBB153_60:                             ;   in Loop: Header=BB153_3 Depth=1
	s_or_b32 exec_lo, exec_lo, s28
	v_add_co_u32 v197, vcc_lo, v37, 27
	v_add_co_ci_u32_e64 v198, null, 0, v38, vcc_lo
	v_cmp_gt_i64_e32 vcc_lo, s[8:9], v[197:198]
	v_mov_b32_e32 v197, 0
	v_mov_b32_e32 v198, 0
	s_and_b32 s29, s1, vcc_lo
	s_and_saveexec_b32 s28, s29
	s_cbranch_execz .LBB153_62
; %bb.61:                               ;   in Loop: Header=BB153_3 Depth=1
	v_add_co_u32 v198, vcc_lo, v61, v35
	v_add_co_ci_u32_e64 v199, null, v62, v36, vcc_lo
	v_add_co_u32 v200, vcc_lo, v63, v35
	v_add_co_ci_u32_e64 v201, null, v64, v36, vcc_lo
	global_load_dword v30, v[198:199], off
	global_load_dword v198, v[200:201], off
.LBB153_62:                             ;   in Loop: Header=BB153_3 Depth=1
	s_or_b32 exec_lo, exec_lo, s28
	v_add_co_u32 v199, vcc_lo, v37, 28
	v_add_co_ci_u32_e64 v200, null, 0, v38, vcc_lo
	v_cmp_gt_i64_e32 vcc_lo, s[8:9], v[199:200]
	s_and_b32 s29, s1, vcc_lo
	s_and_saveexec_b32 s28, s29
	s_cbranch_execz .LBB153_64
; %bb.63:                               ;   in Loop: Header=BB153_3 Depth=1
	v_add_co_u32 v199, vcc_lo, v57, v35
	v_add_co_ci_u32_e64 v200, null, v58, v36, vcc_lo
	v_add_co_u32 v201, vcc_lo, v59, v35
	v_add_co_ci_u32_e64 v202, null, v60, v36, vcc_lo
	global_load_dword v31, v[199:200], off
	global_load_dword v197, v[201:202], off
.LBB153_64:                             ;   in Loop: Header=BB153_3 Depth=1
	s_or_b32 exec_lo, exec_lo, s28
	v_add_co_u32 v199, vcc_lo, v37, 29
	v_add_co_ci_u32_e64 v200, null, 0, v38, vcc_lo
	v_cmp_gt_i64_e32 vcc_lo, s[8:9], v[199:200]
	v_mov_b32_e32 v199, 0
	v_mov_b32_e32 v200, 0
	s_and_b32 s29, s1, vcc_lo
	s_and_saveexec_b32 s28, s29
	s_cbranch_execz .LBB153_66
; %bb.65:                               ;   in Loop: Header=BB153_3 Depth=1
	v_add_co_u32 v200, vcc_lo, v53, v35
	v_add_co_ci_u32_e64 v201, null, v54, v36, vcc_lo
	v_add_co_u32 v202, vcc_lo, v55, v35
	v_add_co_ci_u32_e64 v203, null, v56, v36, vcc_lo
	global_load_dword v32, v[200:201], off
	global_load_dword v200, v[202:203], off
.LBB153_66:                             ;   in Loop: Header=BB153_3 Depth=1
	s_or_b32 exec_lo, exec_lo, s28
	v_add_co_u32 v201, vcc_lo, v37, 30
	v_add_co_ci_u32_e64 v202, null, 0, v38, vcc_lo
	v_cmp_gt_i64_e32 vcc_lo, s[8:9], v[201:202]
	s_and_b32 s29, s1, vcc_lo
	s_and_saveexec_b32 s28, s29
	s_cbranch_execz .LBB153_68
; %bb.67:                               ;   in Loop: Header=BB153_3 Depth=1
	v_add_co_u32 v201, vcc_lo, v49, v35
	v_add_co_ci_u32_e64 v202, null, v50, v36, vcc_lo
	v_add_co_u32 v203, vcc_lo, v51, v35
	v_add_co_ci_u32_e64 v204, null, v52, v36, vcc_lo
	global_load_dword v33, v[201:202], off
	global_load_dword v199, v[203:204], off
.LBB153_68:                             ;   in Loop: Header=BB153_3 Depth=1
	s_or_b32 exec_lo, exec_lo, s28
	v_add_co_u32 v201, vcc_lo, v37, 31
	v_add_co_ci_u32_e64 v202, null, 0, v38, vcc_lo
	v_mov_b32_e32 v192, 0
	v_cmp_gt_i64_e32 vcc_lo, s[8:9], v[201:202]
	s_and_b32 s29, s1, vcc_lo
	s_and_saveexec_b32 s28, s29
	s_cbranch_execz .LBB153_70
; %bb.69:                               ;   in Loop: Header=BB153_3 Depth=1
	v_add_co_u32 v201, vcc_lo, v45, v35
	v_add_co_ci_u32_e64 v202, null, v46, v36, vcc_lo
	v_add_co_u32 v203, vcc_lo, v47, v35
	v_add_co_ci_u32_e64 v204, null, v48, v36, vcc_lo
	global_load_dword v34, v[201:202], off
	global_load_dword v192, v[203:204], off
.LBB153_70:                             ;   in Loop: Header=BB153_3 Depth=1
	s_or_b32 exec_lo, exec_lo, s28
	s_waitcnt vmcnt(0)
	ds_bpermute_b32 v201, v2, v168
	ds_bpermute_b32 v203, v2, v168 offset:4
	ds_bpermute_b32 v204, v2, v168 offset:8
	v_mul_f32_e32 v3, v169, v3
	ds_bpermute_b32 v169, v2, v168 offset:12
	v_mul_f32_e32 v4, v171, v4
	ds_bpermute_b32 v171, v2, v168 offset:16
	s_mov_b32 s28, 0
	s_waitcnt lgkmcnt(4)
	v_fma_f32 v202, v3, v201, v167
	v_mul_f32_e32 v3, v170, v5
	ds_bpermute_b32 v5, v2, v168 offset:20
	s_waitcnt lgkmcnt(4)
	v_fmac_f32_e32 v202, v4, v203
	v_mul_f32_e32 v4, v173, v6
	ds_bpermute_b32 v6, v2, v168 offset:24
	s_waitcnt lgkmcnt(4)
	v_fmac_f32_e32 v202, v3, v204
	;; [unrolled: 4-line block ×27, first 2 shown]
	v_mul_f32_e32 v4, v200, v32
	s_waitcnt lgkmcnt(3)
	v_fmac_f32_e32 v202, v6, v8
	s_waitcnt lgkmcnt(2)
	v_fmac_f32_e32 v202, v4, v9
	v_mul_f32_e32 v4, v199, v33
	s_waitcnt lgkmcnt(1)
	v_fmac_f32_e32 v202, v4, v5
.LBB153_71:                             ;   in Loop: Header=BB153_3 Depth=1
	s_and_b32 vcc_lo, exec_lo, s28
	s_cbranch_vccz .LBB153_137
; %bb.72:                               ;   in Loop: Header=BB153_3 Depth=1
	s_load_dword s28, s[20:21], 0x0
	s_waitcnt lgkmcnt(0)
	s_cmp_lt_u32 s6, s28
	s_cselect_b32 s28, 12, 18
	s_add_u32 s28, s20, s28
	s_addc_u32 s29, s21, 0
	global_load_ushort v3, v2, s[28:29]
	s_mov_b32 s28, exec_lo
	s_waitcnt vmcnt(0)
	v_mad_u32_u24 v3, v223, v3, v224
	v_and_b32_e32 v3, 31, v3
	v_add_co_u32 v3, vcc_lo, v37, v3
	v_add_co_ci_u32_e64 v4, null, 0, v38, vcc_lo
	v_mov_b32_e32 v38, 0
	v_mov_b32_e32 v37, 0
	v_cmpx_gt_i64_e64 s[8:9], v[3:4]
	s_cbranch_execz .LBB153_74
; %bb.73:                               ;   in Loop: Header=BB153_3 Depth=1
	v_lshlrev_b64 v[3:4], 2, v[3:4]
	v_add_co_u32 v3, vcc_lo, s16, v3
	v_add_co_ci_u32_e64 v4, null, s17, v4, vcc_lo
	global_load_dword v37, v[3:4], off
.LBB153_74:                             ;   in Loop: Header=BB153_3 Depth=1
	s_or_b32 exec_lo, exec_lo, s28
	v_mov_b32_e32 v33, v2
	v_mov_b32_e32 v3, v2
	;; [unrolled: 1-line block ×63, first 2 shown]
	s_and_saveexec_b32 s28, s1
	s_cbranch_execz .LBB153_76
; %bb.75:                               ;   in Loop: Header=BB153_3 Depth=1
	v_add_co_u32 v3, vcc_lo, v41, v35
	v_add_co_ci_u32_e64 v4, null, v42, v36, vcc_lo
	v_add_co_u32 v5, vcc_lo, v43, v35
	v_add_co_ci_u32_e64 v6, null, v44, v36, vcc_lo
	global_load_dword v3, v[3:4], off
	global_load_dword v38, v[5:6], off
	v_mov_b32_e32 v4, v2
	v_mov_b32_e32 v5, v2
	v_mov_b32_e32 v6, v2
	v_mov_b32_e32 v7, v2
	v_mov_b32_e32 v8, v2
	v_mov_b32_e32 v9, v2
	v_mov_b32_e32 v10, v2
	v_mov_b32_e32 v11, v2
	v_mov_b32_e32 v12, v2
	v_mov_b32_e32 v13, v2
	v_mov_b32_e32 v14, v2
	v_mov_b32_e32 v15, v2
	v_mov_b32_e32 v16, v2
	v_mov_b32_e32 v17, v2
	v_mov_b32_e32 v18, v2
	v_mov_b32_e32 v19, v2
	v_mov_b32_e32 v20, v2
	v_mov_b32_e32 v21, v2
	v_mov_b32_e32 v22, v2
	v_mov_b32_e32 v23, v2
	v_mov_b32_e32 v24, v2
	v_mov_b32_e32 v25, v2
	v_mov_b32_e32 v26, v2
	v_mov_b32_e32 v27, v2
	v_mov_b32_e32 v28, v2
	v_mov_b32_e32 v29, v2
	v_mov_b32_e32 v30, v2
	v_mov_b32_e32 v31, v2
	v_mov_b32_e32 v32, v2
	v_mov_b32_e32 v33, v2
	v_mov_b32_e32 v34, v2
.LBB153_76:                             ;   in Loop: Header=BB153_3 Depth=1
	s_or_b32 exec_lo, exec_lo, s28
	v_mov_b32_e32 v168, 0
	v_mov_b32_e32 v169, 0
	s_and_saveexec_b32 s28, s1
	s_cbranch_execz .LBB153_78
; %bb.77:                               ;   in Loop: Header=BB153_3 Depth=1
	v_add_co_u32 v169, vcc_lo, v163, v35
	v_add_co_ci_u32_e64 v170, null, v164, v36, vcc_lo
	v_add_co_u32 v171, vcc_lo, v165, v35
	v_add_co_ci_u32_e64 v172, null, v166, v36, vcc_lo
	global_load_dword v4, v[169:170], off
	global_load_dword v169, v[171:172], off
.LBB153_78:                             ;   in Loop: Header=BB153_3 Depth=1
	s_or_b32 exec_lo, exec_lo, s28
	s_and_saveexec_b32 s28, s1
	s_cbranch_execz .LBB153_80
; %bb.79:                               ;   in Loop: Header=BB153_3 Depth=1
	v_add_co_u32 v170, vcc_lo, v159, v35
	v_add_co_ci_u32_e64 v171, null, v160, v36, vcc_lo
	v_add_co_u32 v172, vcc_lo, v161, v35
	v_add_co_ci_u32_e64 v173, null, v162, v36, vcc_lo
	global_load_dword v5, v[170:171], off
	global_load_dword v168, v[172:173], off
.LBB153_80:                             ;   in Loop: Header=BB153_3 Depth=1
	s_or_b32 exec_lo, exec_lo, s28
	v_mov_b32_e32 v170, 0
	v_mov_b32_e32 v171, 0
	s_and_saveexec_b32 s28, s1
	s_cbranch_execz .LBB153_82
; %bb.81:                               ;   in Loop: Header=BB153_3 Depth=1
	v_add_co_u32 v171, vcc_lo, v155, v35
	v_add_co_ci_u32_e64 v172, null, v156, v36, vcc_lo
	v_add_co_u32 v173, vcc_lo, v157, v35
	v_add_co_ci_u32_e64 v174, null, v158, v36, vcc_lo
	global_load_dword v6, v[171:172], off
	global_load_dword v171, v[173:174], off
.LBB153_82:                             ;   in Loop: Header=BB153_3 Depth=1
	s_or_b32 exec_lo, exec_lo, s28
	s_and_saveexec_b32 s28, s1
	s_cbranch_execz .LBB153_84
; %bb.83:                               ;   in Loop: Header=BB153_3 Depth=1
	v_add_co_u32 v172, vcc_lo, v151, v35
	v_add_co_ci_u32_e64 v173, null, v152, v36, vcc_lo
	v_add_co_u32 v174, vcc_lo, v153, v35
	v_add_co_ci_u32_e64 v175, null, v154, v36, vcc_lo
	global_load_dword v7, v[172:173], off
	global_load_dword v170, v[174:175], off
.LBB153_84:                             ;   in Loop: Header=BB153_3 Depth=1
	;; [unrolled: 24-line block ×5, first 2 shown]
	s_or_b32 exec_lo, exec_lo, s28
	v_mov_b32_e32 v178, 0
	v_mov_b32_e32 v179, 0
	s_and_saveexec_b32 s28, s1
	s_cbranch_execz .LBB153_98
; %bb.97:                               ;   in Loop: Header=BB153_3 Depth=1
	v_add_co_u32 v179, vcc_lo, v125, v35
	v_add_co_ci_u32_e64 v180, null, v126, v36, vcc_lo
	v_add_co_u32 v181, vcc_lo, v127, v35
	v_add_co_ci_u32_e64 v182, null, v128, v36, vcc_lo
	global_load_dword v14, v[179:180], off
	global_load_dword v179, v[181:182], off
.LBB153_98:                             ;   in Loop: Header=BB153_3 Depth=1
	s_or_b32 exec_lo, exec_lo, s28
	s_and_saveexec_b32 s28, s1
	s_cbranch_execz .LBB153_100
; %bb.99:                               ;   in Loop: Header=BB153_3 Depth=1
	v_add_co_u32 v180, vcc_lo, v121, v35
	v_add_co_ci_u32_e64 v181, null, v122, v36, vcc_lo
	v_add_co_u32 v182, vcc_lo, v123, v35
	v_add_co_ci_u32_e64 v183, null, v124, v36, vcc_lo
	global_load_dword v15, v[180:181], off
	global_load_dword v178, v[182:183], off
.LBB153_100:                            ;   in Loop: Header=BB153_3 Depth=1
	s_or_b32 exec_lo, exec_lo, s28
	v_mov_b32_e32 v180, 0
	v_mov_b32_e32 v181, 0
	s_and_saveexec_b32 s28, s1
	s_cbranch_execz .LBB153_102
; %bb.101:                              ;   in Loop: Header=BB153_3 Depth=1
	v_add_co_u32 v181, vcc_lo, v117, v35
	v_add_co_ci_u32_e64 v182, null, v118, v36, vcc_lo
	v_add_co_u32 v183, vcc_lo, v119, v35
	v_add_co_ci_u32_e64 v184, null, v120, v36, vcc_lo
	global_load_dword v16, v[181:182], off
	global_load_dword v181, v[183:184], off
.LBB153_102:                            ;   in Loop: Header=BB153_3 Depth=1
	s_or_b32 exec_lo, exec_lo, s28
	s_and_saveexec_b32 s28, s1
	s_cbranch_execz .LBB153_104
; %bb.103:                              ;   in Loop: Header=BB153_3 Depth=1
	v_add_co_u32 v182, vcc_lo, v113, v35
	v_add_co_ci_u32_e64 v183, null, v114, v36, vcc_lo
	v_add_co_u32 v184, vcc_lo, v115, v35
	v_add_co_ci_u32_e64 v185, null, v116, v36, vcc_lo
	global_load_dword v17, v[182:183], off
	global_load_dword v180, v[184:185], off
.LBB153_104:                            ;   in Loop: Header=BB153_3 Depth=1
	s_or_b32 exec_lo, exec_lo, s28
	v_mov_b32_e32 v182, 0
	v_mov_b32_e32 v183, 0
	s_and_saveexec_b32 s28, s1
	s_cbranch_execz .LBB153_106
; %bb.105:                              ;   in Loop: Header=BB153_3 Depth=1
	v_add_co_u32 v183, vcc_lo, v109, v35
	v_add_co_ci_u32_e64 v184, null, v110, v36, vcc_lo
	v_add_co_u32 v185, vcc_lo, v111, v35
	v_add_co_ci_u32_e64 v186, null, v112, v36, vcc_lo
	global_load_dword v18, v[183:184], off
	global_load_dword v183, v[185:186], off
.LBB153_106:                            ;   in Loop: Header=BB153_3 Depth=1
	s_or_b32 exec_lo, exec_lo, s28
	s_and_saveexec_b32 s28, s1
	s_cbranch_execz .LBB153_108
; %bb.107:                              ;   in Loop: Header=BB153_3 Depth=1
	v_add_co_u32 v184, vcc_lo, v105, v35
	v_add_co_ci_u32_e64 v185, null, v106, v36, vcc_lo
	v_add_co_u32 v186, vcc_lo, v107, v35
	v_add_co_ci_u32_e64 v187, null, v108, v36, vcc_lo
	global_load_dword v19, v[184:185], off
	global_load_dword v182, v[186:187], off
.LBB153_108:                            ;   in Loop: Header=BB153_3 Depth=1
	;; [unrolled: 24-line block ×8, first 2 shown]
	s_or_b32 exec_lo, exec_lo, s28
	v_mov_b32_e32 v197, 0
	v_mov_b32_e32 v198, 0
	s_and_saveexec_b32 s28, s1
	s_cbranch_execnz .LBB153_139
; %bb.133:                              ;   in Loop: Header=BB153_3 Depth=1
	s_or_b32 exec_lo, exec_lo, s28
	s_and_saveexec_b32 s28, s1
	s_cbranch_execnz .LBB153_140
.LBB153_134:                            ;   in Loop: Header=BB153_3 Depth=1
	s_or_b32 exec_lo, exec_lo, s28
	v_mov_b32_e32 v192, 0
	s_and_saveexec_b32 s28, s1
	s_cbranch_execz .LBB153_136
.LBB153_135:                            ;   in Loop: Header=BB153_3 Depth=1
	v_add_co_u32 v199, vcc_lo, v45, v35
	v_add_co_ci_u32_e64 v200, null, v46, v36, vcc_lo
	v_add_co_u32 v201, vcc_lo, v47, v35
	v_add_co_ci_u32_e64 v202, null, v48, v36, vcc_lo
	global_load_dword v34, v[199:200], off
	global_load_dword v192, v[201:202], off
.LBB153_136:                            ;   in Loop: Header=BB153_3 Depth=1
	s_or_b32 exec_lo, exec_lo, s28
	s_waitcnt vmcnt(0)
	ds_bpermute_b32 v199, v2, v37
	ds_bpermute_b32 v200, v2, v37 offset:4
	ds_bpermute_b32 v201, v2, v37 offset:8
	v_mul_f32_e32 v3, v38, v3
	ds_bpermute_b32 v38, v2, v37 offset:12
	v_mul_f32_e32 v4, v169, v4
	ds_bpermute_b32 v169, v2, v37 offset:16
	s_waitcnt lgkmcnt(4)
	v_fmac_f32_e32 v167, v3, v199
	v_mul_f32_e32 v3, v168, v5
	ds_bpermute_b32 v5, v2, v37 offset:20
	s_waitcnt lgkmcnt(4)
	v_fmac_f32_e32 v167, v4, v200
	;; [unrolled: 4-line block ×27, first 2 shown]
	v_mul_f32_e32 v3, v195, v31
	s_waitcnt lgkmcnt(3)
	v_fmac_f32_e32 v167, v4, v7
	v_mul_f32_e32 v4, v198, v32
	s_waitcnt lgkmcnt(2)
	v_fmac_f32_e32 v167, v3, v8
	ds_bpermute_b32 v3, v2, v37 offset:124
	s_waitcnt lgkmcnt(2)
	v_fmac_f32_e32 v167, v4, v9
	v_mul_f32_e32 v4, v197, v33
	s_waitcnt lgkmcnt(1)
	v_fmac_f32_e32 v167, v4, v5
	v_mov_b32_e32 v202, v167
.LBB153_137:                            ;   in Loop: Header=BB153_3 Depth=1
	v_add_co_u32 v41, vcc_lo, v41, s2
	v_add_co_ci_u32_e64 v42, null, s3, v42, vcc_lo
	v_add_co_u32 v43, vcc_lo, v43, s2
	v_add_co_ci_u32_e64 v44, null, s3, v44, vcc_lo
	;; [unrolled: 2-line block ×61, first 2 shown]
	v_add_co_u32 v161, vcc_lo, v161, s2
	s_add_u32 s24, s24, s27
	v_add_co_ci_u32_e64 v162, null, s3, v162, vcc_lo
	v_add_co_u32 v163, vcc_lo, v163, s2
	v_mul_f32_e32 v4, v192, v34
	s_addc_u32 s25, s25, 0
	v_add_co_ci_u32_e64 v164, null, s3, v164, vcc_lo
	v_add_co_u32 v165, vcc_lo, v165, s2
	v_cmp_lt_i64_e64 s28, s[24:25], s[8:9]
	v_add_co_ci_u32_e64 v166, null, s3, v166, vcc_lo
	v_add_co_u32 v39, vcc_lo, v39, s27
	s_waitcnt lgkmcnt(0)
	v_fmac_f32_e32 v202, v4, v3
	v_add_co_ci_u32_e64 v40, null, 0, v40, vcc_lo
	s_add_u32 s22, s22, s27
	s_addc_u32 s23, 0, s23
	s_and_b32 vcc_lo, exec_lo, s28
	s_cbranch_vccz .LBB153_142
; %bb.138:                              ;   in Loop: Header=BB153_3 Depth=1
	v_mov_b32_e32 v167, v202
	s_branch .LBB153_3
.LBB153_139:                            ;   in Loop: Header=BB153_3 Depth=1
	v_add_co_u32 v198, vcc_lo, v53, v35
	v_add_co_ci_u32_e64 v199, null, v54, v36, vcc_lo
	v_add_co_u32 v200, vcc_lo, v55, v35
	v_add_co_ci_u32_e64 v201, null, v56, v36, vcc_lo
	global_load_dword v32, v[198:199], off
	global_load_dword v198, v[200:201], off
	s_or_b32 exec_lo, exec_lo, s28
	s_and_saveexec_b32 s28, s1
	s_cbranch_execz .LBB153_134
.LBB153_140:                            ;   in Loop: Header=BB153_3 Depth=1
	v_add_co_u32 v199, vcc_lo, v49, v35
	v_add_co_ci_u32_e64 v200, null, v50, v36, vcc_lo
	v_add_co_u32 v201, vcc_lo, v51, v35
	v_add_co_ci_u32_e64 v202, null, v52, v36, vcc_lo
	global_load_dword v33, v[199:200], off
	global_load_dword v197, v[201:202], off
	s_or_b32 exec_lo, exec_lo, s28
	v_mov_b32_e32 v192, 0
	s_and_saveexec_b32 s28, s1
	s_cbranch_execnz .LBB153_135
	s_branch .LBB153_136
.LBB153_141:
                                        ; implicit-def: $vgpr202
	s_load_dwordx2 s[2:3], s[4:5], 0x30
	s_branch .LBB153_143
.LBB153_142:
	s_load_dwordx2 s[2:3], s[4:5], 0x30
	s_cbranch_execnz .LBB153_219
.LBB153_143:
	v_mov_b32_e32 v202, 0
	s_andn2_b32 vcc_lo, exec_lo, s26
	s_cbranch_vccnz .LBB153_219
; %bb.144:
	v_lshlrev_b32_e32 v192, 5, v223
	v_lshlrev_b32_e32 v2, 7, v223
	s_add_u32 s20, s4, 64
	s_addc_u32 s21, s5, 0
	s_lshl_b64 s[22:23], s[18:19], 2
	v_add_co_u32 v0, s1, v192, s18
	v_add_co_ci_u32_e64 v1, null, 0, 0, s1
	v_add_co_u32 v4, s1, v2, s22
	v_add_co_ci_u32_e64 v5, null, 0, s23, s1
	v_mul_lo_u32 v6, s11, v0
	v_add_co_u32 v8, vcc_lo, v4, 4
	v_mul_lo_u32 v7, s10, v1
	v_add_co_ci_u32_e64 v9, null, 0, v5, vcc_lo
	v_mad_u64_u32 v[2:3], null, s10, v0, 0
	v_add_co_u32 v10, vcc_lo, v4, 8
	v_add_co_ci_u32_e64 v12, null, 0, v5, vcc_lo
	v_add_co_u32 v13, vcc_lo, v4, 12
	v_add_co_ci_u32_e64 v14, null, 0, v5, vcc_lo
	;; [unrolled: 2-line block ×4, first 2 shown]
	v_add3_u32 v3, v3, v7, v6
	v_add_co_u32 v6, vcc_lo, v4, 24
	v_mad_u64_u32 v[35:36], null, s10, v8, s[12:13]
	v_mul_lo_u32 v9, s10, v9
	v_mul_lo_u32 v11, s11, v8
	v_mad_u64_u32 v[49:50], null, s10, v8, s[14:15]
	v_add_co_ci_u32_e64 v7, null, 0, v5, vcc_lo
	v_add_co_u32 v23, vcc_lo, v4, 28
	v_mad_u64_u32 v[37:38], null, s10, v10, s[12:13]
	v_mul_lo_u32 v12, s10, v12
	v_mul_lo_u32 v15, s11, v10
	v_mad_u64_u32 v[53:54], null, s10, v10, s[14:15]
	v_add_co_ci_u32_e64 v24, null, 0, v5, vcc_lo
	v_add_co_u32 v26, vcc_lo, v4, 32
	v_add_co_ci_u32_e64 v27, null, 0, v5, vcc_lo
	v_mad_u64_u32 v[45:46], null, s10, v6, s[12:13]
	v_mul_lo_u32 v7, s10, v7
	v_mul_lo_u32 v25, s11, v6
	v_mad_u64_u32 v[63:64], null, s10, v6, s[14:15]
	v_add3_u32 v36, v11, v36, v9
	v_mad_u64_u32 v[47:48], null, s10, v23, s[12:13]
	v_mul_lo_u32 v24, s10, v24
	v_mul_lo_u32 v8, s11, v23
	v_add3_u32 v50, v11, v50, v9
	v_add_co_u32 v9, vcc_lo, v4, 36
	v_mad_u64_u32 v[65:66], null, s10, v23, s[14:15]
	v_add3_u32 v38, v15, v38, v12
	v_mad_u64_u32 v[51:52], null, s10, v26, s[12:13]
	v_add_co_ci_u32_e64 v10, null, 0, v5, vcc_lo
	v_mul_lo_u32 v11, s10, v27
	v_add3_u32 v54, v15, v54, v12
	v_mul_lo_u32 v12, s11, v26
	v_mad_u64_u32 v[67:68], null, s10, v26, s[14:15]
	v_add3_u32 v46, v25, v46, v7
	v_add3_u32 v64, v25, v64, v7
	v_add_co_u32 v7, vcc_lo, v4, 40
	v_mad_u64_u32 v[59:60], null, s10, v9, s[12:13]
	v_mul_lo_u32 v10, s10, v10
	v_mul_lo_u32 v6, s11, v9
	v_mad_u64_u32 v[69:70], null, s10, v9, s[14:15]
	v_add3_u32 v48, v8, v48, v24
	v_add3_u32 v66, v8, v66, v24
	v_add_co_ci_u32_e64 v8, null, 0, v5, vcc_lo
	v_add_co_u32 v9, vcc_lo, v4, 44
	v_add3_u32 v52, v12, v52, v11
	v_add3_u32 v68, v12, v68, v11
	v_add_co_ci_u32_e64 v11, null, 0, v5, vcc_lo
	v_mad_u64_u32 v[71:72], null, s10, v7, s[12:13]
	v_mul_lo_u32 v8, s10, v8
	v_mul_lo_u32 v12, s11, v7
	v_mad_u64_u32 v[73:74], null, s10, v7, s[14:15]
	v_add3_u32 v60, v6, v60, v10
	v_add3_u32 v70, v6, v70, v10
	v_mul_lo_u32 v6, s10, v11
	v_mul_lo_u32 v7, s11, v9
	v_mad_u64_u32 v[75:76], null, s10, v9, s[12:13]
	v_mad_u64_u32 v[77:78], null, s10, v9, s[14:15]
	v_add_co_u32 v9, vcc_lo, v4, 48
	v_add_co_ci_u32_e64 v10, null, 0, v5, vcc_lo
	v_add3_u32 v72, v12, v72, v8
	v_add3_u32 v74, v12, v74, v8
	v_add_co_u32 v8, vcc_lo, v4, 52
	v_add3_u32 v76, v7, v76, v6
	v_add3_u32 v78, v7, v78, v6
	v_mul_lo_u32 v6, s10, v10
	v_add_co_ci_u32_e64 v10, null, 0, v5, vcc_lo
	v_mul_lo_u32 v7, s11, v9
	v_mad_u64_u32 v[79:80], null, s10, v9, s[12:13]
	v_mad_u64_u32 v[81:82], null, s10, v9, s[14:15]
	v_mul_lo_u32 v9, s10, v10
	v_mul_lo_u32 v10, s11, v8
	v_mad_u64_u32 v[83:84], null, s10, v8, s[12:13]
	v_mad_u64_u32 v[85:86], null, s10, v8, s[14:15]
	v_add_co_u32 v8, vcc_lo, v4, 56
	v_add_co_ci_u32_e64 v11, null, 0, v5, vcc_lo
	v_add3_u32 v84, v10, v84, v9
	v_add3_u32 v80, v7, v80, v6
	;; [unrolled: 1-line block ×3, first 2 shown]
	v_add_co_u32 v9, vcc_lo, v4, 60
	v_add_co_ci_u32_e64 v10, null, 0, v5, vcc_lo
	v_add3_u32 v82, v7, v82, v6
	v_mul_lo_u32 v6, s10, v11
	v_mul_lo_u32 v7, s11, v8
	v_mad_u64_u32 v[87:88], null, s10, v8, s[12:13]
	v_mad_u64_u32 v[89:90], null, s10, v8, s[14:15]
	v_mul_lo_u32 v8, s10, v10
	v_mul_lo_u32 v10, s11, v9
	v_mad_u64_u32 v[91:92], null, s10, v9, s[12:13]
	v_mad_u64_u32 v[93:94], null, s10, v9, s[14:15]
	v_add_co_u32 v9, vcc_lo, v4, 64
	v_add_co_ci_u32_e64 v11, null, 0, v5, vcc_lo
	v_add3_u32 v88, v7, v88, v6
	v_add3_u32 v90, v7, v90, v6
	v_mul_lo_u32 v7, s11, v9
	v_mul_lo_u32 v6, s10, v11
	v_mad_u64_u32 v[95:96], null, s10, v9, s[12:13]
	v_mad_u64_u32 v[97:98], null, s10, v9, s[14:15]
	v_add3_u32 v92, v10, v92, v8
	v_add3_u32 v94, v10, v94, v8
	v_mad_u64_u32 v[39:40], null, s10, v13, s[12:13]
	v_add3_u32 v96, v7, v96, v6
	v_mul_lo_u32 v17, s11, v13
	v_add3_u32 v98, v7, v98, v6
	v_add_co_u32 v6, vcc_lo, 0x44, v4
	v_add_co_ci_u32_e64 v7, null, 0, v5, vcc_lo
	v_mad_u64_u32 v[55:56], null, s10, v13, s[14:15]
	v_mul_lo_u32 v8, s11, v6
	v_mul_lo_u32 v7, s10, v7
	v_mad_u64_u32 v[99:100], null, s10, v6, s[12:13]
	v_mad_u64_u32 v[101:102], null, s10, v6, s[14:15]
	v_add_co_u32 v6, vcc_lo, 0x48, v4
	v_mul_lo_u32 v14, s10, v14
	v_mad_u64_u32 v[41:42], null, s10, v16, s[12:13]
	v_add3_u32 v100, v8, v100, v7
	v_add3_u32 v102, v8, v102, v7
	v_add_co_ci_u32_e64 v7, null, 0, v5, vcc_lo
	v_mul_lo_u32 v8, s11, v6
	v_mad_u64_u32 v[103:104], null, s10, v6, s[12:13]
	v_mul_lo_u32 v7, s10, v7
	v_mad_u64_u32 v[105:106], null, s10, v6, s[14:15]
	v_add_co_u32 v6, vcc_lo, 0x4c, v4
	v_add3_u32 v40, v17, v40, v14
	v_add3_u32 v56, v17, v56, v14
	v_mul_lo_u32 v21, s11, v16
	v_add3_u32 v104, v8, v104, v7
	v_add3_u32 v106, v8, v106, v7
	v_add_co_ci_u32_e64 v7, null, 0, v5, vcc_lo
	v_mul_lo_u32 v8, s11, v6
	v_mad_u64_u32 v[107:108], null, s10, v6, s[12:13]
	v_mul_lo_u32 v7, s10, v7
	v_mad_u64_u32 v[109:110], null, s10, v6, s[14:15]
	v_add_co_u32 v6, vcc_lo, 0x50, v4
	v_mad_u64_u32 v[57:58], null, s10, v16, s[14:15]
	v_mul_lo_u32 v18, s10, v18
	v_add3_u32 v108, v8, v108, v7
	v_add3_u32 v110, v8, v110, v7
	v_add_co_ci_u32_e64 v7, null, 0, v5, vcc_lo
	v_mul_lo_u32 v8, s11, v6
	v_mad_u64_u32 v[111:112], null, s10, v6, s[12:13]
	v_mul_lo_u32 v7, s10, v7
	v_mad_u64_u32 v[113:114], null, s10, v6, s[14:15]
	v_add_co_u32 v6, vcc_lo, 0x54, v4
	v_mad_u64_u32 v[43:44], null, s10, v19, s[12:13]
	v_mul_lo_u32 v22, s11, v19
	v_add3_u32 v112, v8, v112, v7
	v_add3_u32 v114, v8, v114, v7
	v_add_co_ci_u32_e64 v7, null, 0, v5, vcc_lo
	v_mul_lo_u32 v8, s11, v6
	v_mad_u64_u32 v[115:116], null, s10, v6, s[12:13]
	v_mul_lo_u32 v7, s10, v7
	v_mad_u64_u32 v[117:118], null, s10, v6, s[14:15]
	v_add_co_u32 v6, vcc_lo, 0x58, v4
	v_add3_u32 v42, v21, v42, v18
	v_mad_u64_u32 v[61:62], null, s10, v19, s[14:15]
	v_add3_u32 v116, v8, v116, v7
	v_add3_u32 v118, v8, v118, v7
	v_add_co_ci_u32_e64 v7, null, 0, v5, vcc_lo
	v_mul_lo_u32 v8, s11, v6
	v_mad_u64_u32 v[119:120], null, s10, v6, s[12:13]
	v_mul_lo_u32 v7, s10, v7
	v_mad_u64_u32 v[121:122], null, s10, v6, s[14:15]
	v_add_co_u32 v6, vcc_lo, 0x5c, v4
	v_add3_u32 v58, v21, v58, v18
	v_mul_lo_u32 v20, s10, v20
	s_load_dword s1, s[4:5], 0x44
	v_add3_u32 v120, v8, v120, v7
	v_add3_u32 v122, v8, v122, v7
	v_add_co_ci_u32_e64 v7, null, 0, v5, vcc_lo
	v_mul_lo_u32 v8, s11, v6
	v_mad_u64_u32 v[123:124], null, s10, v6, s[12:13]
	v_mul_lo_u32 v7, s10, v7
	v_mad_u64_u32 v[125:126], null, s10, v6, s[14:15]
	v_add_co_u32 v6, vcc_lo, 0x60, v4
	v_add3_u32 v44, v22, v44, v20
	v_add3_u32 v62, v22, v62, v20
	v_mov_b32_e32 v203, 0
	v_add3_u32 v124, v8, v124, v7
	v_add3_u32 v126, v8, v126, v7
	v_add_co_ci_u32_e64 v7, null, 0, v5, vcc_lo
	v_mul_lo_u32 v8, s11, v6
	v_mad_u64_u32 v[127:128], null, s10, v6, s[12:13]
	v_mul_lo_u32 v7, s10, v7
	v_mad_u64_u32 v[129:130], null, s10, v6, s[14:15]
	v_add_co_u32 v6, vcc_lo, 0x64, v4
	s_waitcnt lgkmcnt(0)
	s_lshl_b32 s1, s1, 5
	s_mov_b64 s[22:23], s[18:19]
	v_add3_u32 v128, v8, v128, v7
	v_add3_u32 v130, v8, v130, v7
	v_add_co_ci_u32_e64 v7, null, 0, v5, vcc_lo
	v_mul_lo_u32 v8, s11, v6
	v_mad_u64_u32 v[131:132], null, s10, v6, s[12:13]
	v_mul_lo_u32 v7, s10, v7
	v_mad_u64_u32 v[133:134], null, s10, v6, s[14:15]
	v_add_co_u32 v6, vcc_lo, 0x68, v4
	v_add3_u32 v132, v8, v132, v7
	v_add3_u32 v134, v8, v134, v7
	v_add_co_ci_u32_e64 v7, null, 0, v5, vcc_lo
	v_mul_lo_u32 v8, s11, v6
	v_mad_u64_u32 v[135:136], null, s10, v6, s[12:13]
	v_mul_lo_u32 v7, s10, v7
	v_mad_u64_u32 v[137:138], null, s10, v6, s[14:15]
	v_add_co_u32 v6, vcc_lo, 0x6c, v4
	;; [unrolled: 8-line block ×5, first 2 shown]
	v_add3_u32 v148, v8, v148, v7
	v_add3_u32 v150, v8, v150, v7
	v_add_co_ci_u32_e64 v7, null, 0, v5, vcc_lo
	v_add_co_u32 v4, vcc_lo, 0x7c, v4
	v_add_co_ci_u32_e64 v5, null, 0, v5, vcc_lo
	v_mul_lo_u32 v8, s11, v6
	v_mad_u64_u32 v[151:152], null, s10, v6, s[12:13]
	v_mad_u64_u32 v[153:154], null, s10, v6, s[14:15]
	v_mul_lo_u32 v5, s10, v5
	v_mul_lo_u32 v6, s11, v4
	v_mad_u64_u32 v[155:156], null, s10, v4, s[12:13]
	v_mad_u64_u32 v[157:158], null, s10, v4, s[14:15]
	v_mul_lo_u32 v7, s10, v7
	v_add_co_u32 v4, vcc_lo, v0, 31
	v_add3_u32 v156, v6, v156, v5
	v_add3_u32 v158, v6, v158, v5
	v_add_co_ci_u32_e64 v5, null, 0, v1, vcc_lo
	v_add3_u32 v152, v8, v152, v7
	v_add3_u32 v154, v8, v154, v7
	v_mul_lo_u32 v7, s11, v4
	v_mul_lo_u32 v6, s10, v5
	v_mad_u64_u32 v[4:5], null, s10, v4, 0
	v_add3_u32 v5, v5, v6, v7
	v_add_co_u32 v6, vcc_lo, v0, 30
	v_add_co_ci_u32_e64 v7, null, 0, v1, vcc_lo
	v_mul_lo_u32 v9, s11, v6
	v_mul_lo_u32 v8, s10, v7
	v_mad_u64_u32 v[6:7], null, s10, v6, 0
	v_add3_u32 v7, v7, v8, v9
	v_add_co_u32 v8, vcc_lo, v0, 29
	v_add_co_ci_u32_e64 v9, null, 0, v1, vcc_lo
	;; [unrolled: 6-line block ×15, first 2 shown]
	v_mul_lo_u32 v162, s11, v34
	v_mul_lo_u32 v161, s10, v159
	v_mad_u64_u32 v[159:160], null, s10, v34, 0
	v_add_co_u32 v34, vcc_lo, v0, 15
	v_mul_lo_u32 v164, s11, v34
	v_add3_u32 v160, v160, v161, v162
	v_add_co_ci_u32_e64 v161, null, 0, v1, vcc_lo
	v_mul_lo_u32 v163, s10, v161
	v_mad_u64_u32 v[161:162], null, s10, v34, 0
	v_add_co_u32 v34, vcc_lo, v0, 14
	v_mad_u64_u32 v[168:169], null, s10, v34, 0
	v_add3_u32 v162, v162, v163, v164
	v_add_co_ci_u32_e64 v163, null, 0, v1, vcc_lo
	v_mul_lo_u32 v164, s11, v34
	v_add_co_u32 v34, vcc_lo, v0, 13
	v_mul_lo_u32 v163, s10, v163
	v_mad_u64_u32 v[170:171], null, s10, v34, 0
	v_add3_u32 v169, v169, v163, v164
	v_add_co_ci_u32_e64 v163, null, 0, v1, vcc_lo
	v_mul_lo_u32 v164, s11, v34
	v_add_co_u32 v34, vcc_lo, v0, 12
	v_mul_lo_u32 v163, s10, v163
	;; [unrolled: 6-line block ×11, first 2 shown]
	v_mad_u64_u32 v[190:191], null, s10, v34, 0
	v_add3_u32 v189, v189, v163, v164
	v_add_co_ci_u32_e64 v163, null, 0, v1, vcc_lo
	v_add_co_u32 v0, vcc_lo, v0, 2
	v_add_co_ci_u32_e64 v1, null, 0, v1, vcc_lo
	v_mul_lo_u32 v164, s11, v34
	v_mul_lo_u32 v34, s11, v0
	v_mad_u64_u32 v[193:194], null, s10, v0, 0
	v_mul_lo_u32 v1, s10, v1
	v_mul_lo_u32 v163, s10, v163
	v_add_co_u32 v197, vcc_lo, v2, s10
	v_add_co_ci_u32_e64 v198, null, s11, v3, vcc_lo
	v_add3_u32 v194, v194, v1, v34
	v_lshlrev_b64 v[0:1], 2, v[2:3]
	v_add3_u32 v191, v191, v163, v164
	v_add_co_u32 v164, vcc_lo, s12, v0
	v_add_co_ci_u32_e64 v165, null, s13, v1, vcc_lo
	v_add_co_u32 v166, vcc_lo, s14, v0
	v_add_co_ci_u32_e64 v167, null, s15, v1, vcc_lo
	v_lshlrev_b64 v[0:1], 2, v[4:5]
	v_mov_b32_e32 v5, v192
	v_add_co_u32 v2, vcc_lo, s12, v0
	buffer_store_dword v2, off, s[36:39], 0 ; 4-byte Folded Spill
	v_add_co_ci_u32_e64 v2, null, s13, v1, vcc_lo
	v_add_co_u32 v0, vcc_lo, s14, v0
	buffer_store_dword v2, off, s[36:39], 0 offset:4 ; 4-byte Folded Spill
	buffer_store_dword v0, off, s[36:39], 0 offset:8 ; 4-byte Folded Spill
	v_add_co_ci_u32_e64 v0, null, s15, v1, vcc_lo
	buffer_store_dword v0, off, s[36:39], 0 offset:12 ; 4-byte Folded Spill
	v_lshlrev_b64 v[0:1], 2, v[6:7]
	v_add_co_u32 v2, vcc_lo, s12, v0
	buffer_store_dword v2, off, s[36:39], 0 offset:16 ; 4-byte Folded Spill
	v_add_co_ci_u32_e64 v2, null, s13, v1, vcc_lo
	v_add_co_u32 v0, vcc_lo, s14, v0
	buffer_store_dword v2, off, s[36:39], 0 offset:20 ; 4-byte Folded Spill
	buffer_store_dword v0, off, s[36:39], 0 offset:24 ; 4-byte Folded Spill
	v_add_co_ci_u32_e64 v0, null, s15, v1, vcc_lo
	buffer_store_dword v0, off, s[36:39], 0 offset:28 ; 4-byte Folded Spill
	v_lshlrev_b64 v[0:1], 2, v[8:9]
	v_add_co_u32 v2, vcc_lo, s12, v0
	buffer_store_dword v2, off, s[36:39], 0 offset:32 ; 4-byte Folded Spill
	;; [unrolled: 9-line block ×13, first 2 shown]
	v_add_co_ci_u32_e64 v2, null, s13, v1, vcc_lo
	v_add_co_u32 v0, vcc_lo, s14, v0
	buffer_store_dword v2, off, s[36:39], 0 offset:212 ; 4-byte Folded Spill
	buffer_store_dword v0, off, s[36:39], 0 offset:216 ; 4-byte Folded Spill
	v_add_co_ci_u32_e64 v0, null, s15, v1, vcc_lo
	buffer_store_dword v0, off, s[36:39], 0 offset:220 ; 4-byte Folded Spill
	v_lshlrev_b64 v[0:1], 2, v[32:33]
	v_add_co_u32 v2, vcc_lo, s12, v0
	v_add_co_ci_u32_e64 v225, null, s13, v1, vcc_lo
	v_add_co_u32 v226, vcc_lo, s14, v0
	v_add_co_ci_u32_e64 v227, null, s15, v1, vcc_lo
	v_lshlrev_b64 v[0:1], 2, v[159:160]
	buffer_store_dword v2, off, s[36:39], 0 offset:224 ; 4-byte Folded Spill
	v_add_co_u32 v228, vcc_lo, s12, v0
	v_add_co_ci_u32_e64 v229, null, s13, v1, vcc_lo
	v_add_co_u32 v230, vcc_lo, s14, v0
	v_add_co_ci_u32_e64 v231, null, s15, v1, vcc_lo
	v_lshlrev_b64 v[0:1], 2, v[161:162]
	v_add_co_u32 v232, vcc_lo, s12, v0
	v_add_co_ci_u32_e64 v233, null, s13, v1, vcc_lo
	v_add_co_u32 v234, vcc_lo, s14, v0
	v_add_co_ci_u32_e64 v235, null, s15, v1, vcc_lo
	v_lshlrev_b64 v[0:1], 2, v[168:169]
	;; [unrolled: 5-line block ×15, first 2 shown]
	v_add_co_u32 v197, vcc_lo, s12, v2
	v_add_co_ci_u32_e64 v198, null, s13, v3, vcc_lo
	v_add_co_u32 v199, vcc_lo, s14, v2
	v_mov_b32_e32 v2, 0
	v_add_co_ci_u32_e64 v200, null, s15, v3, vcc_lo
	v_add_nc_u32_e32 v3, s7, v224
	s_mul_i32 s7, s11, s1
	v_mov_b32_e32 v4, v2
	s_mul_hi_u32 s12, s10, s1
	v_mov_b32_e32 v201, v2
	s_add_i32 s13, s12, s7
	s_mul_i32 s12, s10, s1
	v_lshlrev_b64 v[159:160], 2, v[3:4]
	s_lshl_b64 s[12:13], s[12:13], 2
	s_mov_b64 s[14:15], 31
.LBB153_145:                            ; =>This Inner Loop Header: Depth=1
	s_add_u32 s24, s18, s14
	s_addc_u32 s25, 0, s15
	v_add_co_u32 v161, vcc_lo, s18, v5
	v_cmp_ge_i64_e64 s7, s[24:25], s[8:9]
	v_add_co_ci_u32_e64 v162, null, 0, v201, vcc_lo
	buffer_store_dword v5, off, s[36:39], 0 offset:228 ; 4-byte Folded Spill
                                        ; implicit-def: $vgpr202
	s_and_b32 vcc_lo, exec_lo, s7
	s_mov_b32 s7, -1
	s_cbranch_vccz .LBB153_213
; %bb.146:                              ;   in Loop: Header=BB153_145 Depth=1
	s_load_dword s7, s[20:21], 0xc
	v_mov_b32_e32 v202, 0
	v_mov_b32_e32 v204, 0
	s_waitcnt lgkmcnt(0)
	s_and_b32 s7, s7, 0xffff
	v_mad_u32_u24 v3, v223, s7, v224
	s_mov_b32 s7, exec_lo
	v_and_b32_e32 v3, 31, v3
	v_add_co_u32 v3, vcc_lo, v161, v3
	v_add_co_ci_u32_e64 v4, null, 0, v162, vcc_lo
	v_cmpx_gt_i64_e64 s[8:9], v[3:4]
	s_cbranch_execz .LBB153_148
; %bb.147:                              ;   in Loop: Header=BB153_145 Depth=1
	v_lshlrev_b64 v[3:4], 2, v[3:4]
	v_add_co_u32 v3, vcc_lo, s16, v3
	v_add_co_ci_u32_e64 v4, null, s17, v4, vcc_lo
	global_load_dword v204, v[3:4], off
.LBB153_148:                            ;   in Loop: Header=BB153_145 Depth=1
	s_or_b32 exec_lo, exec_lo, s7
	v_mov_b32_e32 v33, v2
	v_mov_b32_e32 v3, v2
	;; [unrolled: 1-line block ×63, first 2 shown]
	s_mov_b32 s7, exec_lo
	v_cmpx_gt_i64_e64 s[8:9], v[161:162]
	s_cbranch_execz .LBB153_150
; %bb.149:                              ;   in Loop: Header=BB153_145 Depth=1
	v_add_co_u32 v3, vcc_lo, v166, v159
	v_add_co_ci_u32_e64 v4, null, v167, v160, vcc_lo
	v_add_co_u32 v5, vcc_lo, v164, v159
	v_add_co_ci_u32_e64 v6, null, v165, v160, vcc_lo
	global_load_dword v202, v[3:4], off
	global_load_dword v3, v[5:6], off
	v_mov_b32_e32 v4, v2
	v_mov_b32_e32 v5, v2
	;; [unrolled: 1-line block ×31, first 2 shown]
.LBB153_150:                            ;   in Loop: Header=BB153_145 Depth=1
	s_or_b32 exec_lo, exec_lo, s7
	v_add_co_u32 v205, vcc_lo, v161, 1
	v_add_co_ci_u32_e64 v206, null, 0, v162, vcc_lo
	v_cmp_gt_i64_e32 vcc_lo, s[8:9], v[205:206]
	v_mov_b32_e32 v205, 0
	buffer_store_dword v205, off, s[36:39], 0 offset:232 ; 4-byte Folded Spill
	v_mov_b32_e32 v205, 0
	buffer_store_dword v205, off, s[36:39], 0 offset:236 ; 4-byte Folded Spill
	s_and_saveexec_b32 s7, vcc_lo
	s_cbranch_execz .LBB153_152
; %bb.151:                              ;   in Loop: Header=BB153_145 Depth=1
	v_add_co_u32 v205, vcc_lo, v197, v159
	v_add_co_ci_u32_e64 v206, null, v198, v160, vcc_lo
	v_add_co_u32 v207, vcc_lo, v199, v159
	v_add_co_ci_u32_e64 v208, null, v200, v160, vcc_lo
	global_load_dword v4, v[205:206], off
	global_load_dword v205, v[207:208], off
	s_waitcnt vmcnt(0)
	buffer_store_dword v205, off, s[36:39], 0 offset:236 ; 4-byte Folded Spill
.LBB153_152:                            ;   in Loop: Header=BB153_145 Depth=1
	s_or_b32 exec_lo, exec_lo, s7
	v_add_co_u32 v205, vcc_lo, v161, 2
	v_add_co_ci_u32_e64 v206, null, 0, v162, vcc_lo
	s_mov_b32 s7, exec_lo
	v_cmpx_gt_i64_e64 s[8:9], v[205:206]
	s_cbranch_execz .LBB153_154
; %bb.153:                              ;   in Loop: Header=BB153_145 Depth=1
	v_add_co_u32 v205, vcc_lo, v193, v159
	v_add_co_ci_u32_e64 v206, null, v194, v160, vcc_lo
	v_add_co_u32 v207, vcc_lo, v195, v159
	v_add_co_ci_u32_e64 v208, null, v196, v160, vcc_lo
	global_load_dword v5, v[205:206], off
	global_load_dword v205, v[207:208], off
	s_waitcnt vmcnt(0)
	buffer_store_dword v205, off, s[36:39], 0 offset:232 ; 4-byte Folded Spill
.LBB153_154:                            ;   in Loop: Header=BB153_145 Depth=1
	s_or_b32 exec_lo, exec_lo, s7
	v_add_co_u32 v205, vcc_lo, v161, 3
	v_add_co_ci_u32_e64 v206, null, 0, v162, vcc_lo
	v_cmp_gt_i64_e32 vcc_lo, s[8:9], v[205:206]
	v_mov_b32_e32 v205, 0
	buffer_store_dword v205, off, s[36:39], 0 offset:240 ; 4-byte Folded Spill
	v_mov_b32_e32 v205, 0
	buffer_store_dword v205, off, s[36:39], 0 offset:244 ; 4-byte Folded Spill
	s_and_saveexec_b32 s7, vcc_lo
	s_cbranch_execz .LBB153_156
; %bb.155:                              ;   in Loop: Header=BB153_145 Depth=1
	v_add_co_u32 v205, vcc_lo, v189, v159
	v_add_co_ci_u32_e64 v206, null, v190, v160, vcc_lo
	v_add_co_u32 v207, vcc_lo, v191, v159
	v_add_co_ci_u32_e64 v208, null, v192, v160, vcc_lo
	global_load_dword v6, v[205:206], off
	global_load_dword v205, v[207:208], off
	s_waitcnt vmcnt(0)
	buffer_store_dword v205, off, s[36:39], 0 offset:244 ; 4-byte Folded Spill
.LBB153_156:                            ;   in Loop: Header=BB153_145 Depth=1
	s_or_b32 exec_lo, exec_lo, s7
	v_add_co_u32 v205, vcc_lo, v161, 4
	v_add_co_ci_u32_e64 v206, null, 0, v162, vcc_lo
	s_mov_b32 s7, exec_lo
	v_cmpx_gt_i64_e64 s[8:9], v[205:206]
	s_cbranch_execz .LBB153_158
; %bb.157:                              ;   in Loop: Header=BB153_145 Depth=1
	v_add_co_u32 v205, vcc_lo, v185, v159
	v_add_co_ci_u32_e64 v206, null, v186, v160, vcc_lo
	v_add_co_u32 v207, vcc_lo, v187, v159
	v_add_co_ci_u32_e64 v208, null, v188, v160, vcc_lo
	global_load_dword v7, v[205:206], off
	global_load_dword v205, v[207:208], off
	s_waitcnt vmcnt(0)
	buffer_store_dword v205, off, s[36:39], 0 offset:240 ; 4-byte Folded Spill
.LBB153_158:                            ;   in Loop: Header=BB153_145 Depth=1
	;; [unrolled: 36-line block ×8, first 2 shown]
	s_or_b32 exec_lo, exec_lo, s7
	v_add_co_u32 v205, vcc_lo, v161, 17
	v_add_co_ci_u32_e64 v206, null, 0, v162, vcc_lo
	v_cmp_gt_i64_e32 vcc_lo, s[8:9], v[205:206]
	v_mov_b32_e32 v205, 0
	v_mov_b32_e32 v206, 0
	s_and_saveexec_b32 s7, vcc_lo
	s_cbranch_execz .LBB153_184
; %bb.183:                              ;   in Loop: Header=BB153_145 Depth=1
	buffer_load_dword v20, off, s[36:39], 0 offset:224 ; 4-byte Folded Reload
	s_waitcnt vmcnt(0)
	v_add_co_u32 v206, vcc_lo, v20, v159
	v_add_co_ci_u32_e64 v207, null, v225, v160, vcc_lo
	v_add_co_u32 v208, vcc_lo, v226, v159
	v_add_co_ci_u32_e64 v209, null, v227, v160, vcc_lo
	global_load_dword v20, v[206:207], off
	global_load_dword v206, v[208:209], off
.LBB153_184:                            ;   in Loop: Header=BB153_145 Depth=1
	s_or_b32 exec_lo, exec_lo, s7
	v_add_co_u32 v207, vcc_lo, v161, 18
	v_add_co_ci_u32_e64 v208, null, 0, v162, vcc_lo
	s_mov_b32 s7, exec_lo
	v_cmpx_gt_i64_e64 s[8:9], v[207:208]
	s_cbranch_execz .LBB153_186
; %bb.185:                              ;   in Loop: Header=BB153_145 Depth=1
	buffer_load_dword v21, off, s[36:39], 0 offset:208 ; 4-byte Folded Reload
	s_waitcnt vmcnt(0)
	v_add_co_u32 v207, vcc_lo, v21, v159
	buffer_load_dword v21, off, s[36:39], 0 offset:212 ; 4-byte Folded Reload
	s_waitcnt vmcnt(0)
	v_add_co_ci_u32_e64 v208, null, v21, v160, vcc_lo
	buffer_load_dword v21, off, s[36:39], 0 offset:216 ; 4-byte Folded Reload
	s_waitcnt vmcnt(0)
	v_add_co_u32 v209, vcc_lo, v21, v159
	buffer_load_dword v21, off, s[36:39], 0 offset:220 ; 4-byte Folded Reload
	s_waitcnt vmcnt(0)
	v_add_co_ci_u32_e64 v210, null, v21, v160, vcc_lo
	global_load_dword v21, v[207:208], off
	global_load_dword v205, v[209:210], off
.LBB153_186:                            ;   in Loop: Header=BB153_145 Depth=1
	s_or_b32 exec_lo, exec_lo, s7
	v_add_co_u32 v207, vcc_lo, v161, 19
	v_add_co_ci_u32_e64 v208, null, 0, v162, vcc_lo
	v_cmp_gt_i64_e32 vcc_lo, s[8:9], v[207:208]
	v_mov_b32_e32 v207, 0
	v_mov_b32_e32 v208, 0
	s_and_saveexec_b32 s7, vcc_lo
	s_cbranch_execz .LBB153_188
; %bb.187:                              ;   in Loop: Header=BB153_145 Depth=1
	buffer_load_dword v22, off, s[36:39], 0 offset:192 ; 4-byte Folded Reload
	s_waitcnt vmcnt(0)
	v_add_co_u32 v208, vcc_lo, v22, v159
	buffer_load_dword v22, off, s[36:39], 0 offset:196 ; 4-byte Folded Reload
	s_waitcnt vmcnt(0)
	v_add_co_ci_u32_e64 v209, null, v22, v160, vcc_lo
	buffer_load_dword v22, off, s[36:39], 0 offset:200 ; 4-byte Folded Reload
	s_waitcnt vmcnt(0)
	v_add_co_u32 v210, vcc_lo, v22, v159
	buffer_load_dword v22, off, s[36:39], 0 offset:204 ; 4-byte Folded Reload
	s_waitcnt vmcnt(0)
	v_add_co_ci_u32_e64 v211, null, v22, v160, vcc_lo
	global_load_dword v22, v[208:209], off
	global_load_dword v208, v[210:211], off
.LBB153_188:                            ;   in Loop: Header=BB153_145 Depth=1
	s_or_b32 exec_lo, exec_lo, s7
	v_add_co_u32 v209, vcc_lo, v161, 20
	v_add_co_ci_u32_e64 v210, null, 0, v162, vcc_lo
	s_mov_b32 s7, exec_lo
	v_cmpx_gt_i64_e64 s[8:9], v[209:210]
	s_cbranch_execz .LBB153_190
; %bb.189:                              ;   in Loop: Header=BB153_145 Depth=1
	buffer_load_dword v23, off, s[36:39], 0 offset:176 ; 4-byte Folded Reload
	s_waitcnt vmcnt(0)
	v_add_co_u32 v209, vcc_lo, v23, v159
	buffer_load_dword v23, off, s[36:39], 0 offset:180 ; 4-byte Folded Reload
	s_waitcnt vmcnt(0)
	v_add_co_ci_u32_e64 v210, null, v23, v160, vcc_lo
	buffer_load_dword v23, off, s[36:39], 0 offset:184 ; 4-byte Folded Reload
	s_waitcnt vmcnt(0)
	v_add_co_u32 v211, vcc_lo, v23, v159
	buffer_load_dword v23, off, s[36:39], 0 offset:188 ; 4-byte Folded Reload
	s_waitcnt vmcnt(0)
	v_add_co_ci_u32_e64 v212, null, v23, v160, vcc_lo
	global_load_dword v23, v[209:210], off
	global_load_dword v207, v[211:212], off
.LBB153_190:                            ;   in Loop: Header=BB153_145 Depth=1
	s_or_b32 exec_lo, exec_lo, s7
	v_add_co_u32 v209, vcc_lo, v161, 21
	v_add_co_ci_u32_e64 v210, null, 0, v162, vcc_lo
	v_cmp_gt_i64_e32 vcc_lo, s[8:9], v[209:210]
	v_mov_b32_e32 v209, 0
	v_mov_b32_e32 v210, 0
	s_and_saveexec_b32 s7, vcc_lo
	s_cbranch_execz .LBB153_192
; %bb.191:                              ;   in Loop: Header=BB153_145 Depth=1
	buffer_load_dword v24, off, s[36:39], 0 offset:160 ; 4-byte Folded Reload
	s_waitcnt vmcnt(0)
	v_add_co_u32 v210, vcc_lo, v24, v159
	buffer_load_dword v24, off, s[36:39], 0 offset:164 ; 4-byte Folded Reload
	s_waitcnt vmcnt(0)
	v_add_co_ci_u32_e64 v211, null, v24, v160, vcc_lo
	buffer_load_dword v24, off, s[36:39], 0 offset:168 ; 4-byte Folded Reload
	s_waitcnt vmcnt(0)
	v_add_co_u32 v212, vcc_lo, v24, v159
	buffer_load_dword v24, off, s[36:39], 0 offset:172 ; 4-byte Folded Reload
	s_waitcnt vmcnt(0)
	v_add_co_ci_u32_e64 v213, null, v24, v160, vcc_lo
	global_load_dword v24, v[210:211], off
	global_load_dword v210, v[212:213], off
.LBB153_192:                            ;   in Loop: Header=BB153_145 Depth=1
	;; [unrolled: 46-line block ×6, first 2 shown]
	s_or_b32 exec_lo, exec_lo, s7
	v_add_co_u32 v219, vcc_lo, v161, 30
	v_add_co_ci_u32_e64 v220, null, 0, v162, vcc_lo
	s_mov_b32 s7, exec_lo
	v_cmpx_gt_i64_e64 s[8:9], v[219:220]
	s_cbranch_execz .LBB153_210
; %bb.209:                              ;   in Loop: Header=BB153_145 Depth=1
	buffer_load_dword v33, off, s[36:39], 0 offset:16 ; 4-byte Folded Reload
	s_waitcnt vmcnt(0)
	v_add_co_u32 v219, vcc_lo, v33, v159
	buffer_load_dword v33, off, s[36:39], 0 offset:20 ; 4-byte Folded Reload
	s_waitcnt vmcnt(0)
	v_add_co_ci_u32_e64 v220, null, v33, v160, vcc_lo
	buffer_load_dword v33, off, s[36:39], 0 offset:24 ; 4-byte Folded Reload
	s_waitcnt vmcnt(0)
	v_add_co_u32 v221, vcc_lo, v33, v159
	buffer_load_dword v33, off, s[36:39], 0 offset:28 ; 4-byte Folded Reload
	s_waitcnt vmcnt(0)
	v_add_co_ci_u32_e64 v222, null, v33, v160, vcc_lo
	global_load_dword v33, v[219:220], off
	global_load_dword v217, v[221:222], off
.LBB153_210:                            ;   in Loop: Header=BB153_145 Depth=1
	s_or_b32 exec_lo, exec_lo, s7
	v_add_co_u32 v219, vcc_lo, v161, 31
	v_add_co_ci_u32_e64 v220, null, 0, v162, vcc_lo
	v_cmp_gt_i64_e32 vcc_lo, s[8:9], v[219:220]
	v_mov_b32_e32 v219, 0
	s_and_saveexec_b32 s7, vcc_lo
	s_cbranch_execz .LBB153_212
; %bb.211:                              ;   in Loop: Header=BB153_145 Depth=1
	buffer_load_dword v34, off, s[36:39], 0 ; 4-byte Folded Reload
	s_waitcnt vmcnt(0)
	v_add_co_u32 v219, vcc_lo, v34, v159
	buffer_load_dword v34, off, s[36:39], 0 offset:4 ; 4-byte Folded Reload
	s_waitcnt vmcnt(0)
	v_add_co_ci_u32_e64 v220, null, v34, v160, vcc_lo
	buffer_load_dword v34, off, s[36:39], 0 offset:8 ; 4-byte Folded Reload
	s_waitcnt vmcnt(0)
	v_add_co_u32 v221, vcc_lo, v34, v159
	buffer_load_dword v34, off, s[36:39], 0 offset:12 ; 4-byte Folded Reload
	s_waitcnt vmcnt(0)
	v_add_co_ci_u32_e64 v222, null, v34, v160, vcc_lo
	global_load_dword v34, v[219:220], off
	global_load_dword v219, v[221:222], off
.LBB153_212:                            ;   in Loop: Header=BB153_145 Depth=1
	s_or_b32 exec_lo, exec_lo, s7
	s_waitcnt vmcnt(0)
	v_mul_f32_e32 v3, v202, v3
	ds_bpermute_b32 v202, v2, v204
	s_mov_b32 s7, 0
	s_waitcnt lgkmcnt(0)
	v_fma_f32 v202, v3, v202, v203
	buffer_load_dword v3, off, s[36:39], 0 offset:236 ; 4-byte Folded Reload
	s_waitcnt vmcnt(0)
	v_mul_f32_e32 v3, v3, v4
	ds_bpermute_b32 v4, v2, v204 offset:4
	s_waitcnt lgkmcnt(0)
	v_fmac_f32_e32 v202, v3, v4
	buffer_load_dword v3, off, s[36:39], 0 offset:232 ; 4-byte Folded Reload
	ds_bpermute_b32 v4, v2, v204 offset:8
	s_waitcnt vmcnt(0)
	v_mul_f32_e32 v3, v3, v5
	v_mul_f32_e32 v5, v214, v28
	s_waitcnt lgkmcnt(0)
	v_fmac_f32_e32 v202, v3, v4
	buffer_load_dword v3, off, s[36:39], 0 offset:244 ; 4-byte Folded Reload
	ds_bpermute_b32 v4, v2, v204 offset:12
	s_waitcnt vmcnt(0)
	v_mul_f32_e32 v3, v3, v6
	ds_bpermute_b32 v6, v2, v204 offset:112
	s_waitcnt lgkmcnt(1)
	v_fmac_f32_e32 v202, v3, v4
	buffer_load_dword v3, off, s[36:39], 0 offset:240 ; 4-byte Folded Reload
	ds_bpermute_b32 v4, v2, v204 offset:16
	s_waitcnt vmcnt(0)
	v_mul_f32_e32 v3, v3, v7
	ds_bpermute_b32 v7, v2, v204 offset:120
	s_waitcnt lgkmcnt(1)
	v_fmac_f32_e32 v202, v3, v4
	buffer_load_dword v3, off, s[36:39], 0 offset:252 ; 4-byte Folded Reload
	ds_bpermute_b32 v4, v2, v204 offset:20
	s_waitcnt vmcnt(0)
	v_mul_f32_e32 v3, v3, v8
	v_mul_f32_e32 v8, v215, v31
	s_waitcnt lgkmcnt(0)
	v_fmac_f32_e32 v202, v3, v4
	buffer_load_dword v3, off, s[36:39], 0 offset:248 ; 4-byte Folded Reload
	ds_bpermute_b32 v4, v2, v204 offset:24
	s_waitcnt vmcnt(0)
	v_mul_f32_e32 v3, v3, v9
	s_waitcnt lgkmcnt(0)
	v_fmac_f32_e32 v202, v3, v4
	buffer_load_dword v3, off, s[36:39], 0 offset:260 ; 4-byte Folded Reload
	ds_bpermute_b32 v4, v2, v204 offset:28
	s_waitcnt vmcnt(0)
	;; [unrolled: 6-line block ×11, first 2 shown]
	v_mul_f32_e32 v3, v3, v19
	s_waitcnt lgkmcnt(0)
	v_fmac_f32_e32 v202, v3, v4
	ds_bpermute_b32 v4, v2, v204 offset:68
	v_mul_f32_e32 v3, v206, v20
	s_waitcnt lgkmcnt(0)
	v_fmac_f32_e32 v202, v3, v4
	ds_bpermute_b32 v4, v2, v204 offset:72
	;; [unrolled: 4-line block ×9, first 2 shown]
	ds_bpermute_b32 v4, v2, v204 offset:104
	s_waitcnt lgkmcnt(1)
	v_fmac_f32_e32 v202, v5, v3
	ds_bpermute_b32 v3, v2, v204 offset:108
	v_mul_f32_e32 v5, v213, v29
	s_waitcnt lgkmcnt(1)
	v_fmac_f32_e32 v202, v5, v4
	ds_bpermute_b32 v4, v2, v204 offset:116
	v_mul_f32_e32 v5, v216, v30
	;; [unrolled: 4-line block ×3, first 2 shown]
	v_fmac_f32_e32 v202, v8, v6
	v_mul_f32_e32 v6, v217, v33
	s_waitcnt lgkmcnt(1)
	v_fmac_f32_e32 v202, v5, v4
	v_mul_f32_e32 v4, v219, v34
	v_fmac_f32_e32 v202, v6, v7
	s_waitcnt lgkmcnt(0)
	v_fmac_f32_e32 v202, v4, v3
.LBB153_213:                            ;   in Loop: Header=BB153_145 Depth=1
	s_and_b32 vcc_lo, exec_lo, s7
	s_cbranch_vccz .LBB153_217
; %bb.214:                              ;   in Loop: Header=BB153_145 Depth=1
	s_load_dword s7, s[20:21], 0x0
	v_mov_b32_e32 v5, 0
	s_waitcnt lgkmcnt(0)
	s_cmp_lt_u32 s6, s7
	s_cselect_b32 s7, 12, 18
	s_add_u32 s24, s20, s7
	s_addc_u32 s25, s21, 0
	s_mov_b32 s7, exec_lo
	global_load_ushort v3, v2, s[24:25]
	s_waitcnt vmcnt(0)
	v_mad_u32_u24 v3, v223, v3, v224
	v_and_b32_e32 v3, 31, v3
	v_add_co_u32 v3, vcc_lo, v161, v3
	v_add_co_ci_u32_e64 v4, null, 0, v162, vcc_lo
	v_cmpx_gt_i64_e64 s[8:9], v[3:4]
	s_cbranch_execz .LBB153_216
; %bb.215:                              ;   in Loop: Header=BB153_145 Depth=1
	v_lshlrev_b64 v[3:4], 2, v[3:4]
	v_add_co_u32 v3, vcc_lo, s16, v3
	v_add_co_ci_u32_e64 v4, null, s17, v4, vcc_lo
	global_load_dword v5, v[3:4], off
.LBB153_216:                            ;   in Loop: Header=BB153_145 Depth=1
	s_or_b32 exec_lo, exec_lo, s7
	v_add_co_u32 v3, vcc_lo, v164, v159
	v_add_co_ci_u32_e64 v4, null, v165, v160, vcc_lo
	global_load_dword v6, v[3:4], off
	v_add_co_u32 v3, vcc_lo, v166, v159
	v_add_co_ci_u32_e64 v4, null, v167, v160, vcc_lo
	global_load_dword v3, v[3:4], off
	s_waitcnt vmcnt(2)
	ds_bpermute_b32 v4, v2, v5
	s_waitcnt vmcnt(0)
	v_mul_f32_e32 v3, v6, v3
	s_waitcnt lgkmcnt(0)
	v_fmac_f32_e32 v203, v3, v4
	v_add_co_u32 v3, vcc_lo, v35, v159
	v_add_co_ci_u32_e64 v4, null, v36, v160, vcc_lo
	global_load_dword v6, v[3:4], off
	v_add_co_u32 v3, vcc_lo, v49, v159
	v_add_co_ci_u32_e64 v4, null, v50, v160, vcc_lo
	global_load_dword v3, v[3:4], off
	ds_bpermute_b32 v4, v2, v5 offset:4
	s_waitcnt vmcnt(0)
	v_mul_f32_e32 v3, v6, v3
	s_waitcnt lgkmcnt(0)
	v_fmac_f32_e32 v203, v3, v4
	v_add_co_u32 v3, vcc_lo, v37, v159
	v_add_co_ci_u32_e64 v4, null, v38, v160, vcc_lo
	global_load_dword v6, v[3:4], off
	v_add_co_u32 v3, vcc_lo, v53, v159
	v_add_co_ci_u32_e64 v4, null, v54, v160, vcc_lo
	global_load_dword v3, v[3:4], off
	ds_bpermute_b32 v4, v2, v5 offset:8
	;; [unrolled: 11-line block ×31, first 2 shown]
	s_waitcnt vmcnt(0)
	v_mul_f32_e32 v3, v6, v3
	s_waitcnt lgkmcnt(0)
	v_fmac_f32_e32 v203, v3, v4
	v_mov_b32_e32 v202, v203
.LBB153_217:                            ;   in Loop: Header=BB153_145 Depth=1
	s_clause 0x1
	buffer_load_dword v5, off, s[36:39], 0 offset:228
	buffer_load_dword v3, off, s[36:39], 0
	v_add_co_u32 v164, vcc_lo, v164, s12
	v_add_co_ci_u32_e64 v165, null, s13, v165, vcc_lo
	v_add_co_u32 v166, vcc_lo, v166, s12
	v_add_co_ci_u32_e64 v167, null, s13, v167, vcc_lo
	;; [unrolled: 2-line block ×64, first 2 shown]
	s_add_u32 s22, s22, s1
	s_addc_u32 s23, s23, 0
	s_add_u32 s14, s14, s1
	v_cmp_ge_i64_e64 s7, s[22:23], s[8:9]
	s_addc_u32 s15, 0, s15
	s_waitcnt vmcnt(1)
	v_add_co_u32 v5, vcc_lo, v5, s1
	v_add_co_ci_u32_e64 v201, null, 0, v201, vcc_lo
	s_waitcnt vmcnt(0)
	v_add_co_u32 v3, vcc_lo, v3, s12
	buffer_store_dword v3, off, s[36:39], 0 ; 4-byte Folded Spill
	buffer_load_dword v3, off, s[36:39], 0 offset:4 ; 4-byte Folded Reload
	s_waitcnt vmcnt(0)
	v_add_co_ci_u32_e64 v3, null, s13, v3, vcc_lo
	buffer_store_dword v3, off, s[36:39], 0 offset:4 ; 4-byte Folded Spill
	buffer_load_dword v3, off, s[36:39], 0 offset:8 ; 4-byte Folded Reload
	s_waitcnt vmcnt(0)
	v_add_co_u32 v3, vcc_lo, v3, s12
	buffer_store_dword v3, off, s[36:39], 0 offset:8 ; 4-byte Folded Spill
	buffer_load_dword v3, off, s[36:39], 0 offset:12 ; 4-byte Folded Reload
	s_waitcnt vmcnt(0)
	v_add_co_ci_u32_e64 v3, null, s13, v3, vcc_lo
	buffer_store_dword v3, off, s[36:39], 0 offset:12 ; 4-byte Folded Spill
	buffer_load_dword v3, off, s[36:39], 0 offset:16 ; 4-byte Folded Reload
	s_waitcnt vmcnt(0)
	v_add_co_u32 v3, vcc_lo, v3, s12
	buffer_store_dword v3, off, s[36:39], 0 offset:16 ; 4-byte Folded Spill
	;; [unrolled: 8-line block ×27, first 2 shown]
	buffer_load_dword v3, off, s[36:39], 0 offset:220 ; 4-byte Folded Reload
	s_waitcnt vmcnt(0)
	v_add_co_ci_u32_e64 v3, null, s13, v3, vcc_lo
	buffer_store_dword v3, off, s[36:39], 0 offset:220 ; 4-byte Folded Spill
	buffer_load_dword v3, off, s[36:39], 0 offset:224 ; 4-byte Folded Reload
	s_waitcnt vmcnt(0)
	v_add_co_u32 v3, vcc_lo, v3, s12
	v_add_co_ci_u32_e64 v225, null, s13, v225, vcc_lo
	v_add_co_u32 v226, vcc_lo, v226, s12
	v_add_co_ci_u32_e64 v227, null, s13, v227, vcc_lo
	;; [unrolled: 2-line block ×34, first 2 shown]
	s_and_b32 vcc_lo, exec_lo, s7
	buffer_store_dword v3, off, s[36:39], 0 offset:224 ; 4-byte Folded Spill
	s_cbranch_vccnz .LBB153_219
; %bb.218:                              ;   in Loop: Header=BB153_145 Depth=1
	v_mov_b32_e32 v203, v202
	s_branch .LBB153_145
.LBB153_219:
	s_mov_b32 s7, 0
	s_lshl_b64 s[6:7], s[6:7], 5
	s_waitcnt lgkmcnt(0)
	s_cmp_lg_u64 s[2:3], 0
	v_or_b32_e32 v3, s6, v224
	v_mov_b32_e32 v4, s7
	s_cselect_b32 s1, -1, 0
	v_cmp_gt_i64_e32 vcc_lo, s[10:11], v[3:4]
	s_and_b32 s1, vcc_lo, s1
	s_and_saveexec_b32 s6, s1
	s_cbranch_execz .LBB153_221
; %bb.220:
	s_load_dword s1, s[4:5], 0x4c
	v_mov_b32_e32 v224, 0
	s_waitcnt lgkmcnt(0)
	s_lshr_b32 s1, s1, 16
	v_mad_u64_u32 v[0:1], null, s1, s0, v[223:224]
	v_mul_lo_u32 v2, v1, s10
	v_mul_lo_u32 v5, v0, s11
	v_mad_u64_u32 v[0:1], null, v0, s10, 0
	v_add3_u32 v1, v1, v5, v2
	v_lshlrev_b64 v[2:3], 2, v[3:4]
	v_lshlrev_b64 v[0:1], 2, v[0:1]
	v_add_co_u32 v0, vcc_lo, s2, v0
	v_add_co_ci_u32_e64 v1, null, s3, v1, vcc_lo
	v_add_co_u32 v0, vcc_lo, v0, v2
	v_add_co_ci_u32_e64 v1, null, v1, v3, vcc_lo
	global_store_dword v[0:1], v202, off
.LBB153_221:
	s_endpgm
	.section	.rodata,"a",@progbits
	.p2align	6, 0x0
	.amdhsa_kernel _ZN2at6native12_GLOBAL__N_135GammaBetaBackwardCUDAKernelTemplateIffLj32ELj1ELj32ELb1ELb0ELb1EEEvllPKT_S5_PKT0_S8_PS3_S9_
		.amdhsa_group_segment_fixed_size 0
		.amdhsa_private_segment_fixed_size 300
		.amdhsa_kernarg_size 320
		.amdhsa_user_sgpr_count 6
		.amdhsa_user_sgpr_private_segment_buffer 1
		.amdhsa_user_sgpr_dispatch_ptr 0
		.amdhsa_user_sgpr_queue_ptr 0
		.amdhsa_user_sgpr_kernarg_segment_ptr 1
		.amdhsa_user_sgpr_dispatch_id 0
		.amdhsa_user_sgpr_flat_scratch_init 0
		.amdhsa_user_sgpr_private_segment_size 0
		.amdhsa_wavefront_size32 1
		.amdhsa_uses_dynamic_stack 0
		.amdhsa_system_sgpr_private_segment_wavefront_offset 1
		.amdhsa_system_sgpr_workgroup_id_x 1
		.amdhsa_system_sgpr_workgroup_id_y 1
		.amdhsa_system_sgpr_workgroup_id_z 0
		.amdhsa_system_sgpr_workgroup_info 0
		.amdhsa_system_vgpr_workitem_id 1
		.amdhsa_next_free_vgpr 256
		.amdhsa_next_free_sgpr 40
		.amdhsa_reserve_vcc 1
		.amdhsa_reserve_flat_scratch 0
		.amdhsa_float_round_mode_32 0
		.amdhsa_float_round_mode_16_64 0
		.amdhsa_float_denorm_mode_32 3
		.amdhsa_float_denorm_mode_16_64 3
		.amdhsa_dx10_clamp 1
		.amdhsa_ieee_mode 1
		.amdhsa_fp16_overflow 0
		.amdhsa_workgroup_processor_mode 1
		.amdhsa_memory_ordered 1
		.amdhsa_forward_progress 1
		.amdhsa_shared_vgpr_count 0
		.amdhsa_exception_fp_ieee_invalid_op 0
		.amdhsa_exception_fp_denorm_src 0
		.amdhsa_exception_fp_ieee_div_zero 0
		.amdhsa_exception_fp_ieee_overflow 0
		.amdhsa_exception_fp_ieee_underflow 0
		.amdhsa_exception_fp_ieee_inexact 0
		.amdhsa_exception_int_div_zero 0
	.end_amdhsa_kernel
	.section	.text._ZN2at6native12_GLOBAL__N_135GammaBetaBackwardCUDAKernelTemplateIffLj32ELj1ELj32ELb1ELb0ELb1EEEvllPKT_S5_PKT0_S8_PS3_S9_,"axG",@progbits,_ZN2at6native12_GLOBAL__N_135GammaBetaBackwardCUDAKernelTemplateIffLj32ELj1ELj32ELb1ELb0ELb1EEEvllPKT_S5_PKT0_S8_PS3_S9_,comdat
.Lfunc_end153:
	.size	_ZN2at6native12_GLOBAL__N_135GammaBetaBackwardCUDAKernelTemplateIffLj32ELj1ELj32ELb1ELb0ELb1EEEvllPKT_S5_PKT0_S8_PS3_S9_, .Lfunc_end153-_ZN2at6native12_GLOBAL__N_135GammaBetaBackwardCUDAKernelTemplateIffLj32ELj1ELj32ELb1ELb0ELb1EEEvllPKT_S5_PKT0_S8_PS3_S9_
                                        ; -- End function
	.set _ZN2at6native12_GLOBAL__N_135GammaBetaBackwardCUDAKernelTemplateIffLj32ELj1ELj32ELb1ELb0ELb1EEEvllPKT_S5_PKT0_S8_PS3_S9_.num_vgpr, 256
	.set _ZN2at6native12_GLOBAL__N_135GammaBetaBackwardCUDAKernelTemplateIffLj32ELj1ELj32ELb1ELb0ELb1EEEvllPKT_S5_PKT0_S8_PS3_S9_.num_agpr, 0
	.set _ZN2at6native12_GLOBAL__N_135GammaBetaBackwardCUDAKernelTemplateIffLj32ELj1ELj32ELb1ELb0ELb1EEEvllPKT_S5_PKT0_S8_PS3_S9_.numbered_sgpr, 40
	.set _ZN2at6native12_GLOBAL__N_135GammaBetaBackwardCUDAKernelTemplateIffLj32ELj1ELj32ELb1ELb0ELb1EEEvllPKT_S5_PKT0_S8_PS3_S9_.num_named_barrier, 0
	.set _ZN2at6native12_GLOBAL__N_135GammaBetaBackwardCUDAKernelTemplateIffLj32ELj1ELj32ELb1ELb0ELb1EEEvllPKT_S5_PKT0_S8_PS3_S9_.private_seg_size, 300
	.set _ZN2at6native12_GLOBAL__N_135GammaBetaBackwardCUDAKernelTemplateIffLj32ELj1ELj32ELb1ELb0ELb1EEEvllPKT_S5_PKT0_S8_PS3_S9_.uses_vcc, 1
	.set _ZN2at6native12_GLOBAL__N_135GammaBetaBackwardCUDAKernelTemplateIffLj32ELj1ELj32ELb1ELb0ELb1EEEvllPKT_S5_PKT0_S8_PS3_S9_.uses_flat_scratch, 0
	.set _ZN2at6native12_GLOBAL__N_135GammaBetaBackwardCUDAKernelTemplateIffLj32ELj1ELj32ELb1ELb0ELb1EEEvllPKT_S5_PKT0_S8_PS3_S9_.has_dyn_sized_stack, 0
	.set _ZN2at6native12_GLOBAL__N_135GammaBetaBackwardCUDAKernelTemplateIffLj32ELj1ELj32ELb1ELb0ELb1EEEvllPKT_S5_PKT0_S8_PS3_S9_.has_recursion, 0
	.set _ZN2at6native12_GLOBAL__N_135GammaBetaBackwardCUDAKernelTemplateIffLj32ELj1ELj32ELb1ELb0ELb1EEEvllPKT_S5_PKT0_S8_PS3_S9_.has_indirect_call, 0
	.section	.AMDGPU.csdata,"",@progbits
; Kernel info:
; codeLenInByte = 27652
; TotalNumSgprs: 42
; NumVgprs: 256
; ScratchSize: 300
; MemoryBound: 0
; FloatMode: 240
; IeeeMode: 1
; LDSByteSize: 0 bytes/workgroup (compile time only)
; SGPRBlocks: 0
; VGPRBlocks: 31
; NumSGPRsForWavesPerEU: 42
; NumVGPRsForWavesPerEU: 256
; Occupancy: 4
; WaveLimiterHint : 0
; COMPUTE_PGM_RSRC2:SCRATCH_EN: 1
; COMPUTE_PGM_RSRC2:USER_SGPR: 6
; COMPUTE_PGM_RSRC2:TRAP_HANDLER: 0
; COMPUTE_PGM_RSRC2:TGID_X_EN: 1
; COMPUTE_PGM_RSRC2:TGID_Y_EN: 1
; COMPUTE_PGM_RSRC2:TGID_Z_EN: 0
; COMPUTE_PGM_RSRC2:TIDIG_COMP_CNT: 1
	.section	.text._ZN2at6native12_GLOBAL__N_135GammaBetaBackwardCUDAKernelTemplateIffLj32ELj1ELj8ELb1ELb1ELb1EEEvllPKT_S5_PKT0_S8_PS3_S9_,"axG",@progbits,_ZN2at6native12_GLOBAL__N_135GammaBetaBackwardCUDAKernelTemplateIffLj32ELj1ELj8ELb1ELb1ELb1EEEvllPKT_S5_PKT0_S8_PS3_S9_,comdat
	.globl	_ZN2at6native12_GLOBAL__N_135GammaBetaBackwardCUDAKernelTemplateIffLj32ELj1ELj8ELb1ELb1ELb1EEEvllPKT_S5_PKT0_S8_PS3_S9_ ; -- Begin function _ZN2at6native12_GLOBAL__N_135GammaBetaBackwardCUDAKernelTemplateIffLj32ELj1ELj8ELb1ELb1ELb1EEEvllPKT_S5_PKT0_S8_PS3_S9_
	.p2align	8
	.type	_ZN2at6native12_GLOBAL__N_135GammaBetaBackwardCUDAKernelTemplateIffLj32ELj1ELj8ELb1ELb1ELb1EEEvllPKT_S5_PKT0_S8_PS3_S9_,@function
_ZN2at6native12_GLOBAL__N_135GammaBetaBackwardCUDAKernelTemplateIffLj32ELj1ELj8ELb1ELb1ELb1EEEvllPKT_S5_PKT0_S8_PS3_S9_: ; @_ZN2at6native12_GLOBAL__N_135GammaBetaBackwardCUDAKernelTemplateIffLj32ELj1ELj8ELb1ELb1ELb1EEEvllPKT_S5_PKT0_S8_PS3_S9_
; %bb.0:
	s_clause 0x1
	s_load_dwordx4 s[8:11], s[4:5], 0x0
	s_load_dwordx2 s[2:3], s[4:5], 0x30
	s_lshl_b32 s16, s7, 3
	s_mov_b32 s17, 0
	v_mov_b32_e32 v13, 0
	s_waitcnt lgkmcnt(0)
	v_cmp_le_i64_e64 s0, s[8:9], s[16:17]
	s_and_b32 vcc_lo, exec_lo, s0
	s_cbranch_vccnz .LBB154_7
; %bb.1:
	s_clause 0x3
	s_load_dword s0, s[4:5], 0x4c
	s_load_dword s1, s[4:5], 0x44
	s_load_dwordx4 s[12:15], s[4:5], 0x10
	s_load_dwordx2 s[20:21], s[4:5], 0x28
	v_lshlrev_b32_e32 v4, 3, v1
	v_mov_b32_e32 v3, 0
	v_lshl_or_b32 v2, s6, 5, v0
	v_mov_b32_e32 v8, 8
	v_mov_b32_e32 v9, 4
	v_add_co_u32 v4, s18, v4, s16
	v_add_co_ci_u32_e64 v5, null, 0, 0, s18
	v_lshlrev_b64 v[16:17], 2, v[2:3]
	v_mul_lo_u32 v13, s11, v4
	v_mov_b32_e32 v10, 12
	v_mul_lo_u32 v18, s10, v5
	v_mov_b32_e32 v11, 16
	v_mov_b32_e32 v12, 20
	;; [unrolled: 1-line block ×3, first 2 shown]
	s_waitcnt lgkmcnt(0)
	s_and_b32 s0, s0, 0xffff
	s_lshl_b32 s18, s1, 3
	v_mad_u32_u24 v6, v1, s0, v0
	s_mul_i32 s1, s11, s18
	s_mul_hi_u32 s22, s10, s18
	v_mov_b32_e32 v15, 28
	s_mov_b32 s19, s17
	v_and_b32_e32 v22, 31, v6
	v_mad_u64_u32 v[6:7], null, s10, v4, 0
	s_add_i32 s23, s22, s1
	s_mul_i32 s22, s10, s18
	v_add_co_u32 v4, vcc_lo, v4, v22
	v_add_co_ci_u32_e64 v5, null, 0, v5, vcc_lo
	v_add3_u32 v7, v7, v18, v13
	v_cmp_gt_u32_e64 s0, 8, v22
	v_mov_b32_e32 v13, 0
	v_lshlrev_b64 v[18:19], 2, v[4:5]
	s_lshl_b64 s[22:23], s[22:23], 2
	v_lshlrev_b64 v[20:21], 2, v[6:7]
	s_lshl_b64 s[24:25], s[10:11], 2
	v_add_co_u32 v6, vcc_lo, s20, v18
	v_add_co_ci_u32_e64 v7, null, s21, v19, vcc_lo
	v_add_co_u32 v2, vcc_lo, v20, v16
	v_add_co_ci_u32_e64 v16, null, v21, v17, vcc_lo
	s_lshl_b64 s[20:21], s[18:19], 2
	s_branch .LBB154_4
.LBB154_2:                              ;   in Loop: Header=BB154_4 Depth=1
	s_or_b32 exec_lo, exec_lo, s19
.LBB154_3:                              ;   in Loop: Header=BB154_4 Depth=1
	s_or_b32 exec_lo, exec_lo, s1
	v_add_co_u32 v18, vcc_lo, s12, v2
	v_add_co_ci_u32_e64 v19, null, s13, v16, vcc_lo
	v_add_co_u32 v20, vcc_lo, s14, v2
	v_add_co_ci_u32_e64 v21, null, s15, v16, vcc_lo
	;; [unrolled: 2-line block ×5, first 2 shown]
	global_load_dword v28, v[18:19], off
	global_load_dword v29, v[20:21], off
	;; [unrolled: 1-line block ×5, first 2 shown]
	v_add_co_u32 v18, vcc_lo, v24, s24
	v_add_co_ci_u32_e64 v19, null, s25, v25, vcc_lo
	v_add_co_u32 v20, vcc_lo, v26, s24
	v_add_co_ci_u32_e64 v21, null, s25, v27, vcc_lo
	;; [unrolled: 2-line block ×5, first 2 shown]
	global_load_dword v33, v[18:19], off
	global_load_dword v34, v[20:21], off
	;; [unrolled: 1-line block ×5, first 2 shown]
	v_add_co_u32 v18, vcc_lo, v24, s24
	v_add_co_ci_u32_e64 v19, null, s25, v25, vcc_lo
	v_add_co_u32 v20, vcc_lo, v26, s24
	v_add_co_ci_u32_e64 v21, null, s25, v27, vcc_lo
	;; [unrolled: 2-line block ×4, first 2 shown]
	global_load_dword v26, v[18:19], off
	global_load_dword v27, v[20:21], off
	;; [unrolled: 1-line block ×4, first 2 shown]
	v_add_co_u32 v18, vcc_lo, v22, s24
	v_add_co_ci_u32_e64 v19, null, s25, v23, vcc_lo
	v_add_co_u32 v20, vcc_lo, v24, s24
	v_add_co_ci_u32_e64 v21, null, s25, v25, vcc_lo
	global_load_dword v18, v[18:19], off
	global_load_dword v19, v[20:21], off
	s_waitcnt vmcnt(16)
	ds_bpermute_b32 v20, v3, v17
	ds_bpermute_b32 v21, v9, v17
	;; [unrolled: 1-line block ×4, first 2 shown]
	s_add_u32 s16, s16, s18
	v_add_co_u32 v6, vcc_lo, v6, s20
	s_addc_u32 s17, s17, 0
	v_add_co_ci_u32_e64 v7, null, s21, v7, vcc_lo
	v_add_co_u32 v4, vcc_lo, v4, s18
	v_cmp_lt_i64_e64 s1, s[16:17], s[8:9]
	v_add_co_ci_u32_e64 v5, null, 0, v5, vcc_lo
	v_add_co_u32 v2, vcc_lo, v2, s22
	v_add_co_ci_u32_e64 v16, null, s23, v16, vcc_lo
	s_and_b32 vcc_lo, exec_lo, s1
	s_waitcnt vmcnt(14)
	v_mul_f32_e32 v23, v28, v29
	s_waitcnt lgkmcnt(3)
	v_fmac_f32_e32 v13, v23, v20
	s_waitcnt vmcnt(12)
	v_mul_f32_e32 v20, v30, v31
	ds_bpermute_b32 v23, v11, v17
	s_waitcnt lgkmcnt(3)
	v_fmac_f32_e32 v13, v20, v21
	ds_bpermute_b32 v21, v12, v17
	s_waitcnt vmcnt(10)
	v_mul_f32_e32 v20, v32, v33
	s_waitcnt lgkmcnt(3)
	v_fmac_f32_e32 v13, v20, v22
	s_waitcnt vmcnt(8)
	v_mul_f32_e32 v20, v34, v35
	ds_bpermute_b32 v22, v14, v17
	ds_bpermute_b32 v17, v15, v17
	s_waitcnt lgkmcnt(4)
	v_fmac_f32_e32 v13, v20, v24
	s_waitcnt vmcnt(6)
	v_mul_f32_e32 v20, v36, v37
	s_waitcnt lgkmcnt(3)
	v_fmac_f32_e32 v13, v20, v23
	s_waitcnt vmcnt(4)
	v_mul_f32_e32 v20, v26, v27
	s_waitcnt lgkmcnt(2)
	v_fmac_f32_e32 v13, v20, v21
	s_waitcnt vmcnt(2)
	v_mul_f32_e32 v20, v38, v39
	s_waitcnt lgkmcnt(1)
	v_fmac_f32_e32 v13, v20, v22
	s_waitcnt vmcnt(0)
	v_mul_f32_e32 v18, v18, v19
	s_waitcnt lgkmcnt(0)
	v_fmac_f32_e32 v13, v18, v17
	s_cbranch_vccz .LBB154_7
.LBB154_4:                              ; =>This Inner Loop Header: Depth=1
	v_mov_b32_e32 v17, 0
	s_and_saveexec_b32 s1, s0
	s_cbranch_execz .LBB154_3
; %bb.5:                                ;   in Loop: Header=BB154_4 Depth=1
	v_mov_b32_e32 v17, 0
	s_mov_b32 s19, exec_lo
	v_cmpx_gt_i64_e64 s[8:9], v[4:5]
	s_cbranch_execz .LBB154_2
; %bb.6:                                ;   in Loop: Header=BB154_4 Depth=1
	global_load_dword v17, v[6:7], off
	s_branch .LBB154_2
.LBB154_7:
	s_cmp_eq_u64 s[2:3], 0
	s_cbranch_scc1 .LBB154_9
; %bb.8:
	s_load_dword s0, s[4:5], 0x4c
	v_mov_b32_e32 v2, 0
	v_lshlrev_b32_e32 v0, 2, v0
	s_waitcnt lgkmcnt(0)
	s_lshr_b32 s0, s0, 16
	v_mad_u64_u32 v[1:2], null, s0, s7, v[1:2]
	s_mov_b32 s7, 0
	s_lshl_b64 s[0:1], s[6:7], 7
	v_mul_lo_u32 v3, v2, s10
	v_mul_lo_u32 v4, v1, s11
	v_mad_u64_u32 v[1:2], null, v1, s10, 0
	v_add3_u32 v2, v2, v4, v3
	v_lshlrev_b64 v[1:2], 2, v[1:2]
	v_add_co_u32 v1, vcc_lo, s2, v1
	v_add_co_ci_u32_e64 v2, null, s3, v2, vcc_lo
	v_add_co_u32 v1, vcc_lo, v1, s0
	v_add_co_ci_u32_e64 v2, null, s1, v2, vcc_lo
	;; [unrolled: 2-line block ×3, first 2 shown]
	global_store_dword v[0:1], v13, off
.LBB154_9:
	s_endpgm
	.section	.rodata,"a",@progbits
	.p2align	6, 0x0
	.amdhsa_kernel _ZN2at6native12_GLOBAL__N_135GammaBetaBackwardCUDAKernelTemplateIffLj32ELj1ELj8ELb1ELb1ELb1EEEvllPKT_S5_PKT0_S8_PS3_S9_
		.amdhsa_group_segment_fixed_size 0
		.amdhsa_private_segment_fixed_size 0
		.amdhsa_kernarg_size 320
		.amdhsa_user_sgpr_count 6
		.amdhsa_user_sgpr_private_segment_buffer 1
		.amdhsa_user_sgpr_dispatch_ptr 0
		.amdhsa_user_sgpr_queue_ptr 0
		.amdhsa_user_sgpr_kernarg_segment_ptr 1
		.amdhsa_user_sgpr_dispatch_id 0
		.amdhsa_user_sgpr_flat_scratch_init 0
		.amdhsa_user_sgpr_private_segment_size 0
		.amdhsa_wavefront_size32 1
		.amdhsa_uses_dynamic_stack 0
		.amdhsa_system_sgpr_private_segment_wavefront_offset 0
		.amdhsa_system_sgpr_workgroup_id_x 1
		.amdhsa_system_sgpr_workgroup_id_y 1
		.amdhsa_system_sgpr_workgroup_id_z 0
		.amdhsa_system_sgpr_workgroup_info 0
		.amdhsa_system_vgpr_workitem_id 1
		.amdhsa_next_free_vgpr 40
		.amdhsa_next_free_sgpr 26
		.amdhsa_reserve_vcc 1
		.amdhsa_reserve_flat_scratch 0
		.amdhsa_float_round_mode_32 0
		.amdhsa_float_round_mode_16_64 0
		.amdhsa_float_denorm_mode_32 3
		.amdhsa_float_denorm_mode_16_64 3
		.amdhsa_dx10_clamp 1
		.amdhsa_ieee_mode 1
		.amdhsa_fp16_overflow 0
		.amdhsa_workgroup_processor_mode 1
		.amdhsa_memory_ordered 1
		.amdhsa_forward_progress 1
		.amdhsa_shared_vgpr_count 0
		.amdhsa_exception_fp_ieee_invalid_op 0
		.amdhsa_exception_fp_denorm_src 0
		.amdhsa_exception_fp_ieee_div_zero 0
		.amdhsa_exception_fp_ieee_overflow 0
		.amdhsa_exception_fp_ieee_underflow 0
		.amdhsa_exception_fp_ieee_inexact 0
		.amdhsa_exception_int_div_zero 0
	.end_amdhsa_kernel
	.section	.text._ZN2at6native12_GLOBAL__N_135GammaBetaBackwardCUDAKernelTemplateIffLj32ELj1ELj8ELb1ELb1ELb1EEEvllPKT_S5_PKT0_S8_PS3_S9_,"axG",@progbits,_ZN2at6native12_GLOBAL__N_135GammaBetaBackwardCUDAKernelTemplateIffLj32ELj1ELj8ELb1ELb1ELb1EEEvllPKT_S5_PKT0_S8_PS3_S9_,comdat
.Lfunc_end154:
	.size	_ZN2at6native12_GLOBAL__N_135GammaBetaBackwardCUDAKernelTemplateIffLj32ELj1ELj8ELb1ELb1ELb1EEEvllPKT_S5_PKT0_S8_PS3_S9_, .Lfunc_end154-_ZN2at6native12_GLOBAL__N_135GammaBetaBackwardCUDAKernelTemplateIffLj32ELj1ELj8ELb1ELb1ELb1EEEvllPKT_S5_PKT0_S8_PS3_S9_
                                        ; -- End function
	.set _ZN2at6native12_GLOBAL__N_135GammaBetaBackwardCUDAKernelTemplateIffLj32ELj1ELj8ELb1ELb1ELb1EEEvllPKT_S5_PKT0_S8_PS3_S9_.num_vgpr, 40
	.set _ZN2at6native12_GLOBAL__N_135GammaBetaBackwardCUDAKernelTemplateIffLj32ELj1ELj8ELb1ELb1ELb1EEEvllPKT_S5_PKT0_S8_PS3_S9_.num_agpr, 0
	.set _ZN2at6native12_GLOBAL__N_135GammaBetaBackwardCUDAKernelTemplateIffLj32ELj1ELj8ELb1ELb1ELb1EEEvllPKT_S5_PKT0_S8_PS3_S9_.numbered_sgpr, 26
	.set _ZN2at6native12_GLOBAL__N_135GammaBetaBackwardCUDAKernelTemplateIffLj32ELj1ELj8ELb1ELb1ELb1EEEvllPKT_S5_PKT0_S8_PS3_S9_.num_named_barrier, 0
	.set _ZN2at6native12_GLOBAL__N_135GammaBetaBackwardCUDAKernelTemplateIffLj32ELj1ELj8ELb1ELb1ELb1EEEvllPKT_S5_PKT0_S8_PS3_S9_.private_seg_size, 0
	.set _ZN2at6native12_GLOBAL__N_135GammaBetaBackwardCUDAKernelTemplateIffLj32ELj1ELj8ELb1ELb1ELb1EEEvllPKT_S5_PKT0_S8_PS3_S9_.uses_vcc, 1
	.set _ZN2at6native12_GLOBAL__N_135GammaBetaBackwardCUDAKernelTemplateIffLj32ELj1ELj8ELb1ELb1ELb1EEEvllPKT_S5_PKT0_S8_PS3_S9_.uses_flat_scratch, 0
	.set _ZN2at6native12_GLOBAL__N_135GammaBetaBackwardCUDAKernelTemplateIffLj32ELj1ELj8ELb1ELb1ELb1EEEvllPKT_S5_PKT0_S8_PS3_S9_.has_dyn_sized_stack, 0
	.set _ZN2at6native12_GLOBAL__N_135GammaBetaBackwardCUDAKernelTemplateIffLj32ELj1ELj8ELb1ELb1ELb1EEEvllPKT_S5_PKT0_S8_PS3_S9_.has_recursion, 0
	.set _ZN2at6native12_GLOBAL__N_135GammaBetaBackwardCUDAKernelTemplateIffLj32ELj1ELj8ELb1ELb1ELb1EEEvllPKT_S5_PKT0_S8_PS3_S9_.has_indirect_call, 0
	.section	.AMDGPU.csdata,"",@progbits
; Kernel info:
; codeLenInByte = 1180
; TotalNumSgprs: 28
; NumVgprs: 40
; ScratchSize: 0
; MemoryBound: 0
; FloatMode: 240
; IeeeMode: 1
; LDSByteSize: 0 bytes/workgroup (compile time only)
; SGPRBlocks: 0
; VGPRBlocks: 4
; NumSGPRsForWavesPerEU: 28
; NumVGPRsForWavesPerEU: 40
; Occupancy: 16
; WaveLimiterHint : 0
; COMPUTE_PGM_RSRC2:SCRATCH_EN: 0
; COMPUTE_PGM_RSRC2:USER_SGPR: 6
; COMPUTE_PGM_RSRC2:TRAP_HANDLER: 0
; COMPUTE_PGM_RSRC2:TGID_X_EN: 1
; COMPUTE_PGM_RSRC2:TGID_Y_EN: 1
; COMPUTE_PGM_RSRC2:TGID_Z_EN: 0
; COMPUTE_PGM_RSRC2:TIDIG_COMP_CNT: 1
	.section	.text._ZN2at6native12_GLOBAL__N_135GammaBetaBackwardCUDAKernelTemplateIffLj32ELj1ELj8ELb1ELb0ELb1EEEvllPKT_S5_PKT0_S8_PS3_S9_,"axG",@progbits,_ZN2at6native12_GLOBAL__N_135GammaBetaBackwardCUDAKernelTemplateIffLj32ELj1ELj8ELb1ELb0ELb1EEEvllPKT_S5_PKT0_S8_PS3_S9_,comdat
	.globl	_ZN2at6native12_GLOBAL__N_135GammaBetaBackwardCUDAKernelTemplateIffLj32ELj1ELj8ELb1ELb0ELb1EEEvllPKT_S5_PKT0_S8_PS3_S9_ ; -- Begin function _ZN2at6native12_GLOBAL__N_135GammaBetaBackwardCUDAKernelTemplateIffLj32ELj1ELj8ELb1ELb0ELb1EEEvllPKT_S5_PKT0_S8_PS3_S9_
	.p2align	8
	.type	_ZN2at6native12_GLOBAL__N_135GammaBetaBackwardCUDAKernelTemplateIffLj32ELj1ELj8ELb1ELb0ELb1EEEvllPKT_S5_PKT0_S8_PS3_S9_,@function
_ZN2at6native12_GLOBAL__N_135GammaBetaBackwardCUDAKernelTemplateIffLj32ELj1ELj8ELb1ELb0ELb1EEEvllPKT_S5_PKT0_S8_PS3_S9_: ; @_ZN2at6native12_GLOBAL__N_135GammaBetaBackwardCUDAKernelTemplateIffLj32ELj1ELj8ELb1ELb0ELb1EEEvllPKT_S5_PKT0_S8_PS3_S9_
; %bb.0:
	s_clause 0x1
	s_load_dwordx8 s[8:15], s[4:5], 0x0
	s_load_dwordx2 s[16:17], s[4:5], 0x28
	s_mov_b32 s0, s7
	s_lshl_b32 s7, s6, 5
	s_mov_b32 s19, 0
	s_or_b32 s18, s7, 31
	s_waitcnt lgkmcnt(0)
	v_cmp_le_i64_e64 s1, s[10:11], s[18:19]
	s_lshl_b32 s18, s0, 3
	v_cmp_gt_i64_e64 s26, s[8:9], s[18:19]
	s_and_b32 vcc_lo, exec_lo, s1
	v_cndmask_b32_e64 v2, 0, 1, s26
	v_cmp_ne_u32_e64 s1, 1, v2
	s_cbranch_vccz .LBB155_49
; %bb.1:
	v_mov_b32_e32 v86, 0
	s_and_b32 vcc_lo, exec_lo, s1
	s_cbranch_vccnz .LBB155_50
; %bb.2:
	v_lshlrev_b32_e32 v23, 3, v1
	v_mov_b32_e32 v2, 0
	v_add_nc_u32_e32 v3, s7, v0
	s_load_dword s2, s[4:5], 0x44
	s_add_u32 s20, s4, 64
	v_add_co_u32 v11, s1, v23, s18
	v_add_co_ci_u32_e64 v12, null, 0, 0, s1
	v_mov_b32_e32 v4, v2
	v_mul_lo_u32 v7, s11, v11
	v_mad_u64_u32 v[5:6], null, s10, v11, 0
	v_mul_lo_u32 v8, s10, v12
	v_cmp_gt_i64_e64 s1, s[10:11], v[3:4]
	v_lshlrev_b64 v[19:20], 2, v[3:4]
	s_addc_u32 s21, s5, 0
	v_mov_b32_e32 v24, v2
	v_mov_b32_e32 v57, 0
	s_mov_b64 s[24:25], s[18:19]
	v_add3_u32 v6, v6, v8, v7
	v_add_co_u32 v7, vcc_lo, v11, 7
	v_add_co_ci_u32_e64 v8, null, 0, v12, vcc_lo
	v_add_co_u32 v9, vcc_lo, v11, 6
	v_add_co_ci_u32_e64 v10, null, 0, v12, vcc_lo
	v_lshlrev_b64 v[3:4], 2, v[5:6]
	v_mul_lo_u32 v13, s11, v7
	v_mul_lo_u32 v14, s10, v8
	v_mad_u64_u32 v[7:8], null, s10, v7, 0
	v_mul_lo_u32 v15, s11, v9
	v_mul_lo_u32 v16, s10, v10
	v_mad_u64_u32 v[9:10], null, s10, v9, 0
	v_add_co_u32 v25, vcc_lo, s12, v3
	v_add_co_ci_u32_e64 v26, null, s13, v4, vcc_lo
	v_add_co_u32 v27, vcc_lo, s14, v3
	v_add3_u32 v8, v8, v14, v13
	v_add_co_ci_u32_e64 v28, null, s15, v4, vcc_lo
	v_add_co_u32 v13, vcc_lo, v11, 5
	v_add3_u32 v10, v10, v16, v15
	v_add_co_ci_u32_e64 v14, null, 0, v12, vcc_lo
	v_lshlrev_b64 v[3:4], 2, v[7:8]
	v_mul_lo_u32 v15, s11, v13
	v_lshlrev_b64 v[7:8], 2, v[9:10]
	v_mul_lo_u32 v14, s10, v14
	v_mad_u64_u32 v[9:10], null, s10, v13, 0
	v_add_co_u32 v29, vcc_lo, s12, v3
	v_add_co_ci_u32_e64 v30, null, s13, v4, vcc_lo
	v_add_co_u32 v31, vcc_lo, s14, v3
	s_waitcnt lgkmcnt(0)
	s_lshl_b32 s27, s2, 3
	v_add_co_ci_u32_e64 v32, null, s15, v4, vcc_lo
	v_add_co_u32 v33, vcc_lo, s12, v7
	v_add3_u32 v10, v10, v14, v15
	s_mul_i32 s2, s11, s27
	s_mul_hi_u32 s3, s10, s27
	v_add_co_ci_u32_e64 v34, null, s13, v8, vcc_lo
	v_add_co_u32 v13, vcc_lo, v11, 4
	s_add_i32 s23, s3, s2
	v_add_co_u32 v35, s2, s14, v7
	v_add_co_ci_u32_e64 v7, null, 0, v12, vcc_lo
	v_lshlrev_b64 v[3:4], 2, v[9:10]
	v_add_co_u32 v9, vcc_lo, v11, 3
	v_add_co_ci_u32_e64 v10, null, 0, v12, vcc_lo
	v_add_co_ci_u32_e64 v36, null, s15, v8, s2
	v_mul_lo_u32 v14, s11, v13
	v_mul_lo_u32 v15, s10, v7
	v_mad_u64_u32 v[7:8], null, s10, v13, 0
	v_mul_lo_u32 v13, s11, v9
	v_mul_lo_u32 v16, s10, v10
	v_mad_u64_u32 v[9:10], null, s10, v9, 0
	v_add_co_u32 v37, vcc_lo, s12, v3
	v_add_co_ci_u32_e64 v38, null, s13, v4, vcc_lo
	v_add3_u32 v8, v8, v15, v14
	v_add_co_u32 v39, vcc_lo, s14, v3
	v_add_co_ci_u32_e64 v40, null, s15, v4, vcc_lo
	v_add_co_u32 v11, vcc_lo, v11, 2
	v_add3_u32 v10, v10, v16, v13
	v_add_co_ci_u32_e64 v12, null, 0, v12, vcc_lo
	v_lshlrev_b64 v[3:4], 2, v[7:8]
	v_mul_lo_u32 v13, s11, v11
	v_lshlrev_b64 v[7:8], 2, v[9:10]
	v_mul_lo_u32 v12, s10, v12
	v_mad_u64_u32 v[9:10], null, s10, v11, 0
	v_add_co_u32 v41, vcc_lo, s12, v3
	v_add_co_ci_u32_e64 v42, null, s13, v4, vcc_lo
	v_add_co_u32 v43, vcc_lo, s14, v3
	v_add_co_ci_u32_e64 v44, null, s15, v4, vcc_lo
	;; [unrolled: 2-line block ×3, first 2 shown]
	v_add3_u32 v10, v10, v12, v13
	v_add_co_u32 v47, vcc_lo, s14, v7
	v_add_co_ci_u32_e64 v48, null, s15, v8, vcc_lo
	v_add_co_u32 v5, vcc_lo, v5, s10
	v_add_co_ci_u32_e64 v6, null, s11, v6, vcc_lo
	v_lshlrev_b64 v[3:4], 2, v[9:10]
	s_mul_i32 s22, s10, s27
	v_lshlrev_b64 v[5:6], 2, v[5:6]
	s_lshl_b64 s[2:3], s[22:23], 2
	s_mov_b64 s[22:23], 7
	v_add_co_u32 v49, vcc_lo, s12, v3
	v_add_co_ci_u32_e64 v50, null, s13, v4, vcc_lo
	v_add_co_u32 v51, vcc_lo, s14, v3
	v_add_co_ci_u32_e64 v52, null, s15, v4, vcc_lo
	;; [unrolled: 2-line block ×4, first 2 shown]
.LBB155_3:                              ; =>This Inner Loop Header: Depth=1
	s_add_u32 s28, s18, s22
	s_addc_u32 s29, 0, s23
	v_add_co_u32 v21, vcc_lo, s18, v23
	v_cmp_ge_i64_e64 s28, s[28:29], s[8:9]
	v_add_co_ci_u32_e64 v22, null, 0, v24, vcc_lo
                                        ; implicit-def: $vgpr3_vgpr4_vgpr5_vgpr6_vgpr7_vgpr8_vgpr9_vgpr10
                                        ; implicit-def: $vgpr86
                                        ; implicit-def: $vgpr11_vgpr12_vgpr13_vgpr14_vgpr15_vgpr16_vgpr17_vgpr18
                                        ; implicit-def: $vgpr3
	s_and_b32 vcc_lo, exec_lo, s28
	s_mov_b32 s28, -1
	s_cbranch_vccz .LBB155_25
; %bb.4:                                ;   in Loop: Header=BB155_3 Depth=1
	s_load_dword s28, s[20:21], 0xc
	v_mov_b32_e32 v58, 0
	s_waitcnt lgkmcnt(0)
	s_and_b32 s28, s28, 0xffff
	v_mad_u32_u24 v3, v1, s28, v0
	s_mov_b32 s28, exec_lo
	v_and_b32_e32 v3, 31, v3
	v_cmpx_gt_u32_e32 8, v3
	s_cbranch_execz .LBB155_8
; %bb.5:                                ;   in Loop: Header=BB155_3 Depth=1
	v_add_co_u32 v3, vcc_lo, v21, v3
	v_add_co_ci_u32_e64 v4, null, 0, v22, vcc_lo
	v_mov_b32_e32 v58, 0
	s_mov_b32 s29, exec_lo
	v_cmpx_gt_i64_e64 s[8:9], v[3:4]
	s_cbranch_execz .LBB155_7
; %bb.6:                                ;   in Loop: Header=BB155_3 Depth=1
	v_lshlrev_b64 v[3:4], 2, v[3:4]
	v_add_co_u32 v3, vcc_lo, s16, v3
	v_add_co_ci_u32_e64 v4, null, s17, v4, vcc_lo
	global_load_dword v58, v[3:4], off
.LBB155_7:                              ;   in Loop: Header=BB155_3 Depth=1
	s_or_b32 exec_lo, exec_lo, s29
.LBB155_8:                              ;   in Loop: Header=BB155_3 Depth=1
	s_or_b32 exec_lo, exec_lo, s28
	v_mov_b32_e32 v9, v2
	v_mov_b32_e32 v3, v2
	;; [unrolled: 1-line block ×7, first 2 shown]
	v_cmp_gt_i64_e32 vcc_lo, s[8:9], v[21:22]
	v_mov_b32_e32 v18, v9
	v_mov_b32_e32 v15, v6
	;; [unrolled: 1-line block ×16, first 2 shown]
	s_and_b32 s29, s1, vcc_lo
	s_and_saveexec_b32 s28, s29
	s_cbranch_execz .LBB155_10
; %bb.9:                                ;   in Loop: Header=BB155_3 Depth=1
	v_add_co_u32 v3, vcc_lo, v25, v19
	v_add_co_ci_u32_e64 v4, null, v26, v20, vcc_lo
	v_add_co_u32 v5, vcc_lo, v27, v19
	v_add_co_ci_u32_e64 v6, null, v28, v20, vcc_lo
	global_load_dword v3, v[3:4], off
	global_load_dword v11, v[5:6], off
	v_mov_b32_e32 v4, v2
	v_mov_b32_e32 v5, v2
	;; [unrolled: 1-line block ×14, first 2 shown]
.LBB155_10:                             ;   in Loop: Header=BB155_3 Depth=1
	s_or_b32 exec_lo, exec_lo, s28
	v_add_co_u32 v59, vcc_lo, v21, 1
	v_add_co_ci_u32_e64 v60, null, 0, v22, vcc_lo
	v_cmp_gt_i64_e32 vcc_lo, s[8:9], v[59:60]
	s_and_b32 s29, s1, vcc_lo
	s_and_saveexec_b32 s28, s29
	s_cbranch_execz .LBB155_12
; %bb.11:                               ;   in Loop: Header=BB155_3 Depth=1
	v_add_co_u32 v59, vcc_lo, v53, v19
	v_add_co_ci_u32_e64 v60, null, v54, v20, vcc_lo
	v_add_co_u32 v61, vcc_lo, v55, v19
	v_add_co_ci_u32_e64 v62, null, v56, v20, vcc_lo
	global_load_dword v4, v[59:60], off
	global_load_dword v12, v[61:62], off
.LBB155_12:                             ;   in Loop: Header=BB155_3 Depth=1
	s_or_b32 exec_lo, exec_lo, s28
	v_add_co_u32 v59, vcc_lo, v21, 2
	v_add_co_ci_u32_e64 v60, null, 0, v22, vcc_lo
	v_cmp_gt_i64_e32 vcc_lo, s[8:9], v[59:60]
	s_and_b32 s29, s1, vcc_lo
	s_and_saveexec_b32 s28, s29
	s_cbranch_execz .LBB155_14
; %bb.13:                               ;   in Loop: Header=BB155_3 Depth=1
	v_add_co_u32 v59, vcc_lo, v49, v19
	v_add_co_ci_u32_e64 v60, null, v50, v20, vcc_lo
	v_add_co_u32 v61, vcc_lo, v51, v19
	v_add_co_ci_u32_e64 v62, null, v52, v20, vcc_lo
	global_load_dword v5, v[59:60], off
	global_load_dword v13, v[61:62], off
.LBB155_14:                             ;   in Loop: Header=BB155_3 Depth=1
	;; [unrolled: 15-line block ×7, first 2 shown]
	s_or_b32 exec_lo, exec_lo, s28
	s_waitcnt vmcnt(0)
	ds_bpermute_b32 v59, v2, v58
	ds_bpermute_b32 v60, v2, v58 offset:4
	ds_bpermute_b32 v61, v2, v58 offset:8
	v_mul_f32_e32 v3, v11, v3
	ds_bpermute_b32 v11, v2, v58 offset:12
	v_mul_f32_e32 v4, v12, v4
	;; [unrolled: 2-line block ×3, first 2 shown]
	s_mov_b32 s28, 0
	s_waitcnt lgkmcnt(4)
	v_fma_f32 v86, v3, v59, v57
	v_mul_f32_e32 v3, v13, v5
	ds_bpermute_b32 v5, v2, v58 offset:20
	s_waitcnt lgkmcnt(4)
	v_fmac_f32_e32 v86, v4, v60
	v_mul_f32_e32 v4, v14, v6
	ds_bpermute_b32 v6, v2, v58 offset:24
	s_waitcnt lgkmcnt(4)
	v_fmac_f32_e32 v86, v3, v61
	ds_bpermute_b32 v3, v2, v58 offset:28
	s_waitcnt lgkmcnt(4)
	v_fmac_f32_e32 v86, v4, v11
	v_mul_f32_e32 v4, v16, v8
	s_waitcnt lgkmcnt(3)
	v_fmac_f32_e32 v86, v7, v12
	s_waitcnt lgkmcnt(2)
	v_fmac_f32_e32 v86, v4, v5
	v_mul_f32_e32 v4, v17, v9
	s_waitcnt lgkmcnt(1)
	v_fmac_f32_e32 v86, v4, v6
.LBB155_25:                             ;   in Loop: Header=BB155_3 Depth=1
	s_and_b32 vcc_lo, exec_lo, s28
	s_cbranch_vccz .LBB155_40
; %bb.26:                               ;   in Loop: Header=BB155_3 Depth=1
	s_load_dword s28, s[20:21], 0x0
	v_mov_b32_e32 v58, 0
	s_waitcnt lgkmcnt(0)
	s_cmp_lt_u32 s6, s28
	s_cselect_b32 s28, 12, 18
	s_add_u32 s28, s20, s28
	s_addc_u32 s29, s21, 0
	global_load_ushort v3, v2, s[28:29]
	s_mov_b32 s28, exec_lo
	s_waitcnt vmcnt(0)
	v_mad_u32_u24 v3, v1, v3, v0
	v_and_b32_e32 v3, 31, v3
	v_cmpx_gt_u32_e32 8, v3
	s_cbranch_execz .LBB155_30
; %bb.27:                               ;   in Loop: Header=BB155_3 Depth=1
	v_add_co_u32 v3, vcc_lo, v21, v3
	v_add_co_ci_u32_e64 v4, null, 0, v22, vcc_lo
	v_mov_b32_e32 v58, 0
	s_mov_b32 s29, exec_lo
	v_cmpx_gt_i64_e64 s[8:9], v[3:4]
	s_cbranch_execz .LBB155_29
; %bb.28:                               ;   in Loop: Header=BB155_3 Depth=1
	v_lshlrev_b64 v[3:4], 2, v[3:4]
	v_add_co_u32 v3, vcc_lo, s16, v3
	v_add_co_ci_u32_e64 v4, null, s17, v4, vcc_lo
	global_load_dword v58, v[3:4], off
.LBB155_29:                             ;   in Loop: Header=BB155_3 Depth=1
	s_or_b32 exec_lo, exec_lo, s29
.LBB155_30:                             ;   in Loop: Header=BB155_3 Depth=1
	s_or_b32 exec_lo, exec_lo, s28
	v_mov_b32_e32 v9, v2
	v_mov_b32_e32 v3, v2
	;; [unrolled: 1-line block ×23, first 2 shown]
	s_and_saveexec_b32 s28, s1
	s_cbranch_execnz .LBB155_42
; %bb.31:                               ;   in Loop: Header=BB155_3 Depth=1
	s_or_b32 exec_lo, exec_lo, s28
	s_and_saveexec_b32 s28, s1
	s_cbranch_execnz .LBB155_43
.LBB155_32:                             ;   in Loop: Header=BB155_3 Depth=1
	s_or_b32 exec_lo, exec_lo, s28
	s_and_saveexec_b32 s28, s1
	s_cbranch_execnz .LBB155_44
.LBB155_33:                             ;   in Loop: Header=BB155_3 Depth=1
	s_or_b32 exec_lo, exec_lo, s28
	s_and_saveexec_b32 s28, s1
	s_cbranch_execnz .LBB155_45
.LBB155_34:                             ;   in Loop: Header=BB155_3 Depth=1
	s_or_b32 exec_lo, exec_lo, s28
	s_and_saveexec_b32 s28, s1
	s_cbranch_execnz .LBB155_46
.LBB155_35:                             ;   in Loop: Header=BB155_3 Depth=1
	s_or_b32 exec_lo, exec_lo, s28
	s_and_saveexec_b32 s28, s1
	s_cbranch_execnz .LBB155_47
.LBB155_36:                             ;   in Loop: Header=BB155_3 Depth=1
	s_or_b32 exec_lo, exec_lo, s28
	s_and_saveexec_b32 s28, s1
	s_cbranch_execnz .LBB155_48
.LBB155_37:                             ;   in Loop: Header=BB155_3 Depth=1
	s_or_b32 exec_lo, exec_lo, s28
	s_and_saveexec_b32 s28, s1
	s_cbranch_execz .LBB155_39
.LBB155_38:                             ;   in Loop: Header=BB155_3 Depth=1
	v_add_co_u32 v21, vcc_lo, v29, v19
	v_add_co_ci_u32_e64 v22, null, v30, v20, vcc_lo
	v_add_co_u32 v59, vcc_lo, v31, v19
	v_add_co_ci_u32_e64 v60, null, v32, v20, vcc_lo
	global_load_dword v10, v[21:22], off
	global_load_dword v18, v[59:60], off
.LBB155_39:                             ;   in Loop: Header=BB155_3 Depth=1
	s_or_b32 exec_lo, exec_lo, s28
	s_waitcnt vmcnt(0)
	ds_bpermute_b32 v21, v2, v58
	ds_bpermute_b32 v22, v2, v58 offset:4
	ds_bpermute_b32 v59, v2, v58 offset:8
	v_mul_f32_e32 v3, v11, v3
	ds_bpermute_b32 v11, v2, v58 offset:12
	v_mul_f32_e32 v4, v12, v4
	ds_bpermute_b32 v12, v2, v58 offset:16
	s_waitcnt lgkmcnt(4)
	v_fmac_f32_e32 v57, v3, v21
	v_mul_f32_e32 v3, v13, v5
	ds_bpermute_b32 v5, v2, v58 offset:20
	s_waitcnt lgkmcnt(4)
	v_fmac_f32_e32 v57, v4, v22
	;; [unrolled: 4-line block ×3, first 2 shown]
	v_mul_f32_e32 v3, v15, v7
	s_waitcnt lgkmcnt(3)
	v_fmac_f32_e32 v57, v4, v11
	v_mul_f32_e32 v4, v16, v8
	s_waitcnt lgkmcnt(2)
	v_fmac_f32_e32 v57, v3, v12
	ds_bpermute_b32 v3, v2, v58 offset:28
	s_waitcnt lgkmcnt(2)
	v_fmac_f32_e32 v57, v4, v5
	v_mul_f32_e32 v4, v17, v9
	s_waitcnt lgkmcnt(1)
	v_fmac_f32_e32 v57, v4, v6
	v_mov_b32_e32 v86, v57
.LBB155_40:                             ;   in Loop: Header=BB155_3 Depth=1
	v_add_co_u32 v25, vcc_lo, v25, s2
	v_add_co_ci_u32_e64 v26, null, s3, v26, vcc_lo
	v_add_co_u32 v27, vcc_lo, v27, s2
	v_add_co_ci_u32_e64 v28, null, s3, v28, vcc_lo
	;; [unrolled: 2-line block ×13, first 2 shown]
	v_add_co_u32 v51, vcc_lo, v51, s2
	s_add_u32 s24, s24, s27
	v_add_co_ci_u32_e64 v52, null, s3, v52, vcc_lo
	v_add_co_u32 v53, vcc_lo, v53, s2
	v_mul_f32_e32 v4, v10, v18
	s_addc_u32 s25, s25, 0
	v_add_co_ci_u32_e64 v54, null, s3, v54, vcc_lo
	v_add_co_u32 v55, vcc_lo, v55, s2
	v_cmp_lt_i64_e64 s28, s[24:25], s[8:9]
	v_add_co_ci_u32_e64 v56, null, s3, v56, vcc_lo
	v_add_co_u32 v23, vcc_lo, v23, s27
	s_waitcnt lgkmcnt(0)
	v_fmac_f32_e32 v86, v4, v3
	v_add_co_ci_u32_e64 v24, null, 0, v24, vcc_lo
	s_add_u32 s22, s22, s27
	s_addc_u32 s23, 0, s23
	s_and_b32 vcc_lo, exec_lo, s28
	s_cbranch_vccz .LBB155_50
; %bb.41:                               ;   in Loop: Header=BB155_3 Depth=1
	v_mov_b32_e32 v57, v86
	s_branch .LBB155_3
.LBB155_42:                             ;   in Loop: Header=BB155_3 Depth=1
	v_add_co_u32 v3, vcc_lo, v25, v19
	v_add_co_ci_u32_e64 v4, null, v26, v20, vcc_lo
	v_add_co_u32 v5, vcc_lo, v27, v19
	v_add_co_ci_u32_e64 v6, null, v28, v20, vcc_lo
	global_load_dword v3, v[3:4], off
	global_load_dword v11, v[5:6], off
	v_mov_b32_e32 v4, v2
	v_mov_b32_e32 v5, v2
	;; [unrolled: 1-line block ×14, first 2 shown]
	s_or_b32 exec_lo, exec_lo, s28
	s_and_saveexec_b32 s28, s1
	s_cbranch_execz .LBB155_32
.LBB155_43:                             ;   in Loop: Header=BB155_3 Depth=1
	v_add_co_u32 v21, vcc_lo, v53, v19
	v_add_co_ci_u32_e64 v22, null, v54, v20, vcc_lo
	v_add_co_u32 v59, vcc_lo, v55, v19
	v_add_co_ci_u32_e64 v60, null, v56, v20, vcc_lo
	global_load_dword v4, v[21:22], off
	global_load_dword v12, v[59:60], off
	s_or_b32 exec_lo, exec_lo, s28
	s_and_saveexec_b32 s28, s1
	s_cbranch_execz .LBB155_33
.LBB155_44:                             ;   in Loop: Header=BB155_3 Depth=1
	v_add_co_u32 v21, vcc_lo, v49, v19
	v_add_co_ci_u32_e64 v22, null, v50, v20, vcc_lo
	v_add_co_u32 v59, vcc_lo, v51, v19
	v_add_co_ci_u32_e64 v60, null, v52, v20, vcc_lo
	global_load_dword v5, v[21:22], off
	global_load_dword v13, v[59:60], off
	s_or_b32 exec_lo, exec_lo, s28
	s_and_saveexec_b32 s28, s1
	s_cbranch_execz .LBB155_34
.LBB155_45:                             ;   in Loop: Header=BB155_3 Depth=1
	v_add_co_u32 v21, vcc_lo, v45, v19
	v_add_co_ci_u32_e64 v22, null, v46, v20, vcc_lo
	v_add_co_u32 v59, vcc_lo, v47, v19
	v_add_co_ci_u32_e64 v60, null, v48, v20, vcc_lo
	global_load_dword v6, v[21:22], off
	global_load_dword v14, v[59:60], off
	s_or_b32 exec_lo, exec_lo, s28
	s_and_saveexec_b32 s28, s1
	s_cbranch_execz .LBB155_35
.LBB155_46:                             ;   in Loop: Header=BB155_3 Depth=1
	v_add_co_u32 v21, vcc_lo, v41, v19
	v_add_co_ci_u32_e64 v22, null, v42, v20, vcc_lo
	v_add_co_u32 v59, vcc_lo, v43, v19
	v_add_co_ci_u32_e64 v60, null, v44, v20, vcc_lo
	global_load_dword v7, v[21:22], off
	global_load_dword v15, v[59:60], off
	s_or_b32 exec_lo, exec_lo, s28
	s_and_saveexec_b32 s28, s1
	s_cbranch_execz .LBB155_36
.LBB155_47:                             ;   in Loop: Header=BB155_3 Depth=1
	v_add_co_u32 v21, vcc_lo, v37, v19
	v_add_co_ci_u32_e64 v22, null, v38, v20, vcc_lo
	v_add_co_u32 v59, vcc_lo, v39, v19
	v_add_co_ci_u32_e64 v60, null, v40, v20, vcc_lo
	global_load_dword v8, v[21:22], off
	global_load_dword v16, v[59:60], off
	s_or_b32 exec_lo, exec_lo, s28
	s_and_saveexec_b32 s28, s1
	s_cbranch_execz .LBB155_37
.LBB155_48:                             ;   in Loop: Header=BB155_3 Depth=1
	v_add_co_u32 v21, vcc_lo, v33, v19
	v_add_co_ci_u32_e64 v22, null, v34, v20, vcc_lo
	v_add_co_u32 v59, vcc_lo, v35, v19
	v_add_co_ci_u32_e64 v60, null, v36, v20, vcc_lo
	global_load_dword v9, v[21:22], off
	global_load_dword v17, v[59:60], off
	s_or_b32 exec_lo, exec_lo, s28
	s_and_saveexec_b32 s28, s1
	s_cbranch_execnz .LBB155_38
	s_branch .LBB155_39
.LBB155_49:
                                        ; implicit-def: $vgpr86
	s_load_dwordx2 s[2:3], s[4:5], 0x30
	s_branch .LBB155_51
.LBB155_50:
	s_load_dwordx2 s[2:3], s[4:5], 0x30
	s_cbranch_execnz .LBB155_83
.LBB155_51:
	v_mov_b32_e32 v86, 0
	s_andn2_b32 vcc_lo, exec_lo, s26
	s_cbranch_vccnz .LBB155_83
; %bb.52:
	v_lshlrev_b32_e32 v51, 3, v1
	v_lshlrev_b32_e32 v4, 5, v1
	s_add_u32 s20, s4, 64
	s_addc_u32 s21, s5, 0
	s_lshl_b64 s[22:23], s[18:19], 2
	v_add_co_u32 v10, s1, v51, s18
	v_add_co_ci_u32_e64 v11, null, 0, 0, s1
	v_add_co_u32 v7, s1, v4, s22
	v_mul_lo_u32 v5, s11, v10
	v_mul_lo_u32 v6, s10, v11
	v_mad_u64_u32 v[2:3], null, s10, v10, 0
	v_add_co_ci_u32_e64 v8, null, 0, s23, s1
	v_mov_b32_e32 v85, 0
	s_mov_b64 s[22:23], s[18:19]
	v_add3_u32 v3, v3, v6, v5
	v_add_co_u32 v6, vcc_lo, v7, 4
	v_add_co_ci_u32_e64 v9, null, 0, v8, vcc_lo
	v_lshlrev_b64 v[4:5], 2, v[2:3]
	v_mad_u64_u32 v[19:20], null, s10, v6, s[12:13]
	v_mul_lo_u32 v9, s10, v9
	v_mul_lo_u32 v12, s11, v6
	v_mad_u64_u32 v[33:34], null, s10, v6, s[14:15]
	v_add_co_u32 v52, vcc_lo, s12, v4
	v_add_co_ci_u32_e64 v53, null, s13, v5, vcc_lo
	v_add_co_u32 v54, vcc_lo, s14, v4
	v_add_co_ci_u32_e64 v55, null, s15, v5, vcc_lo
	;; [unrolled: 2-line block ×4, first 2 shown]
	v_add_co_u32 v16, vcc_lo, v7, 16
	v_mad_u64_u32 v[21:22], null, s10, v4, s[12:13]
	v_mul_lo_u32 v5, s10, v5
	v_mul_lo_u32 v15, s11, v4
	v_add_co_ci_u32_e64 v18, null, 0, v8, vcc_lo
	v_add_co_u32 v41, vcc_lo, v7, 20
	v_mad_u64_u32 v[35:36], null, s10, v4, s[14:15]
	v_add_co_ci_u32_e64 v29, null, 0, v8, vcc_lo
	v_add_co_u32 v44, vcc_lo, v7, 24
	v_add_co_ci_u32_e64 v31, null, 0, v8, vcc_lo
	v_add_co_u32 v7, vcc_lo, v7, 28
	;; [unrolled: 2-line block ×3, first 2 shown]
	v_add3_u32 v22, v15, v22, v5
	v_add3_u32 v36, v15, v36, v5
	v_add_co_ci_u32_e64 v5, null, 0, v11, vcc_lo
	v_add3_u32 v20, v12, v20, v9
	v_add3_u32 v34, v12, v34, v9
	v_mul_lo_u32 v6, s11, v4
	v_mul_lo_u32 v9, s10, v5
	v_mad_u64_u32 v[4:5], null, s10, v4, 0
	v_mul_lo_u32 v49, s10, v31
	v_mad_u64_u32 v[31:32], null, s10, v7, s[12:13]
	v_mul_lo_u32 v8, s10, v8
	v_mul_lo_u32 v56, s11, v7
	v_mad_u64_u32 v[45:46], null, s10, v7, s[14:15]
	v_add3_u32 v5, v5, v9, v6
	v_add_co_u32 v6, vcc_lo, v10, 6
	v_add_co_ci_u32_e64 v7, null, 0, v11, vcc_lo
	v_mad_u64_u32 v[23:24], null, s10, v13, s[12:13]
	v_mul_lo_u32 v14, s10, v14
	v_mul_lo_u32 v17, s11, v13
	v_add3_u32 v32, v56, v32, v8
	v_mad_u64_u32 v[37:38], null, s10, v13, s[14:15]
	v_add3_u32 v46, v56, v46, v8
	v_mul_lo_u32 v8, s11, v6
	v_mul_lo_u32 v9, s10, v7
	v_mad_u64_u32 v[6:7], null, s10, v6, 0
	v_lshlrev_b64 v[4:5], 2, v[4:5]
	v_add_co_u32 v12, vcc_lo, v10, 5
	v_add_co_ci_u32_e64 v13, null, 0, v11, vcc_lo
	v_add3_u32 v24, v17, v24, v14
	v_add_co_u32 v56, vcc_lo, s12, v4
	v_add3_u32 v38, v17, v38, v14
	v_add3_u32 v7, v7, v9, v8
	v_mul_lo_u32 v14, s11, v12
	v_mul_lo_u32 v13, s10, v13
	v_mad_u64_u32 v[8:9], null, s10, v12, 0
	v_add_co_ci_u32_e64 v57, null, s13, v5, vcc_lo
	v_add_co_u32 v12, vcc_lo, v10, 4
	v_add_co_ci_u32_e64 v15, null, 0, v11, vcc_lo
	v_add_co_u32 v58, vcc_lo, s14, v4
	v_add_co_ci_u32_e64 v59, null, s15, v5, vcc_lo
	v_lshlrev_b64 v[4:5], 2, v[6:7]
	v_add3_u32 v9, v9, v13, v14
	v_mul_lo_u32 v13, s11, v12
	v_mul_lo_u32 v14, s10, v15
	v_mad_u64_u32 v[6:7], null, s10, v12, 0
	v_lshlrev_b64 v[8:9], 2, v[8:9]
	v_add_co_u32 v60, vcc_lo, s12, v4
	v_add_co_ci_u32_e64 v61, null, s13, v5, vcc_lo
	v_add_co_u32 v62, vcc_lo, s14, v4
	v_add3_u32 v7, v7, v14, v13
	v_add_co_ci_u32_e64 v63, null, s15, v5, vcc_lo
	v_add_co_u32 v64, vcc_lo, s12, v8
	v_add_co_ci_u32_e64 v65, null, s13, v9, vcc_lo
	v_lshlrev_b64 v[4:5], 2, v[6:7]
	v_add_co_u32 v6, vcc_lo, v10, 3
	v_add_co_ci_u32_e64 v7, null, 0, v11, vcc_lo
	v_add_co_u32 v66, s1, s14, v8
	v_add_co_u32 v8, vcc_lo, v10, 2
	v_add_co_ci_u32_e64 v67, null, s15, v9, s1
	v_mul_lo_u32 v12, s11, v6
	v_add_co_ci_u32_e64 v9, null, 0, v11, vcc_lo
	v_mul_lo_u32 v10, s10, v7
	v_mad_u64_u32 v[6:7], null, s10, v6, 0
	v_mul_lo_u32 v11, s11, v8
	v_mul_lo_u32 v13, s10, v9
	v_mad_u64_u32 v[8:9], null, s10, v8, 0
	v_add_co_u32 v68, vcc_lo, s12, v4
	v_add3_u32 v7, v7, v10, v12
	s_load_dword s1, s[4:5], 0x44
	v_add_co_ci_u32_e64 v69, null, s13, v5, vcc_lo
	v_add_co_u32 v70, vcc_lo, s14, v4
	v_add_co_ci_u32_e64 v71, null, s15, v5, vcc_lo
	v_lshlrev_b64 v[4:5], 2, v[6:7]
	v_add3_u32 v9, v9, v13, v11
	v_add_co_u32 v2, vcc_lo, v2, s10
	v_mad_u64_u32 v[25:26], null, s10, v16, s[12:13]
	v_mul_lo_u32 v18, s10, v18
	v_mul_lo_u32 v43, s11, v16
	v_mad_u64_u32 v[39:40], null, s10, v16, s[14:15]
	v_add_co_ci_u32_e64 v3, null, s11, v3, vcc_lo
	v_lshlrev_b64 v[6:7], 2, v[8:9]
	v_add_co_u32 v72, vcc_lo, s12, v4
	v_add_co_ci_u32_e64 v73, null, s13, v5, vcc_lo
	v_add_co_u32 v74, vcc_lo, s14, v4
	v_lshlrev_b64 v[3:4], 2, v[2:3]
	v_mov_b32_e32 v2, 0
	v_mad_u64_u32 v[27:28], null, s10, v41, s[12:13]
	v_mul_lo_u32 v47, s10, v29
	v_mul_lo_u32 v48, s11, v41
	v_mad_u64_u32 v[41:42], null, s10, v41, s[14:15]
	v_mad_u64_u32 v[29:30], null, s10, v44, s[12:13]
	v_mul_lo_u32 v50, s11, v44
	v_add3_u32 v26, v43, v26, v18
	v_add3_u32 v40, v43, v40, v18
	v_mad_u64_u32 v[43:44], null, s10, v44, s[14:15]
	v_add_co_ci_u32_e64 v75, null, s15, v5, vcc_lo
	v_add_co_u32 v76, vcc_lo, s12, v6
	v_add_co_ci_u32_e64 v77, null, s13, v7, vcc_lo
	v_add_co_u32 v78, vcc_lo, s14, v6
	v_add_nc_u32_e32 v5, s7, v0
	v_mov_b32_e32 v6, v2
	v_add_co_ci_u32_e64 v79, null, s15, v7, vcc_lo
	v_add_co_u32 v80, vcc_lo, s12, v3
	s_waitcnt lgkmcnt(0)
	s_lshl_b32 s1, s1, 3
	v_add_co_ci_u32_e64 v81, null, s13, v4, vcc_lo
	v_add_co_u32 v82, vcc_lo, s14, v3
	v_add3_u32 v28, v48, v28, v47
	v_add3_u32 v42, v48, v42, v47
	s_mul_i32 s7, s11, s1
	s_mul_hi_u32 s12, s10, s1
	v_lshlrev_b64 v[47:48], 2, v[5:6]
	v_add3_u32 v30, v50, v30, v49
	v_add3_u32 v44, v50, v44, v49
	v_add_co_ci_u32_e64 v83, null, s15, v4, vcc_lo
	v_mov_b32_e32 v84, v2
	s_add_i32 s13, s12, s7
	s_mul_i32 s12, s10, s1
	s_mov_b64 s[14:15], 7
	s_lshl_b64 s[12:13], s[12:13], 2
.LBB155_53:                             ; =>This Inner Loop Header: Depth=1
	s_add_u32 s24, s18, s14
	s_addc_u32 s25, 0, s15
	v_add_co_u32 v49, vcc_lo, s18, v51
	v_cmp_ge_i64_e64 s7, s[24:25], s[8:9]
	v_add_co_ci_u32_e64 v50, null, 0, v84, vcc_lo
                                        ; implicit-def: $vgpr86
	s_and_b32 vcc_lo, exec_lo, s7
	s_mov_b32 s7, -1
	s_cbranch_vccz .LBB155_75
; %bb.54:                               ;   in Loop: Header=BB155_53 Depth=1
	s_load_dword s7, s[20:21], 0xc
	v_mov_b32_e32 v87, 0
	s_waitcnt lgkmcnt(0)
	s_and_b32 s7, s7, 0xffff
	v_mad_u32_u24 v3, v1, s7, v0
	s_mov_b32 s7, exec_lo
	v_and_b32_e32 v3, 31, v3
	v_cmpx_gt_u32_e32 8, v3
	s_cbranch_execz .LBB155_58
; %bb.55:                               ;   in Loop: Header=BB155_53 Depth=1
	v_add_co_u32 v3, vcc_lo, v49, v3
	v_add_co_ci_u32_e64 v4, null, 0, v50, vcc_lo
	v_mov_b32_e32 v87, 0
	s_mov_b32 s19, exec_lo
	v_cmpx_gt_i64_e64 s[8:9], v[3:4]
	s_cbranch_execz .LBB155_57
; %bb.56:                               ;   in Loop: Header=BB155_53 Depth=1
	v_lshlrev_b64 v[3:4], 2, v[3:4]
	v_add_co_u32 v3, vcc_lo, s16, v3
	v_add_co_ci_u32_e64 v4, null, s17, v4, vcc_lo
	global_load_dword v87, v[3:4], off
.LBB155_57:                             ;   in Loop: Header=BB155_53 Depth=1
	s_or_b32 exec_lo, exec_lo, s19
.LBB155_58:                             ;   in Loop: Header=BB155_53 Depth=1
	s_or_b32 exec_lo, exec_lo, s7
	v_mov_b32_e32 v9, v2
	v_mov_b32_e32 v3, v2
	v_mov_b32_e32 v4, v2
	v_mov_b32_e32 v5, v2
	v_mov_b32_e32 v6, v2
	v_mov_b32_e32 v7, v2
	v_mov_b32_e32 v8, v2
	v_mov_b32_e32 v18, v9
	v_mov_b32_e32 v14, v5
	v_mov_b32_e32 v15, v6
	v_mov_b32_e32 v16, v7
	v_mov_b32_e32 v17, v8
	v_mov_b32_e32 v13, v4
	v_mov_b32_e32 v12, v3
	v_mov_b32_e32 v11, v2
	v_mov_b32_e32 v10, v9
	v_mov_b32_e32 v9, v8
	v_mov_b32_e32 v8, v7
	v_mov_b32_e32 v7, v6
	v_mov_b32_e32 v6, v5
	v_mov_b32_e32 v5, v4
	v_mov_b32_e32 v4, v3
	v_mov_b32_e32 v3, v2
	s_mov_b32 s7, exec_lo
	v_cmpx_gt_i64_e64 s[8:9], v[49:50]
	s_cbranch_execz .LBB155_60
; %bb.59:                               ;   in Loop: Header=BB155_53 Depth=1
	v_add_co_u32 v3, vcc_lo, v52, v47
	v_add_co_ci_u32_e64 v4, null, v53, v48, vcc_lo
	v_add_co_u32 v5, vcc_lo, v54, v47
	v_add_co_ci_u32_e64 v6, null, v55, v48, vcc_lo
	global_load_dword v3, v[3:4], off
	global_load_dword v11, v[5:6], off
	v_mov_b32_e32 v4, v2
	v_mov_b32_e32 v5, v2
	;; [unrolled: 1-line block ×14, first 2 shown]
.LBB155_60:                             ;   in Loop: Header=BB155_53 Depth=1
	s_or_b32 exec_lo, exec_lo, s7
	v_add_co_u32 v88, vcc_lo, v49, 1
	v_add_co_ci_u32_e64 v89, null, 0, v50, vcc_lo
	s_mov_b32 s7, exec_lo
	v_cmpx_gt_i64_e64 s[8:9], v[88:89]
	s_cbranch_execz .LBB155_62
; %bb.61:                               ;   in Loop: Header=BB155_53 Depth=1
	v_add_co_u32 v88, vcc_lo, v80, v47
	v_add_co_ci_u32_e64 v89, null, v81, v48, vcc_lo
	v_add_co_u32 v90, vcc_lo, v82, v47
	v_add_co_ci_u32_e64 v91, null, v83, v48, vcc_lo
	global_load_dword v4, v[88:89], off
	global_load_dword v12, v[90:91], off
.LBB155_62:                             ;   in Loop: Header=BB155_53 Depth=1
	s_or_b32 exec_lo, exec_lo, s7
	v_add_co_u32 v88, vcc_lo, v49, 2
	v_add_co_ci_u32_e64 v89, null, 0, v50, vcc_lo
	s_mov_b32 s7, exec_lo
	v_cmpx_gt_i64_e64 s[8:9], v[88:89]
	s_cbranch_execz .LBB155_64
; %bb.63:                               ;   in Loop: Header=BB155_53 Depth=1
	v_add_co_u32 v88, vcc_lo, v76, v47
	v_add_co_ci_u32_e64 v89, null, v77, v48, vcc_lo
	v_add_co_u32 v90, vcc_lo, v78, v47
	v_add_co_ci_u32_e64 v91, null, v79, v48, vcc_lo
	global_load_dword v5, v[88:89], off
	global_load_dword v13, v[90:91], off
.LBB155_64:                             ;   in Loop: Header=BB155_53 Depth=1
	;; [unrolled: 14-line block ×7, first 2 shown]
	s_or_b32 exec_lo, exec_lo, s7
	s_waitcnt vmcnt(0)
	ds_bpermute_b32 v86, v2, v87
	ds_bpermute_b32 v88, v2, v87 offset:4
	ds_bpermute_b32 v89, v2, v87 offset:8
	v_mul_f32_e32 v3, v11, v3
	ds_bpermute_b32 v11, v2, v87 offset:12
	v_mul_f32_e32 v4, v12, v4
	ds_bpermute_b32 v12, v2, v87 offset:16
	s_mov_b32 s7, 0
	s_waitcnt lgkmcnt(4)
	v_fma_f32 v86, v3, v86, v85
	v_mul_f32_e32 v3, v13, v5
	ds_bpermute_b32 v5, v2, v87 offset:20
	s_waitcnt lgkmcnt(4)
	v_fmac_f32_e32 v86, v4, v88
	v_mul_f32_e32 v4, v14, v6
	ds_bpermute_b32 v6, v2, v87 offset:24
	s_waitcnt lgkmcnt(4)
	v_fmac_f32_e32 v86, v3, v89
	v_mul_f32_e32 v3, v15, v7
	v_mul_f32_e32 v7, v16, v8
	s_waitcnt lgkmcnt(3)
	v_fmac_f32_e32 v86, v4, v11
	ds_bpermute_b32 v4, v2, v87 offset:28
	s_waitcnt lgkmcnt(3)
	v_fmac_f32_e32 v86, v3, v12
	v_mul_f32_e32 v3, v17, v9
	s_waitcnt lgkmcnt(2)
	v_fmac_f32_e32 v86, v7, v5
	s_waitcnt lgkmcnt(1)
	v_fmac_f32_e32 v86, v3, v6
	v_mul_f32_e32 v3, v18, v10
	s_waitcnt lgkmcnt(0)
	v_fmac_f32_e32 v86, v3, v4
.LBB155_75:                             ;   in Loop: Header=BB155_53 Depth=1
	s_and_b32 vcc_lo, exec_lo, s7
	s_cbranch_vccz .LBB155_81
; %bb.76:                               ;   in Loop: Header=BB155_53 Depth=1
	s_load_dword s7, s[20:21], 0x0
	v_mov_b32_e32 v5, 0
	s_waitcnt lgkmcnt(0)
	s_cmp_lt_u32 s6, s7
	s_cselect_b32 s7, 12, 18
	s_add_u32 s24, s20, s7
	s_addc_u32 s25, s21, 0
	s_mov_b32 s7, exec_lo
	global_load_ushort v3, v2, s[24:25]
	s_waitcnt vmcnt(0)
	v_mad_u32_u24 v3, v1, v3, v0
	v_and_b32_e32 v3, 31, v3
	v_cmpx_gt_u32_e32 8, v3
	s_cbranch_execz .LBB155_80
; %bb.77:                               ;   in Loop: Header=BB155_53 Depth=1
	v_add_co_u32 v3, vcc_lo, v49, v3
	v_add_co_ci_u32_e64 v4, null, 0, v50, vcc_lo
	v_mov_b32_e32 v5, 0
	s_mov_b32 s19, exec_lo
	v_cmpx_gt_i64_e64 s[8:9], v[3:4]
	s_cbranch_execz .LBB155_79
; %bb.78:                               ;   in Loop: Header=BB155_53 Depth=1
	v_lshlrev_b64 v[3:4], 2, v[3:4]
	v_add_co_u32 v3, vcc_lo, s16, v3
	v_add_co_ci_u32_e64 v4, null, s17, v4, vcc_lo
	global_load_dword v5, v[3:4], off
.LBB155_79:                             ;   in Loop: Header=BB155_53 Depth=1
	s_or_b32 exec_lo, exec_lo, s19
.LBB155_80:                             ;   in Loop: Header=BB155_53 Depth=1
	s_or_b32 exec_lo, exec_lo, s7
	v_add_co_u32 v3, vcc_lo, v52, v47
	v_add_co_ci_u32_e64 v4, null, v53, v48, vcc_lo
	v_add_co_u32 v6, vcc_lo, v54, v47
	v_add_co_ci_u32_e64 v7, null, v55, v48, vcc_lo
	;; [unrolled: 2-line block ×4, first 2 shown]
	global_load_dword v14, v[3:4], off
	global_load_dword v15, v[6:7], off
	;; [unrolled: 1-line block ×4, first 2 shown]
	v_add_co_u32 v3, vcc_lo, v21, v47
	v_add_co_ci_u32_e64 v4, null, v22, v48, vcc_lo
	v_add_co_u32 v6, vcc_lo, v35, v47
	v_add_co_ci_u32_e64 v7, null, v36, v48, vcc_lo
	v_add_co_u32 v8, vcc_lo, v23, v47
	v_add_co_ci_u32_e64 v9, null, v24, v48, vcc_lo
	v_add_co_u32 v10, vcc_lo, v37, v47
	v_add_co_ci_u32_e64 v11, null, v38, v48, vcc_lo
	v_add_co_u32 v12, vcc_lo, v25, v47
	v_add_co_ci_u32_e64 v13, null, v26, v48, vcc_lo
	global_load_dword v18, v[3:4], off
	global_load_dword v49, v[6:7], off
	;; [unrolled: 1-line block ×5, first 2 shown]
	v_add_co_u32 v3, vcc_lo, v39, v47
	v_add_co_ci_u32_e64 v4, null, v40, v48, vcc_lo
	v_add_co_u32 v6, vcc_lo, v27, v47
	v_add_co_ci_u32_e64 v7, null, v28, v48, vcc_lo
	;; [unrolled: 2-line block ×5, first 2 shown]
	global_load_dword v88, v[3:4], off
	global_load_dword v89, v[6:7], off
	global_load_dword v8, v[8:9], off
	global_load_dword v9, v[10:11], off
	global_load_dword v10, v[12:13], off
	v_add_co_u32 v3, vcc_lo, v31, v47
	v_add_co_ci_u32_e64 v4, null, v32, v48, vcc_lo
	v_add_co_u32 v6, vcc_lo, v45, v47
	v_add_co_ci_u32_e64 v7, null, v46, v48, vcc_lo
	global_load_dword v3, v[3:4], off
	global_load_dword v4, v[6:7], off
	s_waitcnt vmcnt(16)
	ds_bpermute_b32 v6, v2, v5
	ds_bpermute_b32 v7, v2, v5 offset:4
	ds_bpermute_b32 v11, v2, v5 offset:8
	;; [unrolled: 1-line block ×3, first 2 shown]
	s_waitcnt vmcnt(14)
	v_mul_f32_e32 v13, v14, v15
	ds_bpermute_b32 v14, v2, v5 offset:16
	s_waitcnt vmcnt(12)
	v_mul_f32_e32 v15, v16, v17
	s_waitcnt lgkmcnt(4)
	v_fmac_f32_e32 v85, v13, v6
	ds_bpermute_b32 v6, v2, v5 offset:20
	s_waitcnt lgkmcnt(4)
	v_fmac_f32_e32 v85, v15, v7
	ds_bpermute_b32 v7, v2, v5 offset:24
	ds_bpermute_b32 v5, v2, v5 offset:28
	s_waitcnt vmcnt(10)
	v_mul_f32_e32 v13, v18, v49
	s_waitcnt vmcnt(8)
	v_mul_f32_e32 v15, v50, v86
	s_waitcnt lgkmcnt(5)
	v_fmac_f32_e32 v85, v13, v11
	s_waitcnt lgkmcnt(4)
	v_fmac_f32_e32 v85, v15, v12
	s_waitcnt vmcnt(6)
	v_mul_f32_e32 v11, v87, v88
	s_waitcnt vmcnt(4)
	v_mul_f32_e32 v8, v89, v8
	;; [unrolled: 2-line block ×3, first 2 shown]
	s_waitcnt lgkmcnt(3)
	v_fmac_f32_e32 v85, v11, v14
	s_waitcnt lgkmcnt(2)
	v_fmac_f32_e32 v85, v8, v6
	;; [unrolled: 2-line block ×3, first 2 shown]
	s_waitcnt vmcnt(0)
	v_mul_f32_e32 v3, v3, v4
	s_waitcnt lgkmcnt(0)
	v_fmac_f32_e32 v85, v3, v5
	v_mov_b32_e32 v86, v85
.LBB155_81:                             ;   in Loop: Header=BB155_53 Depth=1
	v_add_co_u32 v52, vcc_lo, v52, s12
	v_add_co_ci_u32_e64 v53, null, s13, v53, vcc_lo
	v_add_co_u32 v54, vcc_lo, v54, s12
	v_add_co_ci_u32_e64 v55, null, s13, v55, vcc_lo
	;; [unrolled: 2-line block ×27, first 2 shown]
	v_add_co_u32 v76, vcc_lo, v76, s12
	s_add_u32 s22, s22, s1
	v_add_co_ci_u32_e64 v77, null, s13, v77, vcc_lo
	v_add_co_u32 v78, vcc_lo, v78, s12
	s_addc_u32 s23, s23, 0
	v_add_co_ci_u32_e64 v79, null, s13, v79, vcc_lo
	v_add_co_u32 v80, vcc_lo, v80, s12
	v_cmp_ge_i64_e64 s7, s[22:23], s[8:9]
	v_add_co_ci_u32_e64 v81, null, s13, v81, vcc_lo
	v_add_co_u32 v82, vcc_lo, v82, s12
	v_add_co_ci_u32_e64 v83, null, s13, v83, vcc_lo
	s_add_u32 s14, s14, s1
	s_addc_u32 s15, 0, s15
	s_and_b32 vcc_lo, exec_lo, s7
	s_cbranch_vccnz .LBB155_83
; %bb.82:                               ;   in Loop: Header=BB155_53 Depth=1
	v_mov_b32_e32 v85, v86
	s_branch .LBB155_53
.LBB155_83:
	s_mov_b32 s7, 0
	s_lshl_b64 s[6:7], s[6:7], 5
	s_waitcnt lgkmcnt(0)
	s_cmp_lg_u64 s[2:3], 0
	v_or_b32_e32 v3, s6, v0
	v_mov_b32_e32 v4, s7
	s_cselect_b32 s1, -1, 0
	v_cmp_gt_i64_e32 vcc_lo, s[10:11], v[3:4]
	s_and_b32 s1, vcc_lo, s1
	s_and_saveexec_b32 s6, s1
	s_cbranch_execz .LBB155_85
; %bb.84:
	s_load_dword s1, s[4:5], 0x4c
	v_mov_b32_e32 v2, 0
	s_waitcnt lgkmcnt(0)
	s_lshr_b32 s1, s1, 16
	v_mad_u64_u32 v[0:1], null, s1, s0, v[1:2]
	v_mul_lo_u32 v2, v1, s10
	v_mul_lo_u32 v5, v0, s11
	v_mad_u64_u32 v[0:1], null, v0, s10, 0
	v_add3_u32 v1, v1, v5, v2
	v_lshlrev_b64 v[2:3], 2, v[3:4]
	v_lshlrev_b64 v[0:1], 2, v[0:1]
	v_add_co_u32 v0, vcc_lo, s2, v0
	v_add_co_ci_u32_e64 v1, null, s3, v1, vcc_lo
	v_add_co_u32 v0, vcc_lo, v0, v2
	v_add_co_ci_u32_e64 v1, null, v1, v3, vcc_lo
	global_store_dword v[0:1], v86, off
.LBB155_85:
	s_endpgm
	.section	.rodata,"a",@progbits
	.p2align	6, 0x0
	.amdhsa_kernel _ZN2at6native12_GLOBAL__N_135GammaBetaBackwardCUDAKernelTemplateIffLj32ELj1ELj8ELb1ELb0ELb1EEEvllPKT_S5_PKT0_S8_PS3_S9_
		.amdhsa_group_segment_fixed_size 0
		.amdhsa_private_segment_fixed_size 0
		.amdhsa_kernarg_size 320
		.amdhsa_user_sgpr_count 6
		.amdhsa_user_sgpr_private_segment_buffer 1
		.amdhsa_user_sgpr_dispatch_ptr 0
		.amdhsa_user_sgpr_queue_ptr 0
		.amdhsa_user_sgpr_kernarg_segment_ptr 1
		.amdhsa_user_sgpr_dispatch_id 0
		.amdhsa_user_sgpr_flat_scratch_init 0
		.amdhsa_user_sgpr_private_segment_size 0
		.amdhsa_wavefront_size32 1
		.amdhsa_uses_dynamic_stack 0
		.amdhsa_system_sgpr_private_segment_wavefront_offset 0
		.amdhsa_system_sgpr_workgroup_id_x 1
		.amdhsa_system_sgpr_workgroup_id_y 1
		.amdhsa_system_sgpr_workgroup_id_z 0
		.amdhsa_system_sgpr_workgroup_info 0
		.amdhsa_system_vgpr_workitem_id 1
		.amdhsa_next_free_vgpr 92
		.amdhsa_next_free_sgpr 30
		.amdhsa_reserve_vcc 1
		.amdhsa_reserve_flat_scratch 0
		.amdhsa_float_round_mode_32 0
		.amdhsa_float_round_mode_16_64 0
		.amdhsa_float_denorm_mode_32 3
		.amdhsa_float_denorm_mode_16_64 3
		.amdhsa_dx10_clamp 1
		.amdhsa_ieee_mode 1
		.amdhsa_fp16_overflow 0
		.amdhsa_workgroup_processor_mode 1
		.amdhsa_memory_ordered 1
		.amdhsa_forward_progress 1
		.amdhsa_shared_vgpr_count 0
		.amdhsa_exception_fp_ieee_invalid_op 0
		.amdhsa_exception_fp_denorm_src 0
		.amdhsa_exception_fp_ieee_div_zero 0
		.amdhsa_exception_fp_ieee_overflow 0
		.amdhsa_exception_fp_ieee_underflow 0
		.amdhsa_exception_fp_ieee_inexact 0
		.amdhsa_exception_int_div_zero 0
	.end_amdhsa_kernel
	.section	.text._ZN2at6native12_GLOBAL__N_135GammaBetaBackwardCUDAKernelTemplateIffLj32ELj1ELj8ELb1ELb0ELb1EEEvllPKT_S5_PKT0_S8_PS3_S9_,"axG",@progbits,_ZN2at6native12_GLOBAL__N_135GammaBetaBackwardCUDAKernelTemplateIffLj32ELj1ELj8ELb1ELb0ELb1EEEvllPKT_S5_PKT0_S8_PS3_S9_,comdat
.Lfunc_end155:
	.size	_ZN2at6native12_GLOBAL__N_135GammaBetaBackwardCUDAKernelTemplateIffLj32ELj1ELj8ELb1ELb0ELb1EEEvllPKT_S5_PKT0_S8_PS3_S9_, .Lfunc_end155-_ZN2at6native12_GLOBAL__N_135GammaBetaBackwardCUDAKernelTemplateIffLj32ELj1ELj8ELb1ELb0ELb1EEEvllPKT_S5_PKT0_S8_PS3_S9_
                                        ; -- End function
	.set _ZN2at6native12_GLOBAL__N_135GammaBetaBackwardCUDAKernelTemplateIffLj32ELj1ELj8ELb1ELb0ELb1EEEvllPKT_S5_PKT0_S8_PS3_S9_.num_vgpr, 92
	.set _ZN2at6native12_GLOBAL__N_135GammaBetaBackwardCUDAKernelTemplateIffLj32ELj1ELj8ELb1ELb0ELb1EEEvllPKT_S5_PKT0_S8_PS3_S9_.num_agpr, 0
	.set _ZN2at6native12_GLOBAL__N_135GammaBetaBackwardCUDAKernelTemplateIffLj32ELj1ELj8ELb1ELb0ELb1EEEvllPKT_S5_PKT0_S8_PS3_S9_.numbered_sgpr, 30
	.set _ZN2at6native12_GLOBAL__N_135GammaBetaBackwardCUDAKernelTemplateIffLj32ELj1ELj8ELb1ELb0ELb1EEEvllPKT_S5_PKT0_S8_PS3_S9_.num_named_barrier, 0
	.set _ZN2at6native12_GLOBAL__N_135GammaBetaBackwardCUDAKernelTemplateIffLj32ELj1ELj8ELb1ELb0ELb1EEEvllPKT_S5_PKT0_S8_PS3_S9_.private_seg_size, 0
	.set _ZN2at6native12_GLOBAL__N_135GammaBetaBackwardCUDAKernelTemplateIffLj32ELj1ELj8ELb1ELb0ELb1EEEvllPKT_S5_PKT0_S8_PS3_S9_.uses_vcc, 1
	.set _ZN2at6native12_GLOBAL__N_135GammaBetaBackwardCUDAKernelTemplateIffLj32ELj1ELj8ELb1ELb0ELb1EEEvllPKT_S5_PKT0_S8_PS3_S9_.uses_flat_scratch, 0
	.set _ZN2at6native12_GLOBAL__N_135GammaBetaBackwardCUDAKernelTemplateIffLj32ELj1ELj8ELb1ELb0ELb1EEEvllPKT_S5_PKT0_S8_PS3_S9_.has_dyn_sized_stack, 0
	.set _ZN2at6native12_GLOBAL__N_135GammaBetaBackwardCUDAKernelTemplateIffLj32ELj1ELj8ELb1ELb0ELb1EEEvllPKT_S5_PKT0_S8_PS3_S9_.has_recursion, 0
	.set _ZN2at6native12_GLOBAL__N_135GammaBetaBackwardCUDAKernelTemplateIffLj32ELj1ELj8ELb1ELb0ELb1EEEvllPKT_S5_PKT0_S8_PS3_S9_.has_indirect_call, 0
	.section	.AMDGPU.csdata,"",@progbits
; Kernel info:
; codeLenInByte = 7184
; TotalNumSgprs: 32
; NumVgprs: 92
; ScratchSize: 0
; MemoryBound: 0
; FloatMode: 240
; IeeeMode: 1
; LDSByteSize: 0 bytes/workgroup (compile time only)
; SGPRBlocks: 0
; VGPRBlocks: 11
; NumSGPRsForWavesPerEU: 32
; NumVGPRsForWavesPerEU: 92
; Occupancy: 10
; WaveLimiterHint : 0
; COMPUTE_PGM_RSRC2:SCRATCH_EN: 0
; COMPUTE_PGM_RSRC2:USER_SGPR: 6
; COMPUTE_PGM_RSRC2:TRAP_HANDLER: 0
; COMPUTE_PGM_RSRC2:TGID_X_EN: 1
; COMPUTE_PGM_RSRC2:TGID_Y_EN: 1
; COMPUTE_PGM_RSRC2:TGID_Z_EN: 0
; COMPUTE_PGM_RSRC2:TIDIG_COMP_CNT: 1
	.section	.text._ZN2at6native12_GLOBAL__N_135GammaBetaBackwardCUDAKernelTemplateIffLj32ELj8ELj64ELb0ELb1ELb1EEEvllPKT_S5_PKT0_S8_PS3_S9_,"axG",@progbits,_ZN2at6native12_GLOBAL__N_135GammaBetaBackwardCUDAKernelTemplateIffLj32ELj8ELj64ELb0ELb1ELb1EEEvllPKT_S5_PKT0_S8_PS3_S9_,comdat
	.globl	_ZN2at6native12_GLOBAL__N_135GammaBetaBackwardCUDAKernelTemplateIffLj32ELj8ELj64ELb0ELb1ELb1EEEvllPKT_S5_PKT0_S8_PS3_S9_ ; -- Begin function _ZN2at6native12_GLOBAL__N_135GammaBetaBackwardCUDAKernelTemplateIffLj32ELj8ELj64ELb0ELb1ELb1EEEvllPKT_S5_PKT0_S8_PS3_S9_
	.p2align	8
	.type	_ZN2at6native12_GLOBAL__N_135GammaBetaBackwardCUDAKernelTemplateIffLj32ELj8ELj64ELb0ELb1ELb1EEEvllPKT_S5_PKT0_S8_PS3_S9_,@function
_ZN2at6native12_GLOBAL__N_135GammaBetaBackwardCUDAKernelTemplateIffLj32ELj8ELj64ELb0ELb1ELb1EEEvllPKT_S5_PKT0_S8_PS3_S9_: ; @_ZN2at6native12_GLOBAL__N_135GammaBetaBackwardCUDAKernelTemplateIffLj32ELj8ELj64ELb0ELb1ELb1EEEvllPKT_S5_PKT0_S8_PS3_S9_
; %bb.0:
	s_load_dwordx4 s[8:11], s[4:5], 0x0
	s_lshl_b32 s16, s7, 6
	s_mov_b32 s17, 0
	s_waitcnt lgkmcnt(0)
	v_cmp_gt_i64_e64 s0, s[8:9], s[16:17]
	s_and_b32 vcc_lo, exec_lo, s0
	s_cbranch_vccnz .LBB156_2
; %bb.1:
	s_mov_b32 s0, s17
	s_load_dwordx2 s[2:3], s[4:5], 0x30
	v_mov_b32_e32 v2, 0
	s_andn2_b32 vcc_lo, exec_lo, s0
	s_cbranch_vccz .LBB156_3
	s_branch .LBB156_9
.LBB156_2:
	s_load_dwordx2 s[2:3], s[4:5], 0x30
	v_mov_b32_e32 v2, 0
.LBB156_3:
	s_clause 0x3
	s_load_dword s0, s[4:5], 0x4c
	s_load_dword s1, s[4:5], 0x44
	s_load_dwordx4 s[12:15], s[4:5], 0x10
	s_load_dwordx2 s[18:19], s[4:5], 0x28
	v_lshlrev_b32_e32 v4, 3, v1
	v_mov_b32_e32 v3, 0
	v_lshl_add_u32 v2, s6, 5, v0
	v_mov_b32_e32 v8, 8
	v_mov_b32_e32 v9, 4
	v_add_co_u32 v4, s4, v4, s16
	v_add_co_ci_u32_e64 v5, null, 0, 0, s4
	v_lshlrev_b64 v[15:16], 2, v[2:3]
	v_mul_lo_u32 v17, s11, v4
	v_mov_b32_e32 v10, 12
	v_mul_lo_u32 v18, s10, v5
	v_mov_b32_e32 v11, 16
	v_mov_b32_e32 v12, 20
	;; [unrolled: 1-line block ×3, first 2 shown]
	s_waitcnt lgkmcnt(0)
	s_and_b32 s0, s0, 0xffff
	s_lshl_b32 s4, s1, 6
	v_mad_u32_u24 v6, v1, s0, v0
	s_mul_i32 s1, s11, s4
	s_mul_hi_u32 s7, s10, s4
	v_mov_b32_e32 v14, 28
	v_mov_b32_e32 v2, 0
	v_and_b32_e32 v21, 31, v6
	v_mad_u64_u32 v[6:7], null, s10, v4, 0
	s_mov_b32 s5, 0
	s_add_i32 s21, s7, s1
	v_add_co_u32 v4, vcc_lo, v4, v21
	v_add_co_ci_u32_e64 v5, null, 0, v5, vcc_lo
	v_add3_u32 v7, v7, v18, v17
	v_cmp_gt_u32_e64 s0, 8, v21
	s_mul_i32 s20, s10, s4
	v_lshlrev_b64 v[17:18], 2, v[4:5]
	s_lshl_b64 s[20:21], s[20:21], 2
	v_lshlrev_b64 v[19:20], 2, v[6:7]
	s_lshl_b64 s[10:11], s[10:11], 2
	v_add_co_u32 v6, vcc_lo, s18, v17
	v_add_co_ci_u32_e64 v7, null, s19, v18, vcc_lo
	v_add_co_u32 v15, vcc_lo, v19, v15
	v_add_co_ci_u32_e64 v16, null, v20, v16, vcc_lo
	s_lshl_b64 s[18:19], s[4:5], 2
	s_branch .LBB156_6
.LBB156_4:                              ;   in Loop: Header=BB156_6 Depth=1
	s_or_b32 exec_lo, exec_lo, s5
.LBB156_5:                              ;   in Loop: Header=BB156_6 Depth=1
	s_or_b32 exec_lo, exec_lo, s1
	v_add_co_u32 v18, vcc_lo, s12, v15
	v_add_co_ci_u32_e64 v19, null, s13, v16, vcc_lo
	v_add_co_u32 v20, vcc_lo, s14, v15
	v_add_co_ci_u32_e64 v21, null, s15, v16, vcc_lo
	;; [unrolled: 2-line block ×5, first 2 shown]
	global_load_dword v28, v[18:19], off
	global_load_dword v29, v[20:21], off
	;; [unrolled: 1-line block ×5, first 2 shown]
	v_add_co_u32 v18, vcc_lo, v24, s10
	v_add_co_ci_u32_e64 v19, null, s11, v25, vcc_lo
	v_add_co_u32 v20, vcc_lo, v26, s10
	v_add_co_ci_u32_e64 v21, null, s11, v27, vcc_lo
	;; [unrolled: 2-line block ×5, first 2 shown]
	global_load_dword v33, v[18:19], off
	global_load_dword v34, v[20:21], off
	;; [unrolled: 1-line block ×5, first 2 shown]
	v_add_co_u32 v18, vcc_lo, v24, s10
	v_add_co_ci_u32_e64 v19, null, s11, v25, vcc_lo
	v_add_co_u32 v20, vcc_lo, v26, s10
	v_add_co_ci_u32_e64 v21, null, s11, v27, vcc_lo
	;; [unrolled: 2-line block ×4, first 2 shown]
	global_load_dword v26, v[18:19], off
	global_load_dword v27, v[20:21], off
	;; [unrolled: 1-line block ×4, first 2 shown]
	v_add_co_u32 v18, vcc_lo, v22, s10
	v_add_co_ci_u32_e64 v19, null, s11, v23, vcc_lo
	v_add_co_u32 v20, vcc_lo, v24, s10
	v_add_co_ci_u32_e64 v21, null, s11, v25, vcc_lo
	global_load_dword v18, v[18:19], off
	global_load_dword v19, v[20:21], off
	s_waitcnt vmcnt(16)
	ds_bpermute_b32 v20, v3, v17
	ds_bpermute_b32 v21, v9, v17
	;; [unrolled: 1-line block ×4, first 2 shown]
	s_add_u32 s16, s16, s4
	v_add_co_u32 v6, vcc_lo, v6, s18
	s_addc_u32 s17, s17, 0
	v_add_co_ci_u32_e64 v7, null, s19, v7, vcc_lo
	v_add_co_u32 v4, vcc_lo, v4, s4
	v_cmp_lt_i64_e64 s1, s[16:17], s[8:9]
	v_add_co_ci_u32_e64 v5, null, 0, v5, vcc_lo
	v_add_co_u32 v15, vcc_lo, v15, s20
	v_add_co_ci_u32_e64 v16, null, s21, v16, vcc_lo
	s_and_b32 vcc_lo, exec_lo, s1
	s_waitcnt vmcnt(14)
	v_mul_f32_e32 v23, v28, v29
	s_waitcnt lgkmcnt(3)
	v_fmac_f32_e32 v2, v23, v20
	s_waitcnt vmcnt(12)
	v_mul_f32_e32 v20, v30, v31
	ds_bpermute_b32 v23, v11, v17
	s_waitcnt lgkmcnt(3)
	v_fmac_f32_e32 v2, v20, v21
	ds_bpermute_b32 v21, v12, v17
	s_waitcnt vmcnt(10)
	v_mul_f32_e32 v20, v32, v33
	s_waitcnt lgkmcnt(3)
	v_fmac_f32_e32 v2, v20, v22
	s_waitcnt vmcnt(8)
	v_mul_f32_e32 v20, v34, v35
	ds_bpermute_b32 v22, v13, v17
	ds_bpermute_b32 v17, v14, v17
	s_waitcnt lgkmcnt(4)
	v_fmac_f32_e32 v2, v20, v24
	s_waitcnt vmcnt(6)
	v_mul_f32_e32 v20, v36, v37
	s_waitcnt lgkmcnt(3)
	v_fmac_f32_e32 v2, v20, v23
	s_waitcnt vmcnt(4)
	v_mul_f32_e32 v20, v26, v27
	;; [unrolled: 4-line block ×4, first 2 shown]
	s_waitcnt lgkmcnt(0)
	v_fmac_f32_e32 v2, v18, v17
	s_cbranch_vccz .LBB156_9
.LBB156_6:                              ; =>This Inner Loop Header: Depth=1
	v_mov_b32_e32 v17, 0
	s_and_saveexec_b32 s1, s0
	s_cbranch_execz .LBB156_5
; %bb.7:                                ;   in Loop: Header=BB156_6 Depth=1
	v_mov_b32_e32 v17, 0
	s_mov_b32 s5, exec_lo
	v_cmpx_gt_i64_e64 s[8:9], v[4:5]
	s_cbranch_execz .LBB156_4
; %bb.8:                                ;   in Loop: Header=BB156_6 Depth=1
	global_load_dword v17, v[6:7], off
	s_branch .LBB156_4
.LBB156_9:
	v_mad_u32_u24 v3, v1, 33, v0
	v_lshrrev_b32_e32 v4, 5, v0
	s_mov_b32 s0, exec_lo
	v_lshl_add_u32 v3, v3, 2, 0
	v_add_nc_u32_e32 v1, v4, v1
	v_mov_b32_e32 v4, 0
	ds_write_b32 v3, v2
	ds_write_b32 v3, v4 offset:1056
	s_waitcnt lgkmcnt(0)
	s_barrier
	buffer_gl0_inv
	v_cmpx_gt_u32_e32 32, v1
	s_cbranch_execz .LBB156_29
; %bb.10:
	v_and_b32_e32 v2, 31, v0
	v_cmp_gt_u32_e32 vcc_lo, 8, v2
	v_mul_u32_u24_e32 v3, 33, v2
                                        ; implicit-def: $vgpr2
	s_and_saveexec_b32 s0, vcc_lo
	s_cbranch_execz .LBB156_12
; %bb.11:
	v_lshlrev_b32_e32 v2, 2, v1
	v_lshlrev_b32_e32 v4, 2, v3
	v_add3_u32 v2, 0, v2, v4
	ds_read_b32 v2, v2
.LBB156_12:
	s_or_b32 exec_lo, exec_lo, s0
	v_mbcnt_lo_u32_b32 v6, -1, 0
	s_cmp_lg_u64 s[2:3], 0
	s_mov_b32 s7, 0
	s_cselect_b32 s1, -1, 0
	s_lshl_b64 s[6:7], s[6:7], 7
	v_xor_b32_e32 v4, 4, v6
	v_xor_b32_e32 v5, 2, v6
	;; [unrolled: 1-line block ×3, first 2 shown]
	v_cmp_gt_i32_e64 s0, 32, v4
	v_cndmask_b32_e64 v4, v6, v4, s0
	v_cmp_gt_i32_e64 s0, 32, v5
	v_lshlrev_b32_e32 v4, 2, v4
	v_cndmask_b32_e64 v5, v6, v5, s0
	v_cmp_gt_i32_e64 s0, 32, v8
	s_waitcnt lgkmcnt(0)
	ds_bpermute_b32 v7, v4, v2
	v_lshlrev_b32_e32 v5, 2, v5
	v_cndmask_b32_e64 v6, v6, v8, s0
	v_cmp_eq_u32_e64 s0, 0, v0
	v_lshlrev_b32_e32 v6, 2, v6
	s_and_b32 s4, s0, s1
	s_add_u32 s1, s2, s6
	s_addc_u32 s2, s3, s7
	s_waitcnt lgkmcnt(0)
	v_add_f32_e32 v2, v2, v7
	ds_bpermute_b32 v7, v5, v2
	s_waitcnt lgkmcnt(0)
	v_add_f32_e32 v2, v2, v7
	ds_bpermute_b32 v7, v6, v2
	s_waitcnt lgkmcnt(0)
	v_add_f32_e32 v0, v2, v7
	s_and_saveexec_b32 s3, s4
	s_cbranch_execz .LBB156_14
; %bb.13:
	v_mov_b32_e32 v2, 0
	v_lshlrev_b64 v[7:8], 2, v[1:2]
	v_add_co_u32 v7, s0, s1, v7
	v_add_co_ci_u32_e64 v8, null, s2, v8, s0
	global_store_dword v[7:8], v0, off
.LBB156_14:
	s_or_b32 exec_lo, exec_lo, s3
	v_cmp_gt_u32_e64 s0, 24, v1
	s_and_b32 exec_lo, exec_lo, s0
	s_cbranch_execz .LBB156_29
; %bb.15:
	s_and_saveexec_b32 s0, vcc_lo
	s_cbranch_execz .LBB156_17
; %bb.16:
	v_lshlrev_b32_e32 v0, 2, v1
	v_lshlrev_b32_e32 v2, 2, v3
	v_add3_u32 v0, 0, v0, v2
	ds_read_b32 v0, v0 offset:32
.LBB156_17:
	s_or_b32 exec_lo, exec_lo, s0
	s_waitcnt lgkmcnt(0)
	ds_bpermute_b32 v2, v4, v0
	s_waitcnt lgkmcnt(0)
	v_add_f32_e32 v0, v0, v2
	ds_bpermute_b32 v2, v5, v0
	s_waitcnt lgkmcnt(0)
	v_add_f32_e32 v0, v0, v2
	;; [unrolled: 3-line block ×3, first 2 shown]
	s_and_saveexec_b32 s3, s4
	s_cbranch_execz .LBB156_19
; %bb.18:
	v_mov_b32_e32 v2, 0
	v_lshlrev_b64 v[7:8], 2, v[1:2]
	v_add_co_u32 v7, s0, s1, v7
	v_add_co_ci_u32_e64 v8, null, s2, v8, s0
	global_store_dword v[7:8], v0, off offset:32
.LBB156_19:
	s_or_b32 exec_lo, exec_lo, s3
	v_cmp_gt_u32_e64 s0, 16, v1
	s_and_b32 exec_lo, exec_lo, s0
	s_cbranch_execz .LBB156_29
; %bb.20:
	s_and_saveexec_b32 s0, vcc_lo
	s_cbranch_execz .LBB156_22
; %bb.21:
	v_lshlrev_b32_e32 v0, 2, v1
	v_lshlrev_b32_e32 v2, 2, v3
	v_add3_u32 v0, 0, v0, v2
	ds_read_b32 v0, v0 offset:64
.LBB156_22:
	s_or_b32 exec_lo, exec_lo, s0
	s_waitcnt lgkmcnt(0)
	ds_bpermute_b32 v2, v4, v0
	s_waitcnt lgkmcnt(0)
	v_add_f32_e32 v0, v0, v2
	ds_bpermute_b32 v2, v5, v0
	s_waitcnt lgkmcnt(0)
	v_add_f32_e32 v0, v0, v2
	;; [unrolled: 3-line block ×3, first 2 shown]
	s_and_saveexec_b32 s3, s4
	s_cbranch_execz .LBB156_24
; %bb.23:
	v_mov_b32_e32 v2, 0
	v_lshlrev_b64 v[7:8], 2, v[1:2]
	v_add_co_u32 v7, s0, s1, v7
	v_add_co_ci_u32_e64 v8, null, s2, v8, s0
	global_store_dword v[7:8], v0, off offset:64
.LBB156_24:
	s_or_b32 exec_lo, exec_lo, s3
	v_cmp_gt_u32_e64 s0, 8, v1
	s_and_b32 exec_lo, exec_lo, s0
	s_cbranch_execz .LBB156_29
; %bb.25:
	s_and_saveexec_b32 s0, vcc_lo
	s_cbranch_execz .LBB156_27
; %bb.26:
	v_lshlrev_b32_e32 v0, 2, v1
	v_lshlrev_b32_e32 v2, 2, v3
	v_add3_u32 v0, 0, v0, v2
	ds_read_b32 v0, v0 offset:96
.LBB156_27:
	s_or_b32 exec_lo, exec_lo, s0
	s_waitcnt lgkmcnt(0)
	ds_bpermute_b32 v2, v4, v0
	s_waitcnt lgkmcnt(0)
	v_add_f32_e32 v0, v0, v2
	ds_bpermute_b32 v2, v5, v0
	s_waitcnt lgkmcnt(0)
	v_add_f32_e32 v0, v0, v2
	ds_bpermute_b32 v3, v6, v0
	s_and_saveexec_b32 s0, s4
	s_xor_b32 s0, exec_lo, s0
	s_cbranch_execz .LBB156_29
; %bb.28:
	v_mov_b32_e32 v2, 0
	s_waitcnt lgkmcnt(0)
	v_add_f32_e32 v3, v0, v3
	v_lshlrev_b64 v[1:2], 2, v[1:2]
	v_add_co_u32 v0, vcc_lo, s1, v1
	v_add_co_ci_u32_e64 v1, null, s2, v2, vcc_lo
	global_store_dword v[0:1], v3, off offset:96
.LBB156_29:
	s_endpgm
	.section	.rodata,"a",@progbits
	.p2align	6, 0x0
	.amdhsa_kernel _ZN2at6native12_GLOBAL__N_135GammaBetaBackwardCUDAKernelTemplateIffLj32ELj8ELj64ELb0ELb1ELb1EEEvllPKT_S5_PKT0_S8_PS3_S9_
		.amdhsa_group_segment_fixed_size 0
		.amdhsa_private_segment_fixed_size 0
		.amdhsa_kernarg_size 320
		.amdhsa_user_sgpr_count 6
		.amdhsa_user_sgpr_private_segment_buffer 1
		.amdhsa_user_sgpr_dispatch_ptr 0
		.amdhsa_user_sgpr_queue_ptr 0
		.amdhsa_user_sgpr_kernarg_segment_ptr 1
		.amdhsa_user_sgpr_dispatch_id 0
		.amdhsa_user_sgpr_flat_scratch_init 0
		.amdhsa_user_sgpr_private_segment_size 0
		.amdhsa_wavefront_size32 1
		.amdhsa_uses_dynamic_stack 0
		.amdhsa_system_sgpr_private_segment_wavefront_offset 0
		.amdhsa_system_sgpr_workgroup_id_x 1
		.amdhsa_system_sgpr_workgroup_id_y 1
		.amdhsa_system_sgpr_workgroup_id_z 0
		.amdhsa_system_sgpr_workgroup_info 0
		.amdhsa_system_vgpr_workitem_id 1
		.amdhsa_next_free_vgpr 40
		.amdhsa_next_free_sgpr 22
		.amdhsa_reserve_vcc 1
		.amdhsa_reserve_flat_scratch 0
		.amdhsa_float_round_mode_32 0
		.amdhsa_float_round_mode_16_64 0
		.amdhsa_float_denorm_mode_32 3
		.amdhsa_float_denorm_mode_16_64 3
		.amdhsa_dx10_clamp 1
		.amdhsa_ieee_mode 1
		.amdhsa_fp16_overflow 0
		.amdhsa_workgroup_processor_mode 1
		.amdhsa_memory_ordered 1
		.amdhsa_forward_progress 1
		.amdhsa_shared_vgpr_count 0
		.amdhsa_exception_fp_ieee_invalid_op 0
		.amdhsa_exception_fp_denorm_src 0
		.amdhsa_exception_fp_ieee_div_zero 0
		.amdhsa_exception_fp_ieee_overflow 0
		.amdhsa_exception_fp_ieee_underflow 0
		.amdhsa_exception_fp_ieee_inexact 0
		.amdhsa_exception_int_div_zero 0
	.end_amdhsa_kernel
	.section	.text._ZN2at6native12_GLOBAL__N_135GammaBetaBackwardCUDAKernelTemplateIffLj32ELj8ELj64ELb0ELb1ELb1EEEvllPKT_S5_PKT0_S8_PS3_S9_,"axG",@progbits,_ZN2at6native12_GLOBAL__N_135GammaBetaBackwardCUDAKernelTemplateIffLj32ELj8ELj64ELb0ELb1ELb1EEEvllPKT_S5_PKT0_S8_PS3_S9_,comdat
.Lfunc_end156:
	.size	_ZN2at6native12_GLOBAL__N_135GammaBetaBackwardCUDAKernelTemplateIffLj32ELj8ELj64ELb0ELb1ELb1EEEvllPKT_S5_PKT0_S8_PS3_S9_, .Lfunc_end156-_ZN2at6native12_GLOBAL__N_135GammaBetaBackwardCUDAKernelTemplateIffLj32ELj8ELj64ELb0ELb1ELb1EEEvllPKT_S5_PKT0_S8_PS3_S9_
                                        ; -- End function
	.set _ZN2at6native12_GLOBAL__N_135GammaBetaBackwardCUDAKernelTemplateIffLj32ELj8ELj64ELb0ELb1ELb1EEEvllPKT_S5_PKT0_S8_PS3_S9_.num_vgpr, 40
	.set _ZN2at6native12_GLOBAL__N_135GammaBetaBackwardCUDAKernelTemplateIffLj32ELj8ELj64ELb0ELb1ELb1EEEvllPKT_S5_PKT0_S8_PS3_S9_.num_agpr, 0
	.set _ZN2at6native12_GLOBAL__N_135GammaBetaBackwardCUDAKernelTemplateIffLj32ELj8ELj64ELb0ELb1ELb1EEEvllPKT_S5_PKT0_S8_PS3_S9_.numbered_sgpr, 22
	.set _ZN2at6native12_GLOBAL__N_135GammaBetaBackwardCUDAKernelTemplateIffLj32ELj8ELj64ELb0ELb1ELb1EEEvllPKT_S5_PKT0_S8_PS3_S9_.num_named_barrier, 0
	.set _ZN2at6native12_GLOBAL__N_135GammaBetaBackwardCUDAKernelTemplateIffLj32ELj8ELj64ELb0ELb1ELb1EEEvllPKT_S5_PKT0_S8_PS3_S9_.private_seg_size, 0
	.set _ZN2at6native12_GLOBAL__N_135GammaBetaBackwardCUDAKernelTemplateIffLj32ELj8ELj64ELb0ELb1ELb1EEEvllPKT_S5_PKT0_S8_PS3_S9_.uses_vcc, 1
	.set _ZN2at6native12_GLOBAL__N_135GammaBetaBackwardCUDAKernelTemplateIffLj32ELj8ELj64ELb0ELb1ELb1EEEvllPKT_S5_PKT0_S8_PS3_S9_.uses_flat_scratch, 0
	.set _ZN2at6native12_GLOBAL__N_135GammaBetaBackwardCUDAKernelTemplateIffLj32ELj8ELj64ELb0ELb1ELb1EEEvllPKT_S5_PKT0_S8_PS3_S9_.has_dyn_sized_stack, 0
	.set _ZN2at6native12_GLOBAL__N_135GammaBetaBackwardCUDAKernelTemplateIffLj32ELj8ELj64ELb0ELb1ELb1EEEvllPKT_S5_PKT0_S8_PS3_S9_.has_recursion, 0
	.set _ZN2at6native12_GLOBAL__N_135GammaBetaBackwardCUDAKernelTemplateIffLj32ELj8ELj64ELb0ELb1ELb1EEEvllPKT_S5_PKT0_S8_PS3_S9_.has_indirect_call, 0
	.section	.AMDGPU.csdata,"",@progbits
; Kernel info:
; codeLenInByte = 1852
; TotalNumSgprs: 24
; NumVgprs: 40
; ScratchSize: 0
; MemoryBound: 0
; FloatMode: 240
; IeeeMode: 1
; LDSByteSize: 0 bytes/workgroup (compile time only)
; SGPRBlocks: 0
; VGPRBlocks: 4
; NumSGPRsForWavesPerEU: 24
; NumVGPRsForWavesPerEU: 40
; Occupancy: 16
; WaveLimiterHint : 0
; COMPUTE_PGM_RSRC2:SCRATCH_EN: 0
; COMPUTE_PGM_RSRC2:USER_SGPR: 6
; COMPUTE_PGM_RSRC2:TRAP_HANDLER: 0
; COMPUTE_PGM_RSRC2:TGID_X_EN: 1
; COMPUTE_PGM_RSRC2:TGID_Y_EN: 1
; COMPUTE_PGM_RSRC2:TGID_Z_EN: 0
; COMPUTE_PGM_RSRC2:TIDIG_COMP_CNT: 1
	.section	.text._ZN2at6native12_GLOBAL__N_135GammaBetaBackwardCUDAKernelTemplateIffLj32ELj8ELj64ELb0ELb0ELb1EEEvllPKT_S5_PKT0_S8_PS3_S9_,"axG",@progbits,_ZN2at6native12_GLOBAL__N_135GammaBetaBackwardCUDAKernelTemplateIffLj32ELj8ELj64ELb0ELb0ELb1EEEvllPKT_S5_PKT0_S8_PS3_S9_,comdat
	.globl	_ZN2at6native12_GLOBAL__N_135GammaBetaBackwardCUDAKernelTemplateIffLj32ELj8ELj64ELb0ELb0ELb1EEEvllPKT_S5_PKT0_S8_PS3_S9_ ; -- Begin function _ZN2at6native12_GLOBAL__N_135GammaBetaBackwardCUDAKernelTemplateIffLj32ELj8ELj64ELb0ELb0ELb1EEEvllPKT_S5_PKT0_S8_PS3_S9_
	.p2align	8
	.type	_ZN2at6native12_GLOBAL__N_135GammaBetaBackwardCUDAKernelTemplateIffLj32ELj8ELj64ELb0ELb0ELb1EEEvllPKT_S5_PKT0_S8_PS3_S9_,@function
_ZN2at6native12_GLOBAL__N_135GammaBetaBackwardCUDAKernelTemplateIffLj32ELj8ELj64ELb0ELb0ELb1EEEvllPKT_S5_PKT0_S8_PS3_S9_: ; @_ZN2at6native12_GLOBAL__N_135GammaBetaBackwardCUDAKernelTemplateIffLj32ELj8ELj64ELb0ELb0ELb1EEEvllPKT_S5_PKT0_S8_PS3_S9_
; %bb.0:
	s_clause 0x1
	s_load_dwordx8 s[8:15], s[4:5], 0x0
	s_load_dwordx2 s[2:3], s[4:5], 0x28
	s_lshl_b32 s26, s6, 5
	s_mov_b32 s17, 0
	s_or_b32 s16, s26, 31
	s_waitcnt lgkmcnt(0)
	v_cmp_le_i64_e64 s0, s[10:11], s[16:17]
	s_lshl_b32 s16, s7, 6
	v_cmp_gt_i64_e64 s7, s[8:9], s[16:17]
	s_and_b32 vcc_lo, exec_lo, s0
	v_cndmask_b32_e64 v2, 0, 1, s7
	v_cmp_ne_u32_e64 s0, 1, v2
	s_cbranch_vccz .LBB157_49
; %bb.1:
	v_mov_b32_e32 v83, 0
	s_and_b32 vcc_lo, exec_lo, s0
	s_cbranch_vccnz .LBB157_50
; %bb.2:
	v_lshlrev_b32_e32 v21, 3, v1
	v_mov_b32_e32 v2, 0
	v_add_nc_u32_e32 v5, s26, v0
	s_load_dword s1, s[4:5], 0x44
	s_add_u32 s18, s4, 64
	v_add_co_u32 v11, s0, v21, s16
	v_add_co_ci_u32_e64 v12, null, 0, 0, s0
	v_mov_b32_e32 v6, v2
	v_mul_lo_u32 v7, s11, v11
	v_mad_u64_u32 v[3:4], null, s10, v11, 0
	v_mul_lo_u32 v8, s10, v12
	v_cmp_gt_i64_e64 s0, s[10:11], v[5:6]
	v_lshlrev_b64 v[19:20], 2, v[5:6]
	s_addc_u32 s19, s5, 0
	v_mov_b32_e32 v54, 0
	s_mov_b64 s[24:25], s[16:17]
	v_add3_u32 v4, v4, v8, v7
	v_add_co_u32 v7, vcc_lo, v11, 7
	v_add_co_ci_u32_e64 v8, null, 0, v12, vcc_lo
	v_lshlrev_b64 v[5:6], 2, v[3:4]
	v_mul_lo_u32 v13, s11, v7
	s_waitcnt lgkmcnt(0)
	s_lshl_b32 s27, s1, 6
	v_mul_lo_u32 v14, s10, v8
	v_mad_u64_u32 v[7:8], null, s10, v7, 0
	v_add_co_u32 v22, vcc_lo, s12, v5
	v_add_co_ci_u32_e64 v23, null, s13, v6, vcc_lo
	v_add_co_u32 v9, vcc_lo, v11, 6
	v_add_co_ci_u32_e64 v10, null, 0, v12, vcc_lo
	v_add_co_u32 v24, vcc_lo, s14, v5
	v_mul_lo_u32 v15, s11, v9
	v_mul_lo_u32 v16, s10, v10
	v_mad_u64_u32 v[9:10], null, s10, v9, 0
	v_add3_u32 v8, v8, v14, v13
	v_add_co_ci_u32_e64 v25, null, s15, v6, vcc_lo
	v_add_co_u32 v13, vcc_lo, v11, 5
	v_add_co_ci_u32_e64 v14, null, 0, v12, vcc_lo
	v_add3_u32 v10, v10, v16, v15
	v_lshlrev_b64 v[5:6], 2, v[7:8]
	v_mul_lo_u32 v15, s11, v13
	v_mul_lo_u32 v14, s10, v14
	s_mul_i32 s1, s11, s27
	v_lshlrev_b64 v[7:8], 2, v[9:10]
	v_mad_u64_u32 v[9:10], null, s10, v13, 0
	v_add_co_u32 v26, vcc_lo, s12, v5
	v_add_co_ci_u32_e64 v27, null, s13, v6, vcc_lo
	v_add_co_u32 v28, vcc_lo, s14, v5
	v_add_co_ci_u32_e64 v29, null, s15, v6, vcc_lo
	v_add_co_u32 v30, vcc_lo, s12, v7
	v_add3_u32 v10, v10, v14, v15
	s_mul_hi_u32 s20, s10, s27
	v_add_co_ci_u32_e64 v31, null, s13, v8, vcc_lo
	v_add_co_u32 v13, vcc_lo, v11, 4
	s_add_i32 s21, s20, s1
	v_add_co_u32 v32, s1, s14, v7
	v_add_co_ci_u32_e64 v7, null, 0, v12, vcc_lo
	v_lshlrev_b64 v[5:6], 2, v[9:10]
	v_add_co_u32 v9, vcc_lo, v11, 3
	v_add_co_ci_u32_e64 v10, null, 0, v12, vcc_lo
	v_add_co_ci_u32_e64 v33, null, s15, v8, s1
	v_mul_lo_u32 v14, s11, v13
	v_mul_lo_u32 v15, s10, v7
	v_mad_u64_u32 v[7:8], null, s10, v13, 0
	v_mul_lo_u32 v13, s11, v9
	v_mul_lo_u32 v16, s10, v10
	v_mad_u64_u32 v[9:10], null, s10, v9, 0
	v_add_co_u32 v34, vcc_lo, s12, v5
	v_add_co_ci_u32_e64 v35, null, s13, v6, vcc_lo
	v_add3_u32 v8, v8, v15, v14
	v_add_co_u32 v36, vcc_lo, s14, v5
	v_add_co_ci_u32_e64 v37, null, s15, v6, vcc_lo
	v_add_co_u32 v11, vcc_lo, v11, 2
	v_add3_u32 v10, v10, v16, v13
	v_add_co_ci_u32_e64 v12, null, 0, v12, vcc_lo
	v_lshlrev_b64 v[5:6], 2, v[7:8]
	v_mul_lo_u32 v13, s11, v11
	v_lshlrev_b64 v[7:8], 2, v[9:10]
	v_mul_lo_u32 v12, s10, v12
	v_mad_u64_u32 v[9:10], null, s10, v11, 0
	v_add_co_u32 v38, vcc_lo, s12, v5
	v_add_co_ci_u32_e64 v39, null, s13, v6, vcc_lo
	v_add_co_u32 v40, vcc_lo, s14, v5
	v_add_co_ci_u32_e64 v41, null, s15, v6, vcc_lo
	;; [unrolled: 2-line block ×3, first 2 shown]
	v_add3_u32 v10, v10, v12, v13
	v_add_co_u32 v44, vcc_lo, s14, v7
	v_add_co_ci_u32_e64 v45, null, s15, v8, vcc_lo
	v_add_co_u32 v3, vcc_lo, v3, s10
	v_add_co_ci_u32_e64 v4, null, s11, v4, vcc_lo
	v_lshlrev_b64 v[5:6], 2, v[9:10]
	s_mul_i32 s20, s10, s27
	v_lshlrev_b64 v[3:4], 2, v[3:4]
	s_lshl_b64 s[20:21], s[20:21], 2
	s_add_u32 s22, s16, 63
	v_add_co_u32 v46, vcc_lo, s12, v5
	v_add_co_ci_u32_e64 v47, null, s13, v6, vcc_lo
	v_add_co_u32 v48, vcc_lo, s14, v5
	v_add_co_ci_u32_e64 v49, null, s15, v6, vcc_lo
	;; [unrolled: 2-line block ×4, first 2 shown]
	s_addc_u32 s23, 0, 0
.LBB157_3:                              ; =>This Inner Loop Header: Depth=1
	v_cmp_ge_i64_e64 s1, s[22:23], s[8:9]
	v_add_co_u32 v55, s28, v21, s22
	v_add_co_ci_u32_e64 v56, null, 0, s23, s28
                                        ; implicit-def: $vgpr3_vgpr4_vgpr5_vgpr6_vgpr7_vgpr8_vgpr9_vgpr10
                                        ; implicit-def: $vgpr83
                                        ; implicit-def: $vgpr11_vgpr12_vgpr13_vgpr14_vgpr15_vgpr16_vgpr17_vgpr18
                                        ; implicit-def: $vgpr3
	s_and_b32 vcc_lo, exec_lo, s1
	s_mov_b32 s1, -1
	s_cbranch_vccz .LBB157_25
; %bb.4:                                ;   in Loop: Header=BB157_3 Depth=1
	s_load_dword s1, s[18:19], 0xc
	v_mov_b32_e32 v57, 0
	s_waitcnt lgkmcnt(0)
	s_and_b32 s1, s1, 0xffff
	v_mad_u32_u24 v3, v1, s1, v0
	s_mov_b32 s1, exec_lo
	v_and_b32_e32 v3, 31, v3
	v_cmpx_gt_u32_e32 8, v3
	s_cbranch_execz .LBB157_8
; %bb.5:                                ;   in Loop: Header=BB157_3 Depth=1
	v_add_co_u32 v3, vcc_lo, v55, v3
	v_add_co_ci_u32_e64 v4, null, 0, v56, vcc_lo
	v_mov_b32_e32 v57, 0
	v_add_co_u32 v3, vcc_lo, 0xffffffc1, v3
	v_add_co_ci_u32_e64 v4, null, -1, v4, vcc_lo
	s_mov_b32 s28, exec_lo
	v_cmpx_gt_i64_e64 s[8:9], v[3:4]
	s_cbranch_execz .LBB157_7
; %bb.6:                                ;   in Loop: Header=BB157_3 Depth=1
	v_lshlrev_b64 v[3:4], 2, v[3:4]
	v_add_co_u32 v3, vcc_lo, s2, v3
	v_add_co_ci_u32_e64 v4, null, s3, v4, vcc_lo
	global_load_dword v57, v[3:4], off
.LBB157_7:                              ;   in Loop: Header=BB157_3 Depth=1
	s_or_b32 exec_lo, exec_lo, s28
.LBB157_8:                              ;   in Loop: Header=BB157_3 Depth=1
	s_or_b32 exec_lo, exec_lo, s1
	v_add_co_u32 v10, vcc_lo, 0xffffffc1, v55
	v_add_co_ci_u32_e64 v11, null, -1, v56, vcc_lo
	v_mov_b32_e32 v9, v2
	v_mov_b32_e32 v3, v2
	v_mov_b32_e32 v4, v2
	v_mov_b32_e32 v5, v2
	v_mov_b32_e32 v6, v2
	v_mov_b32_e32 v7, v2
	v_mov_b32_e32 v8, v2
	v_cmp_gt_i64_e32 vcc_lo, s[8:9], v[10:11]
	v_mov_b32_e32 v18, v9
	v_mov_b32_e32 v15, v6
	;; [unrolled: 1-line block ×16, first 2 shown]
	s_and_b32 s28, s0, vcc_lo
	s_and_saveexec_b32 s1, s28
	s_cbranch_execz .LBB157_10
; %bb.9:                                ;   in Loop: Header=BB157_3 Depth=1
	v_add_co_u32 v3, vcc_lo, v22, v19
	v_add_co_ci_u32_e64 v4, null, v23, v20, vcc_lo
	v_add_co_u32 v5, vcc_lo, v24, v19
	v_add_co_ci_u32_e64 v6, null, v25, v20, vcc_lo
	global_load_dword v3, v[3:4], off
	global_load_dword v11, v[5:6], off
	v_mov_b32_e32 v4, v2
	v_mov_b32_e32 v5, v2
	;; [unrolled: 1-line block ×14, first 2 shown]
.LBB157_10:                             ;   in Loop: Header=BB157_3 Depth=1
	s_or_b32 exec_lo, exec_lo, s1
	v_add_co_u32 v58, vcc_lo, 0xffffffc2, v55
	v_add_co_ci_u32_e64 v59, null, -1, v56, vcc_lo
	v_cmp_gt_i64_e32 vcc_lo, s[8:9], v[58:59]
	s_and_b32 s28, s0, vcc_lo
	s_and_saveexec_b32 s1, s28
	s_cbranch_execz .LBB157_12
; %bb.11:                               ;   in Loop: Header=BB157_3 Depth=1
	v_add_co_u32 v58, vcc_lo, v50, v19
	v_add_co_ci_u32_e64 v59, null, v51, v20, vcc_lo
	v_add_co_u32 v60, vcc_lo, v52, v19
	v_add_co_ci_u32_e64 v61, null, v53, v20, vcc_lo
	global_load_dword v4, v[58:59], off
	global_load_dword v12, v[60:61], off
.LBB157_12:                             ;   in Loop: Header=BB157_3 Depth=1
	s_or_b32 exec_lo, exec_lo, s1
	v_add_co_u32 v58, vcc_lo, 0xffffffc3, v55
	v_add_co_ci_u32_e64 v59, null, -1, v56, vcc_lo
	v_cmp_gt_i64_e32 vcc_lo, s[8:9], v[58:59]
	s_and_b32 s28, s0, vcc_lo
	s_and_saveexec_b32 s1, s28
	s_cbranch_execz .LBB157_14
; %bb.13:                               ;   in Loop: Header=BB157_3 Depth=1
	v_add_co_u32 v58, vcc_lo, v46, v19
	v_add_co_ci_u32_e64 v59, null, v47, v20, vcc_lo
	v_add_co_u32 v60, vcc_lo, v48, v19
	v_add_co_ci_u32_e64 v61, null, v49, v20, vcc_lo
	global_load_dword v5, v[58:59], off
	global_load_dword v13, v[60:61], off
.LBB157_14:                             ;   in Loop: Header=BB157_3 Depth=1
	;; [unrolled: 15-line block ×7, first 2 shown]
	s_or_b32 exec_lo, exec_lo, s1
	s_waitcnt vmcnt(0)
	ds_bpermute_b32 v58, v2, v57
	ds_bpermute_b32 v59, v2, v57 offset:4
	ds_bpermute_b32 v60, v2, v57 offset:8
	v_mul_f32_e32 v3, v11, v3
	ds_bpermute_b32 v11, v2, v57 offset:12
	v_mul_f32_e32 v4, v12, v4
	;; [unrolled: 2-line block ×3, first 2 shown]
	s_mov_b32 s1, 0
	s_waitcnt lgkmcnt(4)
	v_fma_f32 v83, v3, v58, v54
	v_mul_f32_e32 v3, v13, v5
	ds_bpermute_b32 v5, v2, v57 offset:20
	s_waitcnt lgkmcnt(4)
	v_fmac_f32_e32 v83, v4, v59
	v_mul_f32_e32 v4, v14, v6
	ds_bpermute_b32 v6, v2, v57 offset:24
	s_waitcnt lgkmcnt(4)
	v_fmac_f32_e32 v83, v3, v60
	ds_bpermute_b32 v3, v2, v57 offset:28
	s_waitcnt lgkmcnt(4)
	v_fmac_f32_e32 v83, v4, v11
	v_mul_f32_e32 v4, v16, v8
	s_waitcnt lgkmcnt(3)
	v_fmac_f32_e32 v83, v7, v12
	s_waitcnt lgkmcnt(2)
	v_fmac_f32_e32 v83, v4, v5
	v_mul_f32_e32 v4, v17, v9
	s_waitcnt lgkmcnt(1)
	v_fmac_f32_e32 v83, v4, v6
.LBB157_25:                             ;   in Loop: Header=BB157_3 Depth=1
	s_and_b32 vcc_lo, exec_lo, s1
	s_cbranch_vccz .LBB157_40
; %bb.26:                               ;   in Loop: Header=BB157_3 Depth=1
	s_load_dword s1, s[18:19], 0x0
	v_mov_b32_e32 v57, 0
	s_waitcnt lgkmcnt(0)
	s_cmp_lt_u32 s6, s1
	s_cselect_b32 s1, 12, 18
	s_add_u32 s28, s18, s1
	s_addc_u32 s29, s19, 0
	s_mov_b32 s1, exec_lo
	global_load_ushort v3, v2, s[28:29]
	s_waitcnt vmcnt(0)
	v_mad_u32_u24 v3, v1, v3, v0
	v_and_b32_e32 v3, 31, v3
	v_cmpx_gt_u32_e32 8, v3
	s_cbranch_execz .LBB157_30
; %bb.27:                               ;   in Loop: Header=BB157_3 Depth=1
	v_add_co_u32 v3, vcc_lo, v55, v3
	v_add_co_ci_u32_e64 v4, null, 0, v56, vcc_lo
	v_mov_b32_e32 v57, 0
	v_add_co_u32 v3, vcc_lo, 0xffffffc1, v3
	v_add_co_ci_u32_e64 v4, null, -1, v4, vcc_lo
	s_mov_b32 s28, exec_lo
	v_cmpx_gt_i64_e64 s[8:9], v[3:4]
	s_cbranch_execz .LBB157_29
; %bb.28:                               ;   in Loop: Header=BB157_3 Depth=1
	v_lshlrev_b64 v[3:4], 2, v[3:4]
	v_add_co_u32 v3, vcc_lo, s2, v3
	v_add_co_ci_u32_e64 v4, null, s3, v4, vcc_lo
	global_load_dword v57, v[3:4], off
.LBB157_29:                             ;   in Loop: Header=BB157_3 Depth=1
	s_or_b32 exec_lo, exec_lo, s28
.LBB157_30:                             ;   in Loop: Header=BB157_3 Depth=1
	s_or_b32 exec_lo, exec_lo, s1
	v_mov_b32_e32 v9, v2
	v_mov_b32_e32 v3, v2
	;; [unrolled: 1-line block ×23, first 2 shown]
	s_and_saveexec_b32 s1, s0
	s_cbranch_execnz .LBB157_42
; %bb.31:                               ;   in Loop: Header=BB157_3 Depth=1
	s_or_b32 exec_lo, exec_lo, s1
	s_and_saveexec_b32 s1, s0
	s_cbranch_execnz .LBB157_43
.LBB157_32:                             ;   in Loop: Header=BB157_3 Depth=1
	s_or_b32 exec_lo, exec_lo, s1
	s_and_saveexec_b32 s1, s0
	s_cbranch_execnz .LBB157_44
.LBB157_33:                             ;   in Loop: Header=BB157_3 Depth=1
	s_or_b32 exec_lo, exec_lo, s1
	s_and_saveexec_b32 s1, s0
	s_cbranch_execnz .LBB157_45
.LBB157_34:                             ;   in Loop: Header=BB157_3 Depth=1
	s_or_b32 exec_lo, exec_lo, s1
	s_and_saveexec_b32 s1, s0
	s_cbranch_execnz .LBB157_46
.LBB157_35:                             ;   in Loop: Header=BB157_3 Depth=1
	s_or_b32 exec_lo, exec_lo, s1
	s_and_saveexec_b32 s1, s0
	s_cbranch_execnz .LBB157_47
.LBB157_36:                             ;   in Loop: Header=BB157_3 Depth=1
	s_or_b32 exec_lo, exec_lo, s1
	s_and_saveexec_b32 s1, s0
	s_cbranch_execnz .LBB157_48
.LBB157_37:                             ;   in Loop: Header=BB157_3 Depth=1
	s_or_b32 exec_lo, exec_lo, s1
	s_and_saveexec_b32 s1, s0
	s_cbranch_execz .LBB157_39
.LBB157_38:                             ;   in Loop: Header=BB157_3 Depth=1
	v_add_co_u32 v55, vcc_lo, v26, v19
	v_add_co_ci_u32_e64 v56, null, v27, v20, vcc_lo
	v_add_co_u32 v58, vcc_lo, v28, v19
	v_add_co_ci_u32_e64 v59, null, v29, v20, vcc_lo
	global_load_dword v10, v[55:56], off
	global_load_dword v18, v[58:59], off
.LBB157_39:                             ;   in Loop: Header=BB157_3 Depth=1
	s_or_b32 exec_lo, exec_lo, s1
	s_waitcnt vmcnt(0)
	ds_bpermute_b32 v55, v2, v57
	ds_bpermute_b32 v56, v2, v57 offset:4
	ds_bpermute_b32 v58, v2, v57 offset:8
	v_mul_f32_e32 v3, v11, v3
	ds_bpermute_b32 v11, v2, v57 offset:12
	v_mul_f32_e32 v4, v12, v4
	ds_bpermute_b32 v12, v2, v57 offset:16
	s_waitcnt lgkmcnt(4)
	v_fmac_f32_e32 v54, v3, v55
	v_mul_f32_e32 v3, v13, v5
	ds_bpermute_b32 v5, v2, v57 offset:20
	s_waitcnt lgkmcnt(4)
	v_fmac_f32_e32 v54, v4, v56
	;; [unrolled: 4-line block ×3, first 2 shown]
	v_mul_f32_e32 v3, v15, v7
	s_waitcnt lgkmcnt(3)
	v_fmac_f32_e32 v54, v4, v11
	v_mul_f32_e32 v4, v16, v8
	s_waitcnt lgkmcnt(2)
	v_fmac_f32_e32 v54, v3, v12
	ds_bpermute_b32 v3, v2, v57 offset:28
	s_waitcnt lgkmcnt(2)
	v_fmac_f32_e32 v54, v4, v5
	v_mul_f32_e32 v4, v17, v9
	s_waitcnt lgkmcnt(1)
	v_fmac_f32_e32 v54, v4, v6
	v_mov_b32_e32 v83, v54
.LBB157_40:                             ;   in Loop: Header=BB157_3 Depth=1
	v_add_co_u32 v22, vcc_lo, v22, s20
	v_add_co_ci_u32_e64 v23, null, s21, v23, vcc_lo
	v_add_co_u32 v24, vcc_lo, v24, s20
	v_add_co_ci_u32_e64 v25, null, s21, v25, vcc_lo
	;; [unrolled: 2-line block ×12, first 2 shown]
	v_add_co_u32 v46, vcc_lo, v46, s20
	s_add_u32 s24, s24, s27
	v_add_co_ci_u32_e64 v47, null, s21, v47, vcc_lo
	v_add_co_u32 v48, vcc_lo, v48, s20
	v_mul_f32_e32 v4, v10, v18
	s_addc_u32 s25, s25, 0
	v_add_co_ci_u32_e64 v49, null, s21, v49, vcc_lo
	v_add_co_u32 v50, vcc_lo, v50, s20
	v_cmp_lt_i64_e64 s1, s[24:25], s[8:9]
	v_add_co_ci_u32_e64 v51, null, s21, v51, vcc_lo
	v_add_co_u32 v52, vcc_lo, v52, s20
	s_waitcnt lgkmcnt(0)
	v_fmac_f32_e32 v83, v4, v3
	v_add_co_ci_u32_e64 v53, null, s21, v53, vcc_lo
	s_add_u32 s22, s22, s27
	s_addc_u32 s23, s23, 0
	s_and_b32 vcc_lo, exec_lo, s1
	s_cbranch_vccz .LBB157_50
; %bb.41:                               ;   in Loop: Header=BB157_3 Depth=1
	v_mov_b32_e32 v54, v83
	s_branch .LBB157_3
.LBB157_42:                             ;   in Loop: Header=BB157_3 Depth=1
	v_add_co_u32 v3, vcc_lo, v22, v19
	v_add_co_ci_u32_e64 v4, null, v23, v20, vcc_lo
	v_add_co_u32 v5, vcc_lo, v24, v19
	v_add_co_ci_u32_e64 v6, null, v25, v20, vcc_lo
	global_load_dword v3, v[3:4], off
	global_load_dword v11, v[5:6], off
	v_mov_b32_e32 v4, v2
	v_mov_b32_e32 v5, v2
	;; [unrolled: 1-line block ×14, first 2 shown]
	s_or_b32 exec_lo, exec_lo, s1
	s_and_saveexec_b32 s1, s0
	s_cbranch_execz .LBB157_32
.LBB157_43:                             ;   in Loop: Header=BB157_3 Depth=1
	v_add_co_u32 v55, vcc_lo, v50, v19
	v_add_co_ci_u32_e64 v56, null, v51, v20, vcc_lo
	v_add_co_u32 v58, vcc_lo, v52, v19
	v_add_co_ci_u32_e64 v59, null, v53, v20, vcc_lo
	global_load_dword v4, v[55:56], off
	global_load_dword v12, v[58:59], off
	s_or_b32 exec_lo, exec_lo, s1
	s_and_saveexec_b32 s1, s0
	s_cbranch_execz .LBB157_33
.LBB157_44:                             ;   in Loop: Header=BB157_3 Depth=1
	v_add_co_u32 v55, vcc_lo, v46, v19
	v_add_co_ci_u32_e64 v56, null, v47, v20, vcc_lo
	v_add_co_u32 v58, vcc_lo, v48, v19
	v_add_co_ci_u32_e64 v59, null, v49, v20, vcc_lo
	global_load_dword v5, v[55:56], off
	global_load_dword v13, v[58:59], off
	s_or_b32 exec_lo, exec_lo, s1
	s_and_saveexec_b32 s1, s0
	s_cbranch_execz .LBB157_34
.LBB157_45:                             ;   in Loop: Header=BB157_3 Depth=1
	v_add_co_u32 v55, vcc_lo, v42, v19
	v_add_co_ci_u32_e64 v56, null, v43, v20, vcc_lo
	v_add_co_u32 v58, vcc_lo, v44, v19
	v_add_co_ci_u32_e64 v59, null, v45, v20, vcc_lo
	global_load_dword v6, v[55:56], off
	global_load_dword v14, v[58:59], off
	s_or_b32 exec_lo, exec_lo, s1
	s_and_saveexec_b32 s1, s0
	s_cbranch_execz .LBB157_35
.LBB157_46:                             ;   in Loop: Header=BB157_3 Depth=1
	v_add_co_u32 v55, vcc_lo, v38, v19
	v_add_co_ci_u32_e64 v56, null, v39, v20, vcc_lo
	v_add_co_u32 v58, vcc_lo, v40, v19
	v_add_co_ci_u32_e64 v59, null, v41, v20, vcc_lo
	global_load_dword v7, v[55:56], off
	global_load_dword v15, v[58:59], off
	s_or_b32 exec_lo, exec_lo, s1
	s_and_saveexec_b32 s1, s0
	s_cbranch_execz .LBB157_36
.LBB157_47:                             ;   in Loop: Header=BB157_3 Depth=1
	v_add_co_u32 v55, vcc_lo, v34, v19
	v_add_co_ci_u32_e64 v56, null, v35, v20, vcc_lo
	v_add_co_u32 v58, vcc_lo, v36, v19
	v_add_co_ci_u32_e64 v59, null, v37, v20, vcc_lo
	global_load_dword v8, v[55:56], off
	global_load_dword v16, v[58:59], off
	s_or_b32 exec_lo, exec_lo, s1
	s_and_saveexec_b32 s1, s0
	s_cbranch_execz .LBB157_37
.LBB157_48:                             ;   in Loop: Header=BB157_3 Depth=1
	v_add_co_u32 v55, vcc_lo, v30, v19
	v_add_co_ci_u32_e64 v56, null, v31, v20, vcc_lo
	v_add_co_u32 v58, vcc_lo, v32, v19
	v_add_co_ci_u32_e64 v59, null, v33, v20, vcc_lo
	global_load_dword v9, v[55:56], off
	global_load_dword v17, v[58:59], off
	s_or_b32 exec_lo, exec_lo, s1
	s_and_saveexec_b32 s1, s0
	s_cbranch_execnz .LBB157_38
	s_branch .LBB157_39
.LBB157_49:
                                        ; implicit-def: $vgpr83
	s_branch .LBB157_51
.LBB157_50:
	s_cbranch_execnz .LBB157_83
.LBB157_51:
	v_mov_b32_e32 v83, 0
	s_andn2_b32 vcc_lo, exec_lo, s7
	s_cbranch_vccnz .LBB157_83
; %bb.52:
	s_load_dword s7, s[4:5], 0x44
	v_lshlrev_b32_e32 v49, 3, v1
	v_lshlrev_b32_e32 v6, 5, v1
	v_mov_b32_e32 v82, 0
	v_add_co_u32 v10, s0, v49, s16
	v_add_co_ci_u32_e64 v11, null, 0, 0, s0
	s_add_u32 s0, s4, 64
	v_mul_lo_u32 v4, s11, v10
	v_mad_u64_u32 v[2:3], null, s10, v10, 0
	v_mul_lo_u32 v5, s10, v11
	s_addc_u32 s1, s5, 0
	s_waitcnt lgkmcnt(0)
	s_lshl_b32 s7, s7, 6
	v_add3_u32 v3, v3, v5, v4
	s_mul_i32 s19, s11, s7
	s_mul_hi_u32 s20, s10, s7
	s_mul_i32 s18, s10, s7
	s_add_i32 s19, s20, s19
	v_lshlrev_b64 v[4:5], 2, v[2:3]
	s_lshl_b64 s[18:19], s[18:19], 2
	s_add_u32 s20, s16, 63
	s_addc_u32 s21, 0, 0
	s_lshl_b64 s[22:23], s[16:17], 2
	v_add_co_u32 v6, s22, v6, s22
	v_add_co_ci_u32_e64 v7, null, 0, s23, s22
	v_add_co_u32 v8, vcc_lo, v6, 4
	v_add_co_ci_u32_e64 v9, null, 0, v7, vcc_lo
	v_add_co_u32 v50, vcc_lo, s12, v4
	v_add_co_ci_u32_e64 v51, null, s13, v5, vcc_lo
	;; [unrolled: 2-line block ×6, first 2 shown]
	v_add_co_u32 v41, vcc_lo, v6, 20
	v_mad_u64_u32 v[21:22], null, s10, v4, s[12:13]
	v_mul_lo_u32 v5, s10, v5
	v_mul_lo_u32 v15, s11, v4
	v_mad_u64_u32 v[35:36], null, s10, v4, s[14:15]
	v_add_co_ci_u32_e64 v29, null, 0, v7, vcc_lo
	v_add_co_u32 v43, vcc_lo, v6, 24
	v_add_co_ci_u32_e64 v31, null, 0, v7, vcc_lo
	v_add_co_u32 v6, vcc_lo, v6, 28
	v_mad_u64_u32 v[19:20], null, s10, v8, s[12:13]
	v_mul_lo_u32 v9, s10, v9
	v_mul_lo_u32 v12, s11, v8
	v_mad_u64_u32 v[33:34], null, s10, v8, s[14:15]
	v_add_co_ci_u32_e64 v7, null, 0, v7, vcc_lo
	v_add_co_u32 v4, vcc_lo, v10, 7
	v_add3_u32 v22, v15, v22, v5
	v_add3_u32 v36, v15, v36, v5
	v_add_co_ci_u32_e64 v5, null, 0, v11, vcc_lo
	v_mul_lo_u32 v57, s10, v7
	v_add_co_u32 v7, vcc_lo, v10, 6
	v_add3_u32 v20, v12, v20, v9
	v_add3_u32 v34, v12, v34, v9
	v_add_co_ci_u32_e64 v12, null, 0, v11, vcc_lo
	v_mul_lo_u32 v8, s11, v4
	v_mul_lo_u32 v9, s10, v5
	v_mad_u64_u32 v[4:5], null, s10, v4, 0
	v_mad_u64_u32 v[23:24], null, s10, v13, s[12:13]
	v_mul_lo_u32 v17, s11, v13
	v_mul_lo_u32 v55, s10, v31
	v_mad_u64_u32 v[31:32], null, s10, v6, s[12:13]
	v_mul_lo_u32 v58, s11, v6
	v_mad_u64_u32 v[37:38], null, s10, v13, s[14:15]
	v_mad_u64_u32 v[45:46], null, s10, v6, s[14:15]
	v_mul_lo_u32 v13, s11, v7
	v_mul_lo_u32 v12, s10, v12
	v_mad_u64_u32 v[6:7], null, s10, v7, 0
	v_add3_u32 v5, v5, v9, v8
	v_add_co_u32 v8, vcc_lo, v10, 5
	v_mad_u64_u32 v[27:28], null, s10, v41, s[12:13]
	v_mul_lo_u32 v48, s10, v29
	v_mul_lo_u32 v54, s11, v41
	v_mad_u64_u32 v[41:42], null, s10, v41, s[14:15]
	v_add3_u32 v7, v7, v12, v13
	v_add_co_ci_u32_e64 v9, null, 0, v11, vcc_lo
	v_mad_u64_u32 v[29:30], null, s10, v43, s[12:13]
	v_mul_lo_u32 v56, s11, v43
	v_mad_u64_u32 v[43:44], null, s10, v43, s[14:15]
	v_lshlrev_b64 v[4:5], 2, v[4:5]
	v_lshlrev_b64 v[6:7], 2, v[6:7]
	v_mul_lo_u32 v12, s11, v8
	v_mul_lo_u32 v13, s10, v9
	v_mad_u64_u32 v[8:9], null, s10, v8, 0
	v_add3_u32 v28, v54, v28, v48
	v_add3_u32 v42, v54, v42, v48
	v_add_co_u32 v54, vcc_lo, s12, v4
	v_add3_u32 v30, v56, v30, v55
	v_add3_u32 v44, v56, v44, v55
	v_add_co_ci_u32_e64 v55, null, s13, v5, vcc_lo
	v_add_co_u32 v56, vcc_lo, s14, v4
	v_add3_u32 v32, v58, v32, v57
	v_add3_u32 v46, v58, v46, v57
	v_add_co_ci_u32_e64 v57, null, s15, v5, vcc_lo
	v_add_co_u32 v58, vcc_lo, s12, v6
	v_add_co_ci_u32_e64 v59, null, s13, v7, vcc_lo
	v_add3_u32 v9, v9, v13, v12
	v_add_co_u32 v12, vcc_lo, v10, 4
	v_add_co_ci_u32_e64 v13, null, 0, v11, vcc_lo
	v_add_co_u32 v60, vcc_lo, s14, v6
	v_add_co_ci_u32_e64 v61, null, s15, v7, vcc_lo
	v_lshlrev_b64 v[4:5], 2, v[8:9]
	v_mul_lo_u32 v8, s11, v12
	v_mul_lo_u32 v9, s10, v13
	v_mad_u64_u32 v[6:7], null, s10, v12, 0
	v_mul_lo_u32 v14, s10, v14
	v_add_co_u32 v12, vcc_lo, v10, 3
	v_add_co_ci_u32_e64 v13, null, 0, v11, vcc_lo
	v_add_co_u32 v62, vcc_lo, s12, v4
	v_add_co_ci_u32_e64 v63, null, s13, v5, vcc_lo
	v_add3_u32 v7, v7, v9, v8
	v_add_co_u32 v10, vcc_lo, v10, 2
	v_add3_u32 v24, v17, v24, v14
	v_add3_u32 v38, v17, v38, v14
	v_mul_lo_u32 v14, s11, v12
	v_mul_lo_u32 v13, s10, v13
	v_mad_u64_u32 v[8:9], null, s10, v12, 0
	v_add_co_ci_u32_e64 v11, null, 0, v11, vcc_lo
	v_add_co_u32 v64, vcc_lo, s14, v4
	v_add_co_ci_u32_e64 v65, null, s15, v5, vcc_lo
	v_lshlrev_b64 v[4:5], 2, v[6:7]
	v_mul_lo_u32 v12, s11, v10
	v_mul_lo_u32 v11, s10, v11
	v_mad_u64_u32 v[6:7], null, s10, v10, 0
	v_add3_u32 v9, v9, v13, v14
	v_add_co_u32 v66, vcc_lo, s12, v4
	v_add_co_ci_u32_e64 v67, null, s13, v5, vcc_lo
	v_add_co_u32 v68, vcc_lo, s14, v4
	v_add_co_ci_u32_e64 v69, null, s15, v5, vcc_lo
	v_lshlrev_b64 v[4:5], 2, v[8:9]
	v_add3_u32 v7, v7, v11, v12
	v_add_co_u32 v2, vcc_lo, v2, s10
	v_add_co_ci_u32_e64 v3, null, s11, v3, vcc_lo
	v_lshlrev_b64 v[6:7], 2, v[6:7]
	v_add_co_u32 v70, vcc_lo, s12, v4
	v_add_co_ci_u32_e64 v71, null, s13, v5, vcc_lo
	v_add_co_u32 v72, vcc_lo, s14, v4
	v_lshlrev_b64 v[3:4], 2, v[2:3]
	v_mov_b32_e32 v2, 0
	v_mad_u64_u32 v[25:26], null, s10, v16, s[12:13]
	v_mul_lo_u32 v18, s10, v18
	v_mul_lo_u32 v47, s11, v16
	v_mad_u64_u32 v[39:40], null, s10, v16, s[14:15]
	v_add_co_ci_u32_e64 v73, null, s15, v5, vcc_lo
	v_add_co_u32 v74, vcc_lo, s12, v6
	v_add_co_ci_u32_e64 v75, null, s13, v7, vcc_lo
	v_add_co_u32 v76, vcc_lo, s14, v6
	v_add_nc_u32_e32 v5, s26, v0
	v_mov_b32_e32 v6, v2
	v_add_co_ci_u32_e64 v77, null, s15, v7, vcc_lo
	v_add_co_u32 v78, vcc_lo, s12, v3
	v_add_co_ci_u32_e64 v79, null, s13, v4, vcc_lo
	v_add_co_u32 v80, vcc_lo, s14, v3
	v_add3_u32 v26, v47, v26, v18
	v_add3_u32 v40, v47, v40, v18
	v_lshlrev_b64 v[47:48], 2, v[5:6]
	v_add_co_ci_u32_e64 v81, null, s15, v4, vcc_lo
.LBB157_53:                             ; =>This Inner Loop Header: Depth=1
	v_cmp_ge_i64_e64 s12, s[20:21], s[8:9]
	v_add_co_u32 v84, s13, v49, s20
	v_add_co_ci_u32_e64 v85, null, 0, s21, s13
                                        ; implicit-def: $vgpr83
	s_and_b32 vcc_lo, exec_lo, s12
	s_mov_b32 s12, -1
	s_cbranch_vccz .LBB157_75
; %bb.54:                               ;   in Loop: Header=BB157_53 Depth=1
	s_load_dword s12, s[0:1], 0xc
	v_mov_b32_e32 v86, 0
	s_waitcnt lgkmcnt(0)
	s_and_b32 s12, s12, 0xffff
	v_mad_u32_u24 v3, v1, s12, v0
	s_mov_b32 s12, exec_lo
	v_and_b32_e32 v3, 31, v3
	v_cmpx_gt_u32_e32 8, v3
	s_cbranch_execz .LBB157_58
; %bb.55:                               ;   in Loop: Header=BB157_53 Depth=1
	v_add_co_u32 v3, vcc_lo, v84, v3
	v_add_co_ci_u32_e64 v4, null, 0, v85, vcc_lo
	v_mov_b32_e32 v86, 0
	v_add_co_u32 v3, vcc_lo, 0xffffffc1, v3
	v_add_co_ci_u32_e64 v4, null, -1, v4, vcc_lo
	s_mov_b32 s13, exec_lo
	v_cmpx_gt_i64_e64 s[8:9], v[3:4]
	s_cbranch_execz .LBB157_57
; %bb.56:                               ;   in Loop: Header=BB157_53 Depth=1
	v_lshlrev_b64 v[3:4], 2, v[3:4]
	v_add_co_u32 v3, vcc_lo, s2, v3
	v_add_co_ci_u32_e64 v4, null, s3, v4, vcc_lo
	global_load_dword v86, v[3:4], off
.LBB157_57:                             ;   in Loop: Header=BB157_53 Depth=1
	s_or_b32 exec_lo, exec_lo, s13
.LBB157_58:                             ;   in Loop: Header=BB157_53 Depth=1
	s_or_b32 exec_lo, exec_lo, s12
	v_add_co_u32 v10, vcc_lo, 0xffffffc1, v84
	v_add_co_ci_u32_e64 v11, null, -1, v85, vcc_lo
	v_mov_b32_e32 v9, v2
	v_mov_b32_e32 v3, v2
	;; [unrolled: 1-line block ×7, first 2 shown]
	v_cmp_gt_i64_e32 vcc_lo, s[8:9], v[10:11]
	v_mov_b32_e32 v18, v9
	v_mov_b32_e32 v15, v6
	;; [unrolled: 1-line block ×16, first 2 shown]
	s_and_saveexec_b32 s12, vcc_lo
	s_cbranch_execz .LBB157_60
; %bb.59:                               ;   in Loop: Header=BB157_53 Depth=1
	v_add_co_u32 v3, vcc_lo, v50, v47
	v_add_co_ci_u32_e64 v4, null, v51, v48, vcc_lo
	v_add_co_u32 v5, vcc_lo, v52, v47
	v_add_co_ci_u32_e64 v6, null, v53, v48, vcc_lo
	global_load_dword v3, v[3:4], off
	global_load_dword v11, v[5:6], off
	v_mov_b32_e32 v4, v2
	v_mov_b32_e32 v5, v2
	;; [unrolled: 1-line block ×14, first 2 shown]
.LBB157_60:                             ;   in Loop: Header=BB157_53 Depth=1
	s_or_b32 exec_lo, exec_lo, s12
	v_add_co_u32 v87, vcc_lo, 0xffffffc2, v84
	v_add_co_ci_u32_e64 v88, null, -1, v85, vcc_lo
	s_mov_b32 s12, exec_lo
	v_cmpx_gt_i64_e64 s[8:9], v[87:88]
	s_cbranch_execz .LBB157_62
; %bb.61:                               ;   in Loop: Header=BB157_53 Depth=1
	v_add_co_u32 v87, vcc_lo, v78, v47
	v_add_co_ci_u32_e64 v88, null, v79, v48, vcc_lo
	v_add_co_u32 v89, vcc_lo, v80, v47
	v_add_co_ci_u32_e64 v90, null, v81, v48, vcc_lo
	global_load_dword v4, v[87:88], off
	global_load_dword v12, v[89:90], off
.LBB157_62:                             ;   in Loop: Header=BB157_53 Depth=1
	s_or_b32 exec_lo, exec_lo, s12
	v_add_co_u32 v87, vcc_lo, 0xffffffc3, v84
	v_add_co_ci_u32_e64 v88, null, -1, v85, vcc_lo
	s_mov_b32 s12, exec_lo
	v_cmpx_gt_i64_e64 s[8:9], v[87:88]
	s_cbranch_execz .LBB157_64
; %bb.63:                               ;   in Loop: Header=BB157_53 Depth=1
	v_add_co_u32 v87, vcc_lo, v74, v47
	v_add_co_ci_u32_e64 v88, null, v75, v48, vcc_lo
	v_add_co_u32 v89, vcc_lo, v76, v47
	v_add_co_ci_u32_e64 v90, null, v77, v48, vcc_lo
	global_load_dword v5, v[87:88], off
	global_load_dword v13, v[89:90], off
.LBB157_64:                             ;   in Loop: Header=BB157_53 Depth=1
	;; [unrolled: 14-line block ×7, first 2 shown]
	s_or_b32 exec_lo, exec_lo, s12
	s_waitcnt vmcnt(0)
	ds_bpermute_b32 v83, v2, v86
	ds_bpermute_b32 v87, v2, v86 offset:4
	ds_bpermute_b32 v88, v2, v86 offset:8
	v_mul_f32_e32 v3, v11, v3
	ds_bpermute_b32 v11, v2, v86 offset:12
	v_mul_f32_e32 v4, v12, v4
	ds_bpermute_b32 v12, v2, v86 offset:16
	s_mov_b32 s12, 0
	s_waitcnt lgkmcnt(4)
	v_fma_f32 v83, v3, v83, v82
	v_mul_f32_e32 v3, v13, v5
	ds_bpermute_b32 v5, v2, v86 offset:20
	s_waitcnt lgkmcnt(4)
	v_fmac_f32_e32 v83, v4, v87
	v_mul_f32_e32 v4, v14, v6
	ds_bpermute_b32 v6, v2, v86 offset:24
	s_waitcnt lgkmcnt(4)
	v_fmac_f32_e32 v83, v3, v88
	v_mul_f32_e32 v3, v15, v7
	v_mul_f32_e32 v7, v16, v8
	s_waitcnt lgkmcnt(3)
	v_fmac_f32_e32 v83, v4, v11
	ds_bpermute_b32 v4, v2, v86 offset:28
	s_waitcnt lgkmcnt(3)
	v_fmac_f32_e32 v83, v3, v12
	v_mul_f32_e32 v3, v17, v9
	s_waitcnt lgkmcnt(2)
	v_fmac_f32_e32 v83, v7, v5
	s_waitcnt lgkmcnt(1)
	v_fmac_f32_e32 v83, v3, v6
	v_mul_f32_e32 v3, v18, v10
	s_waitcnt lgkmcnt(0)
	v_fmac_f32_e32 v83, v3, v4
.LBB157_75:                             ;   in Loop: Header=BB157_53 Depth=1
	s_and_b32 vcc_lo, exec_lo, s12
	s_cbranch_vccz .LBB157_81
; %bb.76:                               ;   in Loop: Header=BB157_53 Depth=1
	s_load_dword s12, s[0:1], 0x0
	v_mov_b32_e32 v5, 0
	s_waitcnt lgkmcnt(0)
	s_cmp_lt_u32 s6, s12
	s_cselect_b32 s12, 12, 18
	s_add_u32 s12, s0, s12
	s_addc_u32 s13, s1, 0
	global_load_ushort v3, v2, s[12:13]
	s_mov_b32 s12, exec_lo
	s_waitcnt vmcnt(0)
	v_mad_u32_u24 v3, v1, v3, v0
	v_and_b32_e32 v3, 31, v3
	v_cmpx_gt_u32_e32 8, v3
	s_cbranch_execz .LBB157_80
; %bb.77:                               ;   in Loop: Header=BB157_53 Depth=1
	v_add_co_u32 v3, vcc_lo, v84, v3
	v_add_co_ci_u32_e64 v4, null, 0, v85, vcc_lo
	v_mov_b32_e32 v5, 0
	v_add_co_u32 v3, vcc_lo, 0xffffffc1, v3
	v_add_co_ci_u32_e64 v4, null, -1, v4, vcc_lo
	s_mov_b32 s13, exec_lo
	v_cmpx_gt_i64_e64 s[8:9], v[3:4]
	s_cbranch_execz .LBB157_79
; %bb.78:                               ;   in Loop: Header=BB157_53 Depth=1
	v_lshlrev_b64 v[3:4], 2, v[3:4]
	v_add_co_u32 v3, vcc_lo, s2, v3
	v_add_co_ci_u32_e64 v4, null, s3, v4, vcc_lo
	global_load_dword v5, v[3:4], off
.LBB157_79:                             ;   in Loop: Header=BB157_53 Depth=1
	s_or_b32 exec_lo, exec_lo, s13
.LBB157_80:                             ;   in Loop: Header=BB157_53 Depth=1
	s_or_b32 exec_lo, exec_lo, s12
	v_add_co_u32 v3, vcc_lo, v50, v47
	v_add_co_ci_u32_e64 v4, null, v51, v48, vcc_lo
	v_add_co_u32 v6, vcc_lo, v52, v47
	v_add_co_ci_u32_e64 v7, null, v53, v48, vcc_lo
	;; [unrolled: 2-line block ×4, first 2 shown]
	global_load_dword v14, v[3:4], off
	global_load_dword v15, v[6:7], off
	;; [unrolled: 1-line block ×4, first 2 shown]
	v_add_co_u32 v3, vcc_lo, v21, v47
	v_add_co_ci_u32_e64 v4, null, v22, v48, vcc_lo
	v_add_co_u32 v6, vcc_lo, v35, v47
	v_add_co_ci_u32_e64 v7, null, v36, v48, vcc_lo
	;; [unrolled: 2-line block ×5, first 2 shown]
	global_load_dword v18, v[3:4], off
	global_load_dword v83, v[6:7], off
	;; [unrolled: 1-line block ×5, first 2 shown]
	v_add_co_u32 v3, vcc_lo, v39, v47
	v_add_co_ci_u32_e64 v4, null, v40, v48, vcc_lo
	v_add_co_u32 v6, vcc_lo, v27, v47
	v_add_co_ci_u32_e64 v7, null, v28, v48, vcc_lo
	;; [unrolled: 2-line block ×5, first 2 shown]
	global_load_dword v87, v[3:4], off
	global_load_dword v88, v[6:7], off
	;; [unrolled: 1-line block ×5, first 2 shown]
	v_add_co_u32 v3, vcc_lo, v31, v47
	v_add_co_ci_u32_e64 v4, null, v32, v48, vcc_lo
	v_add_co_u32 v6, vcc_lo, v45, v47
	v_add_co_ci_u32_e64 v7, null, v46, v48, vcc_lo
	global_load_dword v3, v[3:4], off
	global_load_dword v4, v[6:7], off
	s_waitcnt vmcnt(16)
	ds_bpermute_b32 v6, v2, v5
	ds_bpermute_b32 v7, v2, v5 offset:4
	ds_bpermute_b32 v11, v2, v5 offset:8
	;; [unrolled: 1-line block ×3, first 2 shown]
	s_waitcnt vmcnt(14)
	v_mul_f32_e32 v13, v14, v15
	ds_bpermute_b32 v14, v2, v5 offset:16
	s_waitcnt vmcnt(12)
	v_mul_f32_e32 v15, v16, v17
	s_waitcnt lgkmcnt(4)
	v_fmac_f32_e32 v82, v13, v6
	ds_bpermute_b32 v6, v2, v5 offset:20
	s_waitcnt lgkmcnt(4)
	v_fmac_f32_e32 v82, v15, v7
	ds_bpermute_b32 v7, v2, v5 offset:24
	ds_bpermute_b32 v5, v2, v5 offset:28
	s_waitcnt vmcnt(10)
	v_mul_f32_e32 v13, v18, v83
	s_waitcnt vmcnt(8)
	v_mul_f32_e32 v15, v84, v85
	s_waitcnt lgkmcnt(5)
	v_fmac_f32_e32 v82, v13, v11
	s_waitcnt lgkmcnt(4)
	v_fmac_f32_e32 v82, v15, v12
	s_waitcnt vmcnt(6)
	v_mul_f32_e32 v11, v86, v87
	s_waitcnt vmcnt(4)
	v_mul_f32_e32 v8, v88, v8
	;; [unrolled: 2-line block ×3, first 2 shown]
	s_waitcnt lgkmcnt(3)
	v_fmac_f32_e32 v82, v11, v14
	s_waitcnt lgkmcnt(2)
	v_fmac_f32_e32 v82, v8, v6
	;; [unrolled: 2-line block ×3, first 2 shown]
	s_waitcnt vmcnt(0)
	v_mul_f32_e32 v3, v3, v4
	s_waitcnt lgkmcnt(0)
	v_fmac_f32_e32 v82, v3, v5
	v_mov_b32_e32 v83, v82
.LBB157_81:                             ;   in Loop: Header=BB157_53 Depth=1
	v_add_co_u32 v50, vcc_lo, v50, s18
	v_add_co_ci_u32_e64 v51, null, s19, v51, vcc_lo
	v_add_co_u32 v52, vcc_lo, v52, s18
	v_add_co_ci_u32_e64 v53, null, s19, v53, vcc_lo
	;; [unrolled: 2-line block ×26, first 2 shown]
	v_add_co_u32 v74, vcc_lo, v74, s18
	s_add_u32 s16, s16, s7
	v_add_co_ci_u32_e64 v75, null, s19, v75, vcc_lo
	v_add_co_u32 v76, vcc_lo, v76, s18
	s_addc_u32 s17, s17, 0
	v_add_co_ci_u32_e64 v77, null, s19, v77, vcc_lo
	v_add_co_u32 v78, vcc_lo, v78, s18
	v_cmp_ge_i64_e64 s12, s[16:17], s[8:9]
	v_add_co_ci_u32_e64 v79, null, s19, v79, vcc_lo
	v_add_co_u32 v80, vcc_lo, v80, s18
	v_add_co_ci_u32_e64 v81, null, s19, v81, vcc_lo
	s_add_u32 s20, s20, s7
	s_addc_u32 s21, s21, 0
	s_and_b32 vcc_lo, exec_lo, s12
	s_cbranch_vccnz .LBB157_83
; %bb.82:                               ;   in Loop: Header=BB157_53 Depth=1
	v_mov_b32_e32 v82, v83
	s_branch .LBB157_53
.LBB157_83:
	v_mad_u32_u24 v2, v1, 33, v0
	v_lshrrev_b32_e32 v3, 5, v0
	s_mov_b32 s0, exec_lo
	v_lshl_add_u32 v2, v2, 2, 0
	v_add_nc_u32_e32 v3, v3, v1
	v_mov_b32_e32 v1, 0
	ds_write_b32 v2, v83
	ds_write_b32 v2, v1 offset:1056
	s_waitcnt lgkmcnt(0)
	s_barrier
	buffer_gl0_inv
	v_cmpx_gt_u32_e32 32, v3
	s_cbranch_execz .LBB157_103
; %bb.84:
	s_load_dwordx2 s[2:3], s[4:5], 0x30
	v_and_b32_e32 v1, 31, v0
	v_cmp_gt_u32_e32 vcc_lo, 8, v1
	v_mul_u32_u24_e32 v4, 33, v1
                                        ; implicit-def: $vgpr1
	s_and_saveexec_b32 s0, vcc_lo
	s_cbranch_execz .LBB157_86
; %bb.85:
	v_lshlrev_b32_e32 v1, 2, v3
	v_lshlrev_b32_e32 v2, 2, v4
	v_add3_u32 v1, 0, v1, v2
	ds_read_b32 v1, v1
.LBB157_86:
	s_or_b32 exec_lo, exec_lo, s0
	v_mbcnt_lo_u32_b32 v2, -1, 0
	s_mov_b32 s7, 0
	s_lshl_b64 s[4:5], s[6:7], 5
	s_waitcnt lgkmcnt(0)
	s_cmp_eq_u64 s[2:3], 0
	v_xor_b32_e32 v5, 4, v2
	v_xor_b32_e32 v6, 2, v2
	;; [unrolled: 1-line block ×3, first 2 shown]
	s_cselect_b32 s6, -1, 0
	v_cmp_gt_i32_e64 s0, 32, v5
	v_cndmask_b32_e64 v5, v2, v5, s0
	v_cmp_gt_i32_e64 s0, 32, v6
	v_lshlrev_b32_e32 v5, 2, v5
	v_cndmask_b32_e64 v6, v2, v6, s0
	v_cmp_gt_i32_e64 s0, 32, v8
	ds_bpermute_b32 v7, v5, v1
	v_lshlrev_b32_e32 v6, 2, v6
	v_cndmask_b32_e64 v2, v2, v8, s0
	v_cmp_ne_u32_e64 s0, 0, v0
	s_waitcnt lgkmcnt(0)
	v_add_f32_e32 v1, v1, v7
	ds_bpermute_b32 v7, v6, v1
	s_waitcnt lgkmcnt(0)
	v_add_f32_e32 v8, v1, v7
	v_lshlrev_b32_e32 v7, 2, v2
	v_or_b32_e32 v1, s4, v3
	v_mov_b32_e32 v2, s5
	ds_bpermute_b32 v9, v7, v8
	v_cmp_le_i64_e64 s1, s[10:11], v[1:2]
	s_or_b32 s1, s0, s1
	s_nor_b32 s1, s6, s1
	s_waitcnt lgkmcnt(0)
	v_add_f32_e32 v0, v8, v9
	s_and_saveexec_b32 s7, s1
	s_cbranch_execz .LBB157_88
; %bb.87:
	v_lshlrev_b64 v[1:2], 2, v[1:2]
	v_add_co_u32 v1, s1, s2, v1
	v_add_co_ci_u32_e64 v2, null, s3, v2, s1
	global_store_dword v[1:2], v0, off
.LBB157_88:
	s_or_b32 exec_lo, exec_lo, s7
	v_cmp_gt_u32_e64 s1, 24, v3
	s_and_b32 exec_lo, exec_lo, s1
	s_cbranch_execz .LBB157_103
; %bb.89:
	s_and_saveexec_b32 s1, vcc_lo
	s_cbranch_execz .LBB157_91
; %bb.90:
	v_lshlrev_b32_e32 v0, 2, v3
	v_lshlrev_b32_e32 v1, 2, v4
	v_add3_u32 v0, 0, v0, v1
	ds_read_b32 v0, v0 offset:32
.LBB157_91:
	s_or_b32 exec_lo, exec_lo, s1
	s_waitcnt lgkmcnt(0)
	ds_bpermute_b32 v1, v5, v0
	s_waitcnt lgkmcnt(0)
	v_add_f32_e32 v0, v0, v1
	ds_bpermute_b32 v1, v6, v0
	s_waitcnt lgkmcnt(0)
	v_add_f32_e32 v2, v0, v1
	v_add_nc_u32_e32 v0, 8, v3
	ds_bpermute_b32 v8, v7, v2
	v_add_co_u32 v0, s1, s4, v0
	v_add_co_ci_u32_e64 v1, null, s5, 0, s1
	v_cmp_le_i64_e64 s1, s[10:11], v[0:1]
	s_or_b32 s1, s0, s1
	s_nor_b32 s1, s6, s1
	s_waitcnt lgkmcnt(0)
	v_add_f32_e32 v0, v2, v8
	s_and_saveexec_b32 s7, s1
	s_cbranch_execz .LBB157_93
; %bb.92:
	v_add_co_u32 v1, s1, s4, v3
	v_add_co_ci_u32_e64 v2, null, s5, 0, s1
	v_lshlrev_b64 v[1:2], 2, v[1:2]
	v_add_co_u32 v1, s1, s2, v1
	v_add_co_ci_u32_e64 v2, null, s3, v2, s1
	global_store_dword v[1:2], v0, off offset:32
.LBB157_93:
	s_or_b32 exec_lo, exec_lo, s7
	v_cmp_gt_u32_e64 s1, 16, v3
	s_and_b32 exec_lo, exec_lo, s1
	s_cbranch_execz .LBB157_103
; %bb.94:
	s_and_saveexec_b32 s1, vcc_lo
	s_cbranch_execz .LBB157_96
; %bb.95:
	v_lshlrev_b32_e32 v0, 2, v3
	v_lshlrev_b32_e32 v1, 2, v4
	v_add3_u32 v0, 0, v0, v1
	ds_read_b32 v0, v0 offset:64
.LBB157_96:
	s_or_b32 exec_lo, exec_lo, s1
	s_waitcnt lgkmcnt(0)
	ds_bpermute_b32 v1, v5, v0
	s_waitcnt lgkmcnt(0)
	v_add_f32_e32 v0, v0, v1
	ds_bpermute_b32 v1, v6, v0
	s_waitcnt lgkmcnt(0)
	v_add_f32_e32 v2, v0, v1
	v_add_nc_u32_e32 v0, 16, v3
	v_mov_b32_e32 v1, s5
	ds_bpermute_b32 v8, v7, v2
	v_or_b32_e32 v0, s4, v0
	v_cmp_le_i64_e64 s1, s[10:11], v[0:1]
	s_or_b32 s1, s0, s1
	s_nor_b32 s1, s6, s1
	s_waitcnt lgkmcnt(0)
	v_add_f32_e32 v0, v2, v8
	s_and_saveexec_b32 s7, s1
	s_cbranch_execz .LBB157_98
; %bb.97:
	v_add_co_u32 v1, s1, s4, v3
	v_add_co_ci_u32_e64 v2, null, s5, 0, s1
	v_lshlrev_b64 v[1:2], 2, v[1:2]
	v_add_co_u32 v1, s1, s2, v1
	v_add_co_ci_u32_e64 v2, null, s3, v2, s1
	global_store_dword v[1:2], v0, off offset:64
.LBB157_98:
	s_or_b32 exec_lo, exec_lo, s7
	v_cmp_gt_u32_e64 s1, 8, v3
	s_and_b32 exec_lo, exec_lo, s1
	s_cbranch_execz .LBB157_103
; %bb.99:
	s_and_saveexec_b32 s1, vcc_lo
	s_cbranch_execz .LBB157_101
; %bb.100:
	v_lshlrev_b32_e32 v0, 2, v3
	v_lshlrev_b32_e32 v1, 2, v4
	v_add3_u32 v0, 0, v0, v1
	ds_read_b32 v0, v0 offset:96
.LBB157_101:
	s_or_b32 exec_lo, exec_lo, s1
	s_waitcnt lgkmcnt(0)
	ds_bpermute_b32 v1, v5, v0
	v_add_nc_u32_e32 v2, 24, v3
	v_mov_b32_e32 v5, s5
	v_or_b32_e32 v4, s4, v2
	v_cmp_le_i64_e32 vcc_lo, s[10:11], v[4:5]
	s_or_b32 s0, s0, vcc_lo
	s_nor_b32 s0, s6, s0
	s_waitcnt lgkmcnt(0)
	v_add_f32_e32 v0, v0, v1
	ds_bpermute_b32 v1, v6, v0
	s_waitcnt lgkmcnt(0)
	v_add_f32_e32 v0, v0, v1
	ds_bpermute_b32 v1, v7, v0
	s_and_saveexec_b32 s1, s0
	s_xor_b32 s1, exec_lo, s1
	s_cbranch_execz .LBB157_103
; %bb.102:
	v_add_co_u32 v2, s0, s4, v3
	v_add_co_ci_u32_e64 v3, null, s5, 0, s0
	s_waitcnt lgkmcnt(0)
	v_add_f32_e32 v4, v0, v1
	v_lshlrev_b64 v[2:3], 2, v[2:3]
	v_add_co_u32 v0, vcc_lo, s2, v2
	v_add_co_ci_u32_e64 v1, null, s3, v3, vcc_lo
	global_store_dword v[0:1], v4, off offset:96
.LBB157_103:
	s_endpgm
	.section	.rodata,"a",@progbits
	.p2align	6, 0x0
	.amdhsa_kernel _ZN2at6native12_GLOBAL__N_135GammaBetaBackwardCUDAKernelTemplateIffLj32ELj8ELj64ELb0ELb0ELb1EEEvllPKT_S5_PKT0_S8_PS3_S9_
		.amdhsa_group_segment_fixed_size 0
		.amdhsa_private_segment_fixed_size 0
		.amdhsa_kernarg_size 320
		.amdhsa_user_sgpr_count 6
		.amdhsa_user_sgpr_private_segment_buffer 1
		.amdhsa_user_sgpr_dispatch_ptr 0
		.amdhsa_user_sgpr_queue_ptr 0
		.amdhsa_user_sgpr_kernarg_segment_ptr 1
		.amdhsa_user_sgpr_dispatch_id 0
		.amdhsa_user_sgpr_flat_scratch_init 0
		.amdhsa_user_sgpr_private_segment_size 0
		.amdhsa_wavefront_size32 1
		.amdhsa_uses_dynamic_stack 0
		.amdhsa_system_sgpr_private_segment_wavefront_offset 0
		.amdhsa_system_sgpr_workgroup_id_x 1
		.amdhsa_system_sgpr_workgroup_id_y 1
		.amdhsa_system_sgpr_workgroup_id_z 0
		.amdhsa_system_sgpr_workgroup_info 0
		.amdhsa_system_vgpr_workitem_id 1
		.amdhsa_next_free_vgpr 91
		.amdhsa_next_free_sgpr 30
		.amdhsa_reserve_vcc 1
		.amdhsa_reserve_flat_scratch 0
		.amdhsa_float_round_mode_32 0
		.amdhsa_float_round_mode_16_64 0
		.amdhsa_float_denorm_mode_32 3
		.amdhsa_float_denorm_mode_16_64 3
		.amdhsa_dx10_clamp 1
		.amdhsa_ieee_mode 1
		.amdhsa_fp16_overflow 0
		.amdhsa_workgroup_processor_mode 1
		.amdhsa_memory_ordered 1
		.amdhsa_forward_progress 1
		.amdhsa_shared_vgpr_count 0
		.amdhsa_exception_fp_ieee_invalid_op 0
		.amdhsa_exception_fp_denorm_src 0
		.amdhsa_exception_fp_ieee_div_zero 0
		.amdhsa_exception_fp_ieee_overflow 0
		.amdhsa_exception_fp_ieee_underflow 0
		.amdhsa_exception_fp_ieee_inexact 0
		.amdhsa_exception_int_div_zero 0
	.end_amdhsa_kernel
	.section	.text._ZN2at6native12_GLOBAL__N_135GammaBetaBackwardCUDAKernelTemplateIffLj32ELj8ELj64ELb0ELb0ELb1EEEvllPKT_S5_PKT0_S8_PS3_S9_,"axG",@progbits,_ZN2at6native12_GLOBAL__N_135GammaBetaBackwardCUDAKernelTemplateIffLj32ELj8ELj64ELb0ELb0ELb1EEEvllPKT_S5_PKT0_S8_PS3_S9_,comdat
.Lfunc_end157:
	.size	_ZN2at6native12_GLOBAL__N_135GammaBetaBackwardCUDAKernelTemplateIffLj32ELj8ELj64ELb0ELb0ELb1EEEvllPKT_S5_PKT0_S8_PS3_S9_, .Lfunc_end157-_ZN2at6native12_GLOBAL__N_135GammaBetaBackwardCUDAKernelTemplateIffLj32ELj8ELj64ELb0ELb0ELb1EEEvllPKT_S5_PKT0_S8_PS3_S9_
                                        ; -- End function
	.set _ZN2at6native12_GLOBAL__N_135GammaBetaBackwardCUDAKernelTemplateIffLj32ELj8ELj64ELb0ELb0ELb1EEEvllPKT_S5_PKT0_S8_PS3_S9_.num_vgpr, 91
	.set _ZN2at6native12_GLOBAL__N_135GammaBetaBackwardCUDAKernelTemplateIffLj32ELj8ELj64ELb0ELb0ELb1EEEvllPKT_S5_PKT0_S8_PS3_S9_.num_agpr, 0
	.set _ZN2at6native12_GLOBAL__N_135GammaBetaBackwardCUDAKernelTemplateIffLj32ELj8ELj64ELb0ELb0ELb1EEEvllPKT_S5_PKT0_S8_PS3_S9_.numbered_sgpr, 30
	.set _ZN2at6native12_GLOBAL__N_135GammaBetaBackwardCUDAKernelTemplateIffLj32ELj8ELj64ELb0ELb0ELb1EEEvllPKT_S5_PKT0_S8_PS3_S9_.num_named_barrier, 0
	.set _ZN2at6native12_GLOBAL__N_135GammaBetaBackwardCUDAKernelTemplateIffLj32ELj8ELj64ELb0ELb0ELb1EEEvllPKT_S5_PKT0_S8_PS3_S9_.private_seg_size, 0
	.set _ZN2at6native12_GLOBAL__N_135GammaBetaBackwardCUDAKernelTemplateIffLj32ELj8ELj64ELb0ELb0ELb1EEEvllPKT_S5_PKT0_S8_PS3_S9_.uses_vcc, 1
	.set _ZN2at6native12_GLOBAL__N_135GammaBetaBackwardCUDAKernelTemplateIffLj32ELj8ELj64ELb0ELb0ELb1EEEvllPKT_S5_PKT0_S8_PS3_S9_.uses_flat_scratch, 0
	.set _ZN2at6native12_GLOBAL__N_135GammaBetaBackwardCUDAKernelTemplateIffLj32ELj8ELj64ELb0ELb0ELb1EEEvllPKT_S5_PKT0_S8_PS3_S9_.has_dyn_sized_stack, 0
	.set _ZN2at6native12_GLOBAL__N_135GammaBetaBackwardCUDAKernelTemplateIffLj32ELj8ELj64ELb0ELb0ELb1EEEvllPKT_S5_PKT0_S8_PS3_S9_.has_recursion, 0
	.set _ZN2at6native12_GLOBAL__N_135GammaBetaBackwardCUDAKernelTemplateIffLj32ELj8ELj64ELb0ELb0ELb1EEEvllPKT_S5_PKT0_S8_PS3_S9_.has_indirect_call, 0
	.section	.AMDGPU.csdata,"",@progbits
; Kernel info:
; codeLenInByte = 8056
; TotalNumSgprs: 32
; NumVgprs: 91
; ScratchSize: 0
; MemoryBound: 0
; FloatMode: 240
; IeeeMode: 1
; LDSByteSize: 0 bytes/workgroup (compile time only)
; SGPRBlocks: 0
; VGPRBlocks: 11
; NumSGPRsForWavesPerEU: 32
; NumVGPRsForWavesPerEU: 91
; Occupancy: 10
; WaveLimiterHint : 0
; COMPUTE_PGM_RSRC2:SCRATCH_EN: 0
; COMPUTE_PGM_RSRC2:USER_SGPR: 6
; COMPUTE_PGM_RSRC2:TRAP_HANDLER: 0
; COMPUTE_PGM_RSRC2:TGID_X_EN: 1
; COMPUTE_PGM_RSRC2:TGID_Y_EN: 1
; COMPUTE_PGM_RSRC2:TGID_Z_EN: 0
; COMPUTE_PGM_RSRC2:TIDIG_COMP_CNT: 1
	.section	.text._ZN2at6native12_GLOBAL__N_135GammaBetaBackwardCUDAKernelTemplateIffLj32ELj16ELj128ELb0ELb1ELb1EEEvllPKT_S5_PKT0_S8_PS3_S9_,"axG",@progbits,_ZN2at6native12_GLOBAL__N_135GammaBetaBackwardCUDAKernelTemplateIffLj32ELj16ELj128ELb0ELb1ELb1EEEvllPKT_S5_PKT0_S8_PS3_S9_,comdat
	.globl	_ZN2at6native12_GLOBAL__N_135GammaBetaBackwardCUDAKernelTemplateIffLj32ELj16ELj128ELb0ELb1ELb1EEEvllPKT_S5_PKT0_S8_PS3_S9_ ; -- Begin function _ZN2at6native12_GLOBAL__N_135GammaBetaBackwardCUDAKernelTemplateIffLj32ELj16ELj128ELb0ELb1ELb1EEEvllPKT_S5_PKT0_S8_PS3_S9_
	.p2align	8
	.type	_ZN2at6native12_GLOBAL__N_135GammaBetaBackwardCUDAKernelTemplateIffLj32ELj16ELj128ELb0ELb1ELb1EEEvllPKT_S5_PKT0_S8_PS3_S9_,@function
_ZN2at6native12_GLOBAL__N_135GammaBetaBackwardCUDAKernelTemplateIffLj32ELj16ELj128ELb0ELb1ELb1EEEvllPKT_S5_PKT0_S8_PS3_S9_: ; @_ZN2at6native12_GLOBAL__N_135GammaBetaBackwardCUDAKernelTemplateIffLj32ELj16ELj128ELb0ELb1ELb1EEEvllPKT_S5_PKT0_S8_PS3_S9_
; %bb.0:
	s_load_dwordx4 s[8:11], s[4:5], 0x0
	s_lshl_b32 s16, s7, 7
	s_mov_b32 s17, 0
	s_waitcnt lgkmcnt(0)
	v_cmp_gt_i64_e64 s0, s[8:9], s[16:17]
	s_and_b32 vcc_lo, exec_lo, s0
	s_cbranch_vccnz .LBB158_2
; %bb.1:
	s_mov_b32 s0, s17
	s_load_dwordx2 s[2:3], s[4:5], 0x30
	v_mov_b32_e32 v2, 0
	s_andn2_b32 vcc_lo, exec_lo, s0
	s_cbranch_vccz .LBB158_3
	s_branch .LBB158_9
.LBB158_2:
	s_load_dwordx2 s[2:3], s[4:5], 0x30
	v_mov_b32_e32 v2, 0
.LBB158_3:
	s_clause 0x3
	s_load_dword s0, s[4:5], 0x4c
	s_load_dword s1, s[4:5], 0x44
	s_load_dwordx4 s[12:15], s[4:5], 0x10
	s_load_dwordx2 s[18:19], s[4:5], 0x28
	v_lshlrev_b32_e32 v4, 3, v1
	v_mov_b32_e32 v3, 0
	v_lshl_add_u32 v2, s6, 5, v0
	v_mov_b32_e32 v8, 8
	v_mov_b32_e32 v9, 4
	v_add_co_u32 v4, s4, v4, s16
	v_add_co_ci_u32_e64 v5, null, 0, 0, s4
	v_lshlrev_b64 v[15:16], 2, v[2:3]
	v_mul_lo_u32 v17, s11, v4
	v_mov_b32_e32 v10, 12
	v_mul_lo_u32 v18, s10, v5
	v_mov_b32_e32 v11, 16
	v_mov_b32_e32 v12, 20
	;; [unrolled: 1-line block ×3, first 2 shown]
	s_waitcnt lgkmcnt(0)
	s_and_b32 s0, s0, 0xffff
	s_lshl_b32 s4, s1, 7
	v_mad_u32_u24 v6, v1, s0, v0
	s_mul_i32 s1, s11, s4
	s_mul_hi_u32 s7, s10, s4
	v_mov_b32_e32 v14, 28
	v_mov_b32_e32 v2, 0
	v_and_b32_e32 v21, 31, v6
	v_mad_u64_u32 v[6:7], null, s10, v4, 0
	s_mov_b32 s5, 0
	s_add_i32 s21, s7, s1
	v_add_co_u32 v4, vcc_lo, v4, v21
	v_add_co_ci_u32_e64 v5, null, 0, v5, vcc_lo
	v_add3_u32 v7, v7, v18, v17
	v_cmp_gt_u32_e64 s0, 8, v21
	s_mul_i32 s20, s10, s4
	v_lshlrev_b64 v[17:18], 2, v[4:5]
	s_lshl_b64 s[20:21], s[20:21], 2
	v_lshlrev_b64 v[19:20], 2, v[6:7]
	s_lshl_b64 s[10:11], s[10:11], 2
	v_add_co_u32 v6, vcc_lo, s18, v17
	v_add_co_ci_u32_e64 v7, null, s19, v18, vcc_lo
	v_add_co_u32 v15, vcc_lo, v19, v15
	v_add_co_ci_u32_e64 v16, null, v20, v16, vcc_lo
	s_lshl_b64 s[18:19], s[4:5], 2
	s_branch .LBB158_6
.LBB158_4:                              ;   in Loop: Header=BB158_6 Depth=1
	s_or_b32 exec_lo, exec_lo, s5
.LBB158_5:                              ;   in Loop: Header=BB158_6 Depth=1
	s_or_b32 exec_lo, exec_lo, s1
	v_add_co_u32 v18, vcc_lo, s12, v15
	v_add_co_ci_u32_e64 v19, null, s13, v16, vcc_lo
	v_add_co_u32 v20, vcc_lo, s14, v15
	v_add_co_ci_u32_e64 v21, null, s15, v16, vcc_lo
	;; [unrolled: 2-line block ×5, first 2 shown]
	global_load_dword v28, v[18:19], off
	global_load_dword v29, v[20:21], off
	;; [unrolled: 1-line block ×5, first 2 shown]
	v_add_co_u32 v18, vcc_lo, v24, s10
	v_add_co_ci_u32_e64 v19, null, s11, v25, vcc_lo
	v_add_co_u32 v20, vcc_lo, v26, s10
	v_add_co_ci_u32_e64 v21, null, s11, v27, vcc_lo
	v_add_co_u32 v22, vcc_lo, v18, s10
	v_add_co_ci_u32_e64 v23, null, s11, v19, vcc_lo
	v_add_co_u32 v24, vcc_lo, v20, s10
	v_add_co_ci_u32_e64 v25, null, s11, v21, vcc_lo
	v_add_co_u32 v26, vcc_lo, v22, s10
	v_add_co_ci_u32_e64 v27, null, s11, v23, vcc_lo
	global_load_dword v33, v[18:19], off
	global_load_dword v34, v[20:21], off
	;; [unrolled: 1-line block ×5, first 2 shown]
	v_add_co_u32 v18, vcc_lo, v24, s10
	v_add_co_ci_u32_e64 v19, null, s11, v25, vcc_lo
	v_add_co_u32 v20, vcc_lo, v26, s10
	v_add_co_ci_u32_e64 v21, null, s11, v27, vcc_lo
	;; [unrolled: 2-line block ×4, first 2 shown]
	global_load_dword v26, v[18:19], off
	global_load_dword v27, v[20:21], off
	;; [unrolled: 1-line block ×4, first 2 shown]
	v_add_co_u32 v18, vcc_lo, v22, s10
	v_add_co_ci_u32_e64 v19, null, s11, v23, vcc_lo
	v_add_co_u32 v20, vcc_lo, v24, s10
	v_add_co_ci_u32_e64 v21, null, s11, v25, vcc_lo
	global_load_dword v18, v[18:19], off
	global_load_dword v19, v[20:21], off
	s_waitcnt vmcnt(16)
	ds_bpermute_b32 v20, v3, v17
	ds_bpermute_b32 v21, v9, v17
	ds_bpermute_b32 v22, v8, v17
	ds_bpermute_b32 v24, v10, v17
	s_add_u32 s16, s16, s4
	v_add_co_u32 v6, vcc_lo, v6, s18
	s_addc_u32 s17, s17, 0
	v_add_co_ci_u32_e64 v7, null, s19, v7, vcc_lo
	v_add_co_u32 v4, vcc_lo, v4, s4
	v_cmp_lt_i64_e64 s1, s[16:17], s[8:9]
	v_add_co_ci_u32_e64 v5, null, 0, v5, vcc_lo
	v_add_co_u32 v15, vcc_lo, v15, s20
	v_add_co_ci_u32_e64 v16, null, s21, v16, vcc_lo
	s_and_b32 vcc_lo, exec_lo, s1
	s_waitcnt vmcnt(14)
	v_mul_f32_e32 v23, v28, v29
	s_waitcnt lgkmcnt(3)
	v_fmac_f32_e32 v2, v23, v20
	s_waitcnt vmcnt(12)
	v_mul_f32_e32 v20, v30, v31
	ds_bpermute_b32 v23, v11, v17
	s_waitcnt lgkmcnt(3)
	v_fmac_f32_e32 v2, v20, v21
	ds_bpermute_b32 v21, v12, v17
	s_waitcnt vmcnt(10)
	v_mul_f32_e32 v20, v32, v33
	s_waitcnt lgkmcnt(3)
	v_fmac_f32_e32 v2, v20, v22
	s_waitcnt vmcnt(8)
	v_mul_f32_e32 v20, v34, v35
	ds_bpermute_b32 v22, v13, v17
	ds_bpermute_b32 v17, v14, v17
	s_waitcnt lgkmcnt(4)
	v_fmac_f32_e32 v2, v20, v24
	s_waitcnt vmcnt(6)
	v_mul_f32_e32 v20, v36, v37
	s_waitcnt lgkmcnt(3)
	v_fmac_f32_e32 v2, v20, v23
	s_waitcnt vmcnt(4)
	v_mul_f32_e32 v20, v26, v27
	;; [unrolled: 4-line block ×4, first 2 shown]
	s_waitcnt lgkmcnt(0)
	v_fmac_f32_e32 v2, v18, v17
	s_cbranch_vccz .LBB158_9
.LBB158_6:                              ; =>This Inner Loop Header: Depth=1
	v_mov_b32_e32 v17, 0
	s_and_saveexec_b32 s1, s0
	s_cbranch_execz .LBB158_5
; %bb.7:                                ;   in Loop: Header=BB158_6 Depth=1
	v_mov_b32_e32 v17, 0
	s_mov_b32 s5, exec_lo
	v_cmpx_gt_i64_e64 s[8:9], v[4:5]
	s_cbranch_execz .LBB158_4
; %bb.8:                                ;   in Loop: Header=BB158_6 Depth=1
	global_load_dword v17, v[6:7], off
	s_branch .LBB158_4
.LBB158_9:
	v_mad_u32_u24 v3, v1, 33, v0
	v_lshrrev_b32_e32 v4, 5, v0
	s_mov_b32 s0, exec_lo
	v_lshl_add_u32 v3, v3, 2, 0
	v_add_nc_u32_e32 v1, v4, v1
	v_mov_b32_e32 v4, 0
	ds_write_b32 v3, v2
	ds_write_b32 v3, v4 offset:2112
	s_waitcnt lgkmcnt(0)
	s_barrier
	buffer_gl0_inv
	v_cmpx_gt_u32_e32 32, v1
	s_cbranch_execz .LBB158_19
; %bb.10:
	v_and_b32_e32 v2, 31, v0
	v_cmp_gt_u32_e32 vcc_lo, 16, v2
	v_mul_u32_u24_e32 v3, 33, v2
                                        ; implicit-def: $vgpr2
	s_and_saveexec_b32 s0, vcc_lo
	s_cbranch_execz .LBB158_12
; %bb.11:
	v_lshlrev_b32_e32 v2, 2, v1
	v_lshlrev_b32_e32 v4, 2, v3
	v_add3_u32 v2, 0, v2, v4
	ds_read_b32 v2, v2
.LBB158_12:
	s_or_b32 exec_lo, exec_lo, s0
	v_mbcnt_lo_u32_b32 v7, -1, 0
	s_cmp_lg_u64 s[2:3], 0
	s_mov_b32 s7, 0
	s_cselect_b32 s1, -1, 0
	s_lshl_b64 s[6:7], s[6:7], 7
	v_xor_b32_e32 v4, 8, v7
	v_xor_b32_e32 v5, 4, v7
	;; [unrolled: 1-line block ×3, first 2 shown]
	v_cmp_gt_i32_e64 s0, 32, v4
	v_cndmask_b32_e64 v4, v7, v4, s0
	v_cmp_gt_i32_e64 s0, 32, v5
	v_lshlrev_b32_e32 v4, 2, v4
	v_cndmask_b32_e64 v5, v7, v5, s0
	s_waitcnt lgkmcnt(0)
	ds_bpermute_b32 v6, v4, v2
	v_lshlrev_b32_e32 v5, 2, v5
	s_waitcnt lgkmcnt(0)
	v_add_f32_e32 v2, v2, v6
	v_xor_b32_e32 v6, 2, v7
	ds_bpermute_b32 v8, v5, v2
	v_cmp_gt_i32_e64 s0, 32, v6
	v_cndmask_b32_e64 v6, v7, v6, s0
	v_cmp_gt_i32_e64 s0, 32, v9
	v_lshlrev_b32_e32 v6, 2, v6
	v_cndmask_b32_e64 v7, v7, v9, s0
	v_cmp_eq_u32_e64 s0, 0, v0
	v_lshlrev_b32_e32 v7, 2, v7
	s_and_b32 s4, s0, s1
	s_add_u32 s1, s2, s6
	s_waitcnt lgkmcnt(0)
	v_add_f32_e32 v2, v2, v8
	s_addc_u32 s2, s3, s7
	ds_bpermute_b32 v8, v6, v2
	s_waitcnt lgkmcnt(0)
	v_add_f32_e32 v2, v2, v8
	ds_bpermute_b32 v8, v7, v2
	s_waitcnt lgkmcnt(0)
	v_add_f32_e32 v0, v2, v8
	s_and_saveexec_b32 s3, s4
	s_cbranch_execz .LBB158_14
; %bb.13:
	v_mov_b32_e32 v2, 0
	v_lshlrev_b64 v[8:9], 2, v[1:2]
	v_add_co_u32 v8, s0, s1, v8
	v_add_co_ci_u32_e64 v9, null, s2, v9, s0
	global_store_dword v[8:9], v0, off
.LBB158_14:
	s_or_b32 exec_lo, exec_lo, s3
	v_cmp_gt_u32_e64 s0, 16, v1
	s_and_b32 exec_lo, exec_lo, s0
	s_cbranch_execz .LBB158_19
; %bb.15:
	s_and_saveexec_b32 s0, vcc_lo
	s_cbranch_execz .LBB158_17
; %bb.16:
	v_lshlrev_b32_e32 v0, 2, v1
	v_lshlrev_b32_e32 v2, 2, v3
	v_add3_u32 v0, 0, v0, v2
	ds_read_b32 v0, v0 offset:64
.LBB158_17:
	s_or_b32 exec_lo, exec_lo, s0
	s_waitcnt lgkmcnt(0)
	ds_bpermute_b32 v2, v4, v0
	s_waitcnt lgkmcnt(0)
	v_add_f32_e32 v0, v0, v2
	ds_bpermute_b32 v2, v5, v0
	s_waitcnt lgkmcnt(0)
	v_add_f32_e32 v0, v0, v2
	;; [unrolled: 3-line block ×3, first 2 shown]
	ds_bpermute_b32 v3, v7, v0
	s_and_saveexec_b32 s0, s4
	s_xor_b32 s0, exec_lo, s0
	s_cbranch_execz .LBB158_19
; %bb.18:
	v_mov_b32_e32 v2, 0
	s_waitcnt lgkmcnt(0)
	v_add_f32_e32 v3, v0, v3
	v_lshlrev_b64 v[1:2], 2, v[1:2]
	v_add_co_u32 v0, vcc_lo, s1, v1
	v_add_co_ci_u32_e64 v1, null, s2, v2, vcc_lo
	global_store_dword v[0:1], v3, off offset:64
.LBB158_19:
	s_endpgm
	.section	.rodata,"a",@progbits
	.p2align	6, 0x0
	.amdhsa_kernel _ZN2at6native12_GLOBAL__N_135GammaBetaBackwardCUDAKernelTemplateIffLj32ELj16ELj128ELb0ELb1ELb1EEEvllPKT_S5_PKT0_S8_PS3_S9_
		.amdhsa_group_segment_fixed_size 0
		.amdhsa_private_segment_fixed_size 0
		.amdhsa_kernarg_size 320
		.amdhsa_user_sgpr_count 6
		.amdhsa_user_sgpr_private_segment_buffer 1
		.amdhsa_user_sgpr_dispatch_ptr 0
		.amdhsa_user_sgpr_queue_ptr 0
		.amdhsa_user_sgpr_kernarg_segment_ptr 1
		.amdhsa_user_sgpr_dispatch_id 0
		.amdhsa_user_sgpr_flat_scratch_init 0
		.amdhsa_user_sgpr_private_segment_size 0
		.amdhsa_wavefront_size32 1
		.amdhsa_uses_dynamic_stack 0
		.amdhsa_system_sgpr_private_segment_wavefront_offset 0
		.amdhsa_system_sgpr_workgroup_id_x 1
		.amdhsa_system_sgpr_workgroup_id_y 1
		.amdhsa_system_sgpr_workgroup_id_z 0
		.amdhsa_system_sgpr_workgroup_info 0
		.amdhsa_system_vgpr_workitem_id 1
		.amdhsa_next_free_vgpr 40
		.amdhsa_next_free_sgpr 22
		.amdhsa_reserve_vcc 1
		.amdhsa_reserve_flat_scratch 0
		.amdhsa_float_round_mode_32 0
		.amdhsa_float_round_mode_16_64 0
		.amdhsa_float_denorm_mode_32 3
		.amdhsa_float_denorm_mode_16_64 3
		.amdhsa_dx10_clamp 1
		.amdhsa_ieee_mode 1
		.amdhsa_fp16_overflow 0
		.amdhsa_workgroup_processor_mode 1
		.amdhsa_memory_ordered 1
		.amdhsa_forward_progress 1
		.amdhsa_shared_vgpr_count 0
		.amdhsa_exception_fp_ieee_invalid_op 0
		.amdhsa_exception_fp_denorm_src 0
		.amdhsa_exception_fp_ieee_div_zero 0
		.amdhsa_exception_fp_ieee_overflow 0
		.amdhsa_exception_fp_ieee_underflow 0
		.amdhsa_exception_fp_ieee_inexact 0
		.amdhsa_exception_int_div_zero 0
	.end_amdhsa_kernel
	.section	.text._ZN2at6native12_GLOBAL__N_135GammaBetaBackwardCUDAKernelTemplateIffLj32ELj16ELj128ELb0ELb1ELb1EEEvllPKT_S5_PKT0_S8_PS3_S9_,"axG",@progbits,_ZN2at6native12_GLOBAL__N_135GammaBetaBackwardCUDAKernelTemplateIffLj32ELj16ELj128ELb0ELb1ELb1EEEvllPKT_S5_PKT0_S8_PS3_S9_,comdat
.Lfunc_end158:
	.size	_ZN2at6native12_GLOBAL__N_135GammaBetaBackwardCUDAKernelTemplateIffLj32ELj16ELj128ELb0ELb1ELb1EEEvllPKT_S5_PKT0_S8_PS3_S9_, .Lfunc_end158-_ZN2at6native12_GLOBAL__N_135GammaBetaBackwardCUDAKernelTemplateIffLj32ELj16ELj128ELb0ELb1ELb1EEEvllPKT_S5_PKT0_S8_PS3_S9_
                                        ; -- End function
	.set _ZN2at6native12_GLOBAL__N_135GammaBetaBackwardCUDAKernelTemplateIffLj32ELj16ELj128ELb0ELb1ELb1EEEvllPKT_S5_PKT0_S8_PS3_S9_.num_vgpr, 40
	.set _ZN2at6native12_GLOBAL__N_135GammaBetaBackwardCUDAKernelTemplateIffLj32ELj16ELj128ELb0ELb1ELb1EEEvllPKT_S5_PKT0_S8_PS3_S9_.num_agpr, 0
	.set _ZN2at6native12_GLOBAL__N_135GammaBetaBackwardCUDAKernelTemplateIffLj32ELj16ELj128ELb0ELb1ELb1EEEvllPKT_S5_PKT0_S8_PS3_S9_.numbered_sgpr, 22
	.set _ZN2at6native12_GLOBAL__N_135GammaBetaBackwardCUDAKernelTemplateIffLj32ELj16ELj128ELb0ELb1ELb1EEEvllPKT_S5_PKT0_S8_PS3_S9_.num_named_barrier, 0
	.set _ZN2at6native12_GLOBAL__N_135GammaBetaBackwardCUDAKernelTemplateIffLj32ELj16ELj128ELb0ELb1ELb1EEEvllPKT_S5_PKT0_S8_PS3_S9_.private_seg_size, 0
	.set _ZN2at6native12_GLOBAL__N_135GammaBetaBackwardCUDAKernelTemplateIffLj32ELj16ELj128ELb0ELb1ELb1EEEvllPKT_S5_PKT0_S8_PS3_S9_.uses_vcc, 1
	.set _ZN2at6native12_GLOBAL__N_135GammaBetaBackwardCUDAKernelTemplateIffLj32ELj16ELj128ELb0ELb1ELb1EEEvllPKT_S5_PKT0_S8_PS3_S9_.uses_flat_scratch, 0
	.set _ZN2at6native12_GLOBAL__N_135GammaBetaBackwardCUDAKernelTemplateIffLj32ELj16ELj128ELb0ELb1ELb1EEEvllPKT_S5_PKT0_S8_PS3_S9_.has_dyn_sized_stack, 0
	.set _ZN2at6native12_GLOBAL__N_135GammaBetaBackwardCUDAKernelTemplateIffLj32ELj16ELj128ELb0ELb1ELb1EEEvllPKT_S5_PKT0_S8_PS3_S9_.has_recursion, 0
	.set _ZN2at6native12_GLOBAL__N_135GammaBetaBackwardCUDAKernelTemplateIffLj32ELj16ELj128ELb0ELb1ELb1EEEvllPKT_S5_PKT0_S8_PS3_S9_.has_indirect_call, 0
	.section	.AMDGPU.csdata,"",@progbits
; Kernel info:
; codeLenInByte = 1604
; TotalNumSgprs: 24
; NumVgprs: 40
; ScratchSize: 0
; MemoryBound: 0
; FloatMode: 240
; IeeeMode: 1
; LDSByteSize: 0 bytes/workgroup (compile time only)
; SGPRBlocks: 0
; VGPRBlocks: 4
; NumSGPRsForWavesPerEU: 24
; NumVGPRsForWavesPerEU: 40
; Occupancy: 16
; WaveLimiterHint : 0
; COMPUTE_PGM_RSRC2:SCRATCH_EN: 0
; COMPUTE_PGM_RSRC2:USER_SGPR: 6
; COMPUTE_PGM_RSRC2:TRAP_HANDLER: 0
; COMPUTE_PGM_RSRC2:TGID_X_EN: 1
; COMPUTE_PGM_RSRC2:TGID_Y_EN: 1
; COMPUTE_PGM_RSRC2:TGID_Z_EN: 0
; COMPUTE_PGM_RSRC2:TIDIG_COMP_CNT: 1
	.section	.text._ZN2at6native12_GLOBAL__N_135GammaBetaBackwardCUDAKernelTemplateIffLj32ELj16ELj128ELb0ELb0ELb1EEEvllPKT_S5_PKT0_S8_PS3_S9_,"axG",@progbits,_ZN2at6native12_GLOBAL__N_135GammaBetaBackwardCUDAKernelTemplateIffLj32ELj16ELj128ELb0ELb0ELb1EEEvllPKT_S5_PKT0_S8_PS3_S9_,comdat
	.globl	_ZN2at6native12_GLOBAL__N_135GammaBetaBackwardCUDAKernelTemplateIffLj32ELj16ELj128ELb0ELb0ELb1EEEvllPKT_S5_PKT0_S8_PS3_S9_ ; -- Begin function _ZN2at6native12_GLOBAL__N_135GammaBetaBackwardCUDAKernelTemplateIffLj32ELj16ELj128ELb0ELb0ELb1EEEvllPKT_S5_PKT0_S8_PS3_S9_
	.p2align	8
	.type	_ZN2at6native12_GLOBAL__N_135GammaBetaBackwardCUDAKernelTemplateIffLj32ELj16ELj128ELb0ELb0ELb1EEEvllPKT_S5_PKT0_S8_PS3_S9_,@function
_ZN2at6native12_GLOBAL__N_135GammaBetaBackwardCUDAKernelTemplateIffLj32ELj16ELj128ELb0ELb0ELb1EEEvllPKT_S5_PKT0_S8_PS3_S9_: ; @_ZN2at6native12_GLOBAL__N_135GammaBetaBackwardCUDAKernelTemplateIffLj32ELj16ELj128ELb0ELb0ELb1EEEvllPKT_S5_PKT0_S8_PS3_S9_
; %bb.0:
	s_clause 0x1
	s_load_dwordx8 s[8:15], s[4:5], 0x0
	s_load_dwordx2 s[2:3], s[4:5], 0x28
	s_lshl_b32 s26, s6, 5
	s_mov_b32 s17, 0
	s_or_b32 s16, s26, 31
	s_waitcnt lgkmcnt(0)
	v_cmp_le_i64_e64 s0, s[10:11], s[16:17]
	s_lshl_b32 s16, s7, 7
	v_cmp_gt_i64_e64 s7, s[8:9], s[16:17]
	s_and_b32 vcc_lo, exec_lo, s0
	v_cndmask_b32_e64 v2, 0, 1, s7
	v_cmp_ne_u32_e64 s0, 1, v2
	s_cbranch_vccz .LBB159_49
; %bb.1:
	v_mov_b32_e32 v83, 0
	s_and_b32 vcc_lo, exec_lo, s0
	s_cbranch_vccnz .LBB159_50
; %bb.2:
	v_lshlrev_b32_e32 v21, 3, v1
	v_mov_b32_e32 v2, 0
	v_add_nc_u32_e32 v5, s26, v0
	s_load_dword s1, s[4:5], 0x44
	s_add_u32 s18, s4, 64
	v_add_co_u32 v11, s0, v21, s16
	v_add_co_ci_u32_e64 v12, null, 0, 0, s0
	v_mov_b32_e32 v6, v2
	v_mul_lo_u32 v7, s11, v11
	v_mad_u64_u32 v[3:4], null, s10, v11, 0
	v_mul_lo_u32 v8, s10, v12
	v_cmp_gt_i64_e64 s0, s[10:11], v[5:6]
	v_lshlrev_b64 v[19:20], 2, v[5:6]
	s_addc_u32 s19, s5, 0
	v_mov_b32_e32 v54, 0
	s_mov_b64 s[24:25], s[16:17]
	v_add3_u32 v4, v4, v8, v7
	v_add_co_u32 v7, vcc_lo, v11, 7
	v_add_co_ci_u32_e64 v8, null, 0, v12, vcc_lo
	v_lshlrev_b64 v[5:6], 2, v[3:4]
	v_mul_lo_u32 v13, s11, v7
	s_waitcnt lgkmcnt(0)
	s_lshl_b32 s27, s1, 7
	v_mul_lo_u32 v14, s10, v8
	v_mad_u64_u32 v[7:8], null, s10, v7, 0
	v_add_co_u32 v22, vcc_lo, s12, v5
	v_add_co_ci_u32_e64 v23, null, s13, v6, vcc_lo
	v_add_co_u32 v9, vcc_lo, v11, 6
	v_add_co_ci_u32_e64 v10, null, 0, v12, vcc_lo
	v_add_co_u32 v24, vcc_lo, s14, v5
	v_mul_lo_u32 v15, s11, v9
	v_mul_lo_u32 v16, s10, v10
	v_mad_u64_u32 v[9:10], null, s10, v9, 0
	v_add3_u32 v8, v8, v14, v13
	v_add_co_ci_u32_e64 v25, null, s15, v6, vcc_lo
	v_add_co_u32 v13, vcc_lo, v11, 5
	v_add_co_ci_u32_e64 v14, null, 0, v12, vcc_lo
	v_add3_u32 v10, v10, v16, v15
	v_lshlrev_b64 v[5:6], 2, v[7:8]
	v_mul_lo_u32 v15, s11, v13
	v_mul_lo_u32 v14, s10, v14
	s_mul_i32 s1, s11, s27
	v_lshlrev_b64 v[7:8], 2, v[9:10]
	v_mad_u64_u32 v[9:10], null, s10, v13, 0
	v_add_co_u32 v26, vcc_lo, s12, v5
	v_add_co_ci_u32_e64 v27, null, s13, v6, vcc_lo
	v_add_co_u32 v28, vcc_lo, s14, v5
	v_add_co_ci_u32_e64 v29, null, s15, v6, vcc_lo
	v_add_co_u32 v30, vcc_lo, s12, v7
	v_add3_u32 v10, v10, v14, v15
	s_mul_hi_u32 s20, s10, s27
	v_add_co_ci_u32_e64 v31, null, s13, v8, vcc_lo
	v_add_co_u32 v13, vcc_lo, v11, 4
	s_add_i32 s21, s20, s1
	v_add_co_u32 v32, s1, s14, v7
	v_add_co_ci_u32_e64 v7, null, 0, v12, vcc_lo
	v_lshlrev_b64 v[5:6], 2, v[9:10]
	v_add_co_u32 v9, vcc_lo, v11, 3
	v_add_co_ci_u32_e64 v10, null, 0, v12, vcc_lo
	v_add_co_ci_u32_e64 v33, null, s15, v8, s1
	v_mul_lo_u32 v14, s11, v13
	v_mul_lo_u32 v15, s10, v7
	v_mad_u64_u32 v[7:8], null, s10, v13, 0
	v_mul_lo_u32 v13, s11, v9
	v_mul_lo_u32 v16, s10, v10
	v_mad_u64_u32 v[9:10], null, s10, v9, 0
	v_add_co_u32 v34, vcc_lo, s12, v5
	v_add_co_ci_u32_e64 v35, null, s13, v6, vcc_lo
	v_add3_u32 v8, v8, v15, v14
	v_add_co_u32 v36, vcc_lo, s14, v5
	v_add_co_ci_u32_e64 v37, null, s15, v6, vcc_lo
	v_add_co_u32 v11, vcc_lo, v11, 2
	v_add3_u32 v10, v10, v16, v13
	v_add_co_ci_u32_e64 v12, null, 0, v12, vcc_lo
	v_lshlrev_b64 v[5:6], 2, v[7:8]
	v_mul_lo_u32 v13, s11, v11
	v_lshlrev_b64 v[7:8], 2, v[9:10]
	v_mul_lo_u32 v12, s10, v12
	v_mad_u64_u32 v[9:10], null, s10, v11, 0
	v_add_co_u32 v38, vcc_lo, s12, v5
	v_add_co_ci_u32_e64 v39, null, s13, v6, vcc_lo
	v_add_co_u32 v40, vcc_lo, s14, v5
	v_add_co_ci_u32_e64 v41, null, s15, v6, vcc_lo
	;; [unrolled: 2-line block ×3, first 2 shown]
	v_add3_u32 v10, v10, v12, v13
	v_add_co_u32 v44, vcc_lo, s14, v7
	v_add_co_ci_u32_e64 v45, null, s15, v8, vcc_lo
	v_add_co_u32 v3, vcc_lo, v3, s10
	v_add_co_ci_u32_e64 v4, null, s11, v4, vcc_lo
	v_lshlrev_b64 v[5:6], 2, v[9:10]
	s_mul_i32 s20, s10, s27
	v_lshlrev_b64 v[3:4], 2, v[3:4]
	s_lshl_b64 s[20:21], s[20:21], 2
	s_add_u32 s22, s16, 0x7f
	v_add_co_u32 v46, vcc_lo, s12, v5
	v_add_co_ci_u32_e64 v47, null, s13, v6, vcc_lo
	v_add_co_u32 v48, vcc_lo, s14, v5
	v_add_co_ci_u32_e64 v49, null, s15, v6, vcc_lo
	;; [unrolled: 2-line block ×4, first 2 shown]
	s_addc_u32 s23, 0, 0
.LBB159_3:                              ; =>This Inner Loop Header: Depth=1
	v_cmp_ge_i64_e64 s1, s[22:23], s[8:9]
	v_add_co_u32 v55, s28, v21, s22
	v_add_co_ci_u32_e64 v56, null, 0, s23, s28
                                        ; implicit-def: $vgpr3_vgpr4_vgpr5_vgpr6_vgpr7_vgpr8_vgpr9_vgpr10
                                        ; implicit-def: $vgpr83
                                        ; implicit-def: $vgpr11_vgpr12_vgpr13_vgpr14_vgpr15_vgpr16_vgpr17_vgpr18
                                        ; implicit-def: $vgpr3
	s_and_b32 vcc_lo, exec_lo, s1
	s_mov_b32 s1, -1
	s_cbranch_vccz .LBB159_25
; %bb.4:                                ;   in Loop: Header=BB159_3 Depth=1
	s_load_dword s1, s[18:19], 0xc
	v_mov_b32_e32 v57, 0
	s_waitcnt lgkmcnt(0)
	s_and_b32 s1, s1, 0xffff
	v_mad_u32_u24 v3, v1, s1, v0
	s_mov_b32 s1, exec_lo
	v_and_b32_e32 v3, 31, v3
	v_cmpx_gt_u32_e32 8, v3
	s_cbranch_execz .LBB159_8
; %bb.5:                                ;   in Loop: Header=BB159_3 Depth=1
	v_add_co_u32 v3, vcc_lo, v55, v3
	v_add_co_ci_u32_e64 v4, null, 0, v56, vcc_lo
	v_mov_b32_e32 v57, 0
	v_add_co_u32 v3, vcc_lo, 0xffffff81, v3
	v_add_co_ci_u32_e64 v4, null, -1, v4, vcc_lo
	s_mov_b32 s28, exec_lo
	v_cmpx_gt_i64_e64 s[8:9], v[3:4]
	s_cbranch_execz .LBB159_7
; %bb.6:                                ;   in Loop: Header=BB159_3 Depth=1
	v_lshlrev_b64 v[3:4], 2, v[3:4]
	v_add_co_u32 v3, vcc_lo, s2, v3
	v_add_co_ci_u32_e64 v4, null, s3, v4, vcc_lo
	global_load_dword v57, v[3:4], off
.LBB159_7:                              ;   in Loop: Header=BB159_3 Depth=1
	s_or_b32 exec_lo, exec_lo, s28
.LBB159_8:                              ;   in Loop: Header=BB159_3 Depth=1
	s_or_b32 exec_lo, exec_lo, s1
	v_add_co_u32 v10, vcc_lo, 0xffffff81, v55
	v_add_co_ci_u32_e64 v11, null, -1, v56, vcc_lo
	v_mov_b32_e32 v9, v2
	v_mov_b32_e32 v3, v2
	;; [unrolled: 1-line block ×7, first 2 shown]
	v_cmp_gt_i64_e32 vcc_lo, s[8:9], v[10:11]
	v_mov_b32_e32 v18, v9
	v_mov_b32_e32 v15, v6
	;; [unrolled: 1-line block ×16, first 2 shown]
	s_and_b32 s28, s0, vcc_lo
	s_and_saveexec_b32 s1, s28
	s_cbranch_execz .LBB159_10
; %bb.9:                                ;   in Loop: Header=BB159_3 Depth=1
	v_add_co_u32 v3, vcc_lo, v22, v19
	v_add_co_ci_u32_e64 v4, null, v23, v20, vcc_lo
	v_add_co_u32 v5, vcc_lo, v24, v19
	v_add_co_ci_u32_e64 v6, null, v25, v20, vcc_lo
	global_load_dword v3, v[3:4], off
	global_load_dword v11, v[5:6], off
	v_mov_b32_e32 v4, v2
	v_mov_b32_e32 v5, v2
	;; [unrolled: 1-line block ×14, first 2 shown]
.LBB159_10:                             ;   in Loop: Header=BB159_3 Depth=1
	s_or_b32 exec_lo, exec_lo, s1
	v_add_co_u32 v58, vcc_lo, 0xffffff82, v55
	v_add_co_ci_u32_e64 v59, null, -1, v56, vcc_lo
	v_cmp_gt_i64_e32 vcc_lo, s[8:9], v[58:59]
	s_and_b32 s28, s0, vcc_lo
	s_and_saveexec_b32 s1, s28
	s_cbranch_execz .LBB159_12
; %bb.11:                               ;   in Loop: Header=BB159_3 Depth=1
	v_add_co_u32 v58, vcc_lo, v50, v19
	v_add_co_ci_u32_e64 v59, null, v51, v20, vcc_lo
	v_add_co_u32 v60, vcc_lo, v52, v19
	v_add_co_ci_u32_e64 v61, null, v53, v20, vcc_lo
	global_load_dword v4, v[58:59], off
	global_load_dword v12, v[60:61], off
.LBB159_12:                             ;   in Loop: Header=BB159_3 Depth=1
	s_or_b32 exec_lo, exec_lo, s1
	v_add_co_u32 v58, vcc_lo, 0xffffff83, v55
	v_add_co_ci_u32_e64 v59, null, -1, v56, vcc_lo
	v_cmp_gt_i64_e32 vcc_lo, s[8:9], v[58:59]
	s_and_b32 s28, s0, vcc_lo
	s_and_saveexec_b32 s1, s28
	s_cbranch_execz .LBB159_14
; %bb.13:                               ;   in Loop: Header=BB159_3 Depth=1
	v_add_co_u32 v58, vcc_lo, v46, v19
	v_add_co_ci_u32_e64 v59, null, v47, v20, vcc_lo
	v_add_co_u32 v60, vcc_lo, v48, v19
	v_add_co_ci_u32_e64 v61, null, v49, v20, vcc_lo
	global_load_dword v5, v[58:59], off
	global_load_dword v13, v[60:61], off
.LBB159_14:                             ;   in Loop: Header=BB159_3 Depth=1
	s_or_b32 exec_lo, exec_lo, s1
	v_add_co_u32 v58, vcc_lo, 0xffffff84, v55
	v_add_co_ci_u32_e64 v59, null, -1, v56, vcc_lo
	v_cmp_gt_i64_e32 vcc_lo, s[8:9], v[58:59]
	s_and_b32 s28, s0, vcc_lo
	s_and_saveexec_b32 s1, s28
	s_cbranch_execz .LBB159_16
; %bb.15:                               ;   in Loop: Header=BB159_3 Depth=1
	v_add_co_u32 v58, vcc_lo, v42, v19
	v_add_co_ci_u32_e64 v59, null, v43, v20, vcc_lo
	v_add_co_u32 v60, vcc_lo, v44, v19
	v_add_co_ci_u32_e64 v61, null, v45, v20, vcc_lo
	global_load_dword v6, v[58:59], off
	global_load_dword v14, v[60:61], off
.LBB159_16:                             ;   in Loop: Header=BB159_3 Depth=1
	s_or_b32 exec_lo, exec_lo, s1
	v_add_co_u32 v58, vcc_lo, 0xffffff85, v55
	v_add_co_ci_u32_e64 v59, null, -1, v56, vcc_lo
	v_cmp_gt_i64_e32 vcc_lo, s[8:9], v[58:59]
	s_and_b32 s28, s0, vcc_lo
	s_and_saveexec_b32 s1, s28
	s_cbranch_execz .LBB159_18
; %bb.17:                               ;   in Loop: Header=BB159_3 Depth=1
	v_add_co_u32 v58, vcc_lo, v38, v19
	v_add_co_ci_u32_e64 v59, null, v39, v20, vcc_lo
	v_add_co_u32 v60, vcc_lo, v40, v19
	v_add_co_ci_u32_e64 v61, null, v41, v20, vcc_lo
	global_load_dword v7, v[58:59], off
	global_load_dword v15, v[60:61], off
.LBB159_18:                             ;   in Loop: Header=BB159_3 Depth=1
	s_or_b32 exec_lo, exec_lo, s1
	v_add_co_u32 v58, vcc_lo, 0xffffff86, v55
	v_add_co_ci_u32_e64 v59, null, -1, v56, vcc_lo
	v_cmp_gt_i64_e32 vcc_lo, s[8:9], v[58:59]
	s_and_b32 s28, s0, vcc_lo
	s_and_saveexec_b32 s1, s28
	s_cbranch_execz .LBB159_20
; %bb.19:                               ;   in Loop: Header=BB159_3 Depth=1
	v_add_co_u32 v58, vcc_lo, v34, v19
	v_add_co_ci_u32_e64 v59, null, v35, v20, vcc_lo
	v_add_co_u32 v60, vcc_lo, v36, v19
	v_add_co_ci_u32_e64 v61, null, v37, v20, vcc_lo
	global_load_dword v8, v[58:59], off
	global_load_dword v16, v[60:61], off
.LBB159_20:                             ;   in Loop: Header=BB159_3 Depth=1
	s_or_b32 exec_lo, exec_lo, s1
	v_add_co_u32 v58, vcc_lo, 0xffffff87, v55
	v_add_co_ci_u32_e64 v59, null, -1, v56, vcc_lo
	v_cmp_gt_i64_e32 vcc_lo, s[8:9], v[58:59]
	s_and_b32 s28, s0, vcc_lo
	s_and_saveexec_b32 s1, s28
	s_cbranch_execz .LBB159_22
; %bb.21:                               ;   in Loop: Header=BB159_3 Depth=1
	v_add_co_u32 v58, vcc_lo, v30, v19
	v_add_co_ci_u32_e64 v59, null, v31, v20, vcc_lo
	v_add_co_u32 v60, vcc_lo, v32, v19
	v_add_co_ci_u32_e64 v61, null, v33, v20, vcc_lo
	global_load_dword v9, v[58:59], off
	global_load_dword v17, v[60:61], off
.LBB159_22:                             ;   in Loop: Header=BB159_3 Depth=1
	s_or_b32 exec_lo, exec_lo, s1
	v_add_co_u32 v58, vcc_lo, 0xffffff88, v55
	v_add_co_ci_u32_e64 v59, null, -1, v56, vcc_lo
	v_cmp_gt_i64_e32 vcc_lo, s[8:9], v[58:59]
	s_and_b32 s28, s0, vcc_lo
	s_and_saveexec_b32 s1, s28
	s_cbranch_execz .LBB159_24
; %bb.23:                               ;   in Loop: Header=BB159_3 Depth=1
	v_add_co_u32 v58, vcc_lo, v26, v19
	v_add_co_ci_u32_e64 v59, null, v27, v20, vcc_lo
	v_add_co_u32 v60, vcc_lo, v28, v19
	v_add_co_ci_u32_e64 v61, null, v29, v20, vcc_lo
	global_load_dword v10, v[58:59], off
	global_load_dword v18, v[60:61], off
.LBB159_24:                             ;   in Loop: Header=BB159_3 Depth=1
	s_or_b32 exec_lo, exec_lo, s1
	s_waitcnt vmcnt(0)
	ds_bpermute_b32 v58, v2, v57
	ds_bpermute_b32 v59, v2, v57 offset:4
	ds_bpermute_b32 v60, v2, v57 offset:8
	v_mul_f32_e32 v3, v11, v3
	ds_bpermute_b32 v11, v2, v57 offset:12
	v_mul_f32_e32 v4, v12, v4
	;; [unrolled: 2-line block ×3, first 2 shown]
	s_mov_b32 s1, 0
	s_waitcnt lgkmcnt(4)
	v_fma_f32 v83, v3, v58, v54
	v_mul_f32_e32 v3, v13, v5
	ds_bpermute_b32 v5, v2, v57 offset:20
	s_waitcnt lgkmcnt(4)
	v_fmac_f32_e32 v83, v4, v59
	v_mul_f32_e32 v4, v14, v6
	ds_bpermute_b32 v6, v2, v57 offset:24
	s_waitcnt lgkmcnt(4)
	v_fmac_f32_e32 v83, v3, v60
	ds_bpermute_b32 v3, v2, v57 offset:28
	s_waitcnt lgkmcnt(4)
	v_fmac_f32_e32 v83, v4, v11
	v_mul_f32_e32 v4, v16, v8
	s_waitcnt lgkmcnt(3)
	v_fmac_f32_e32 v83, v7, v12
	s_waitcnt lgkmcnt(2)
	v_fmac_f32_e32 v83, v4, v5
	v_mul_f32_e32 v4, v17, v9
	s_waitcnt lgkmcnt(1)
	v_fmac_f32_e32 v83, v4, v6
.LBB159_25:                             ;   in Loop: Header=BB159_3 Depth=1
	s_and_b32 vcc_lo, exec_lo, s1
	s_cbranch_vccz .LBB159_40
; %bb.26:                               ;   in Loop: Header=BB159_3 Depth=1
	s_load_dword s1, s[18:19], 0x0
	v_mov_b32_e32 v57, 0
	s_waitcnt lgkmcnt(0)
	s_cmp_lt_u32 s6, s1
	s_cselect_b32 s1, 12, 18
	s_add_u32 s28, s18, s1
	s_addc_u32 s29, s19, 0
	s_mov_b32 s1, exec_lo
	global_load_ushort v3, v2, s[28:29]
	s_waitcnt vmcnt(0)
	v_mad_u32_u24 v3, v1, v3, v0
	v_and_b32_e32 v3, 31, v3
	v_cmpx_gt_u32_e32 8, v3
	s_cbranch_execz .LBB159_30
; %bb.27:                               ;   in Loop: Header=BB159_3 Depth=1
	v_add_co_u32 v3, vcc_lo, v55, v3
	v_add_co_ci_u32_e64 v4, null, 0, v56, vcc_lo
	v_mov_b32_e32 v57, 0
	v_add_co_u32 v3, vcc_lo, 0xffffff81, v3
	v_add_co_ci_u32_e64 v4, null, -1, v4, vcc_lo
	s_mov_b32 s28, exec_lo
	v_cmpx_gt_i64_e64 s[8:9], v[3:4]
	s_cbranch_execz .LBB159_29
; %bb.28:                               ;   in Loop: Header=BB159_3 Depth=1
	v_lshlrev_b64 v[3:4], 2, v[3:4]
	v_add_co_u32 v3, vcc_lo, s2, v3
	v_add_co_ci_u32_e64 v4, null, s3, v4, vcc_lo
	global_load_dword v57, v[3:4], off
.LBB159_29:                             ;   in Loop: Header=BB159_3 Depth=1
	s_or_b32 exec_lo, exec_lo, s28
.LBB159_30:                             ;   in Loop: Header=BB159_3 Depth=1
	s_or_b32 exec_lo, exec_lo, s1
	v_mov_b32_e32 v9, v2
	v_mov_b32_e32 v3, v2
	v_mov_b32_e32 v4, v2
	v_mov_b32_e32 v5, v2
	v_mov_b32_e32 v6, v2
	v_mov_b32_e32 v7, v2
	v_mov_b32_e32 v8, v2
	v_mov_b32_e32 v18, v9
	v_mov_b32_e32 v14, v5
	v_mov_b32_e32 v15, v6
	v_mov_b32_e32 v16, v7
	v_mov_b32_e32 v17, v8
	v_mov_b32_e32 v13, v4
	v_mov_b32_e32 v12, v3
	v_mov_b32_e32 v11, v2
	v_mov_b32_e32 v10, v9
	v_mov_b32_e32 v9, v8
	v_mov_b32_e32 v8, v7
	v_mov_b32_e32 v7, v6
	v_mov_b32_e32 v6, v5
	v_mov_b32_e32 v5, v4
	v_mov_b32_e32 v4, v3
	v_mov_b32_e32 v3, v2
	s_and_saveexec_b32 s1, s0
	s_cbranch_execnz .LBB159_42
; %bb.31:                               ;   in Loop: Header=BB159_3 Depth=1
	s_or_b32 exec_lo, exec_lo, s1
	s_and_saveexec_b32 s1, s0
	s_cbranch_execnz .LBB159_43
.LBB159_32:                             ;   in Loop: Header=BB159_3 Depth=1
	s_or_b32 exec_lo, exec_lo, s1
	s_and_saveexec_b32 s1, s0
	s_cbranch_execnz .LBB159_44
.LBB159_33:                             ;   in Loop: Header=BB159_3 Depth=1
	s_or_b32 exec_lo, exec_lo, s1
	s_and_saveexec_b32 s1, s0
	s_cbranch_execnz .LBB159_45
.LBB159_34:                             ;   in Loop: Header=BB159_3 Depth=1
	s_or_b32 exec_lo, exec_lo, s1
	s_and_saveexec_b32 s1, s0
	s_cbranch_execnz .LBB159_46
.LBB159_35:                             ;   in Loop: Header=BB159_3 Depth=1
	s_or_b32 exec_lo, exec_lo, s1
	s_and_saveexec_b32 s1, s0
	s_cbranch_execnz .LBB159_47
.LBB159_36:                             ;   in Loop: Header=BB159_3 Depth=1
	s_or_b32 exec_lo, exec_lo, s1
	s_and_saveexec_b32 s1, s0
	s_cbranch_execnz .LBB159_48
.LBB159_37:                             ;   in Loop: Header=BB159_3 Depth=1
	s_or_b32 exec_lo, exec_lo, s1
	s_and_saveexec_b32 s1, s0
	s_cbranch_execz .LBB159_39
.LBB159_38:                             ;   in Loop: Header=BB159_3 Depth=1
	v_add_co_u32 v55, vcc_lo, v26, v19
	v_add_co_ci_u32_e64 v56, null, v27, v20, vcc_lo
	v_add_co_u32 v58, vcc_lo, v28, v19
	v_add_co_ci_u32_e64 v59, null, v29, v20, vcc_lo
	global_load_dword v10, v[55:56], off
	global_load_dword v18, v[58:59], off
.LBB159_39:                             ;   in Loop: Header=BB159_3 Depth=1
	s_or_b32 exec_lo, exec_lo, s1
	s_waitcnt vmcnt(0)
	ds_bpermute_b32 v55, v2, v57
	ds_bpermute_b32 v56, v2, v57 offset:4
	ds_bpermute_b32 v58, v2, v57 offset:8
	v_mul_f32_e32 v3, v11, v3
	ds_bpermute_b32 v11, v2, v57 offset:12
	v_mul_f32_e32 v4, v12, v4
	ds_bpermute_b32 v12, v2, v57 offset:16
	s_waitcnt lgkmcnt(4)
	v_fmac_f32_e32 v54, v3, v55
	v_mul_f32_e32 v3, v13, v5
	ds_bpermute_b32 v5, v2, v57 offset:20
	s_waitcnt lgkmcnt(4)
	v_fmac_f32_e32 v54, v4, v56
	;; [unrolled: 4-line block ×3, first 2 shown]
	v_mul_f32_e32 v3, v15, v7
	s_waitcnt lgkmcnt(3)
	v_fmac_f32_e32 v54, v4, v11
	v_mul_f32_e32 v4, v16, v8
	s_waitcnt lgkmcnt(2)
	v_fmac_f32_e32 v54, v3, v12
	ds_bpermute_b32 v3, v2, v57 offset:28
	s_waitcnt lgkmcnt(2)
	v_fmac_f32_e32 v54, v4, v5
	v_mul_f32_e32 v4, v17, v9
	s_waitcnt lgkmcnt(1)
	v_fmac_f32_e32 v54, v4, v6
	v_mov_b32_e32 v83, v54
.LBB159_40:                             ;   in Loop: Header=BB159_3 Depth=1
	v_add_co_u32 v22, vcc_lo, v22, s20
	v_add_co_ci_u32_e64 v23, null, s21, v23, vcc_lo
	v_add_co_u32 v24, vcc_lo, v24, s20
	v_add_co_ci_u32_e64 v25, null, s21, v25, vcc_lo
	;; [unrolled: 2-line block ×12, first 2 shown]
	v_add_co_u32 v46, vcc_lo, v46, s20
	s_add_u32 s24, s24, s27
	v_add_co_ci_u32_e64 v47, null, s21, v47, vcc_lo
	v_add_co_u32 v48, vcc_lo, v48, s20
	v_mul_f32_e32 v4, v10, v18
	s_addc_u32 s25, s25, 0
	v_add_co_ci_u32_e64 v49, null, s21, v49, vcc_lo
	v_add_co_u32 v50, vcc_lo, v50, s20
	v_cmp_lt_i64_e64 s1, s[24:25], s[8:9]
	v_add_co_ci_u32_e64 v51, null, s21, v51, vcc_lo
	v_add_co_u32 v52, vcc_lo, v52, s20
	s_waitcnt lgkmcnt(0)
	v_fmac_f32_e32 v83, v4, v3
	v_add_co_ci_u32_e64 v53, null, s21, v53, vcc_lo
	s_add_u32 s22, s22, s27
	s_addc_u32 s23, s23, 0
	s_and_b32 vcc_lo, exec_lo, s1
	s_cbranch_vccz .LBB159_50
; %bb.41:                               ;   in Loop: Header=BB159_3 Depth=1
	v_mov_b32_e32 v54, v83
	s_branch .LBB159_3
.LBB159_42:                             ;   in Loop: Header=BB159_3 Depth=1
	v_add_co_u32 v3, vcc_lo, v22, v19
	v_add_co_ci_u32_e64 v4, null, v23, v20, vcc_lo
	v_add_co_u32 v5, vcc_lo, v24, v19
	v_add_co_ci_u32_e64 v6, null, v25, v20, vcc_lo
	global_load_dword v3, v[3:4], off
	global_load_dword v11, v[5:6], off
	v_mov_b32_e32 v4, v2
	v_mov_b32_e32 v5, v2
	;; [unrolled: 1-line block ×14, first 2 shown]
	s_or_b32 exec_lo, exec_lo, s1
	s_and_saveexec_b32 s1, s0
	s_cbranch_execz .LBB159_32
.LBB159_43:                             ;   in Loop: Header=BB159_3 Depth=1
	v_add_co_u32 v55, vcc_lo, v50, v19
	v_add_co_ci_u32_e64 v56, null, v51, v20, vcc_lo
	v_add_co_u32 v58, vcc_lo, v52, v19
	v_add_co_ci_u32_e64 v59, null, v53, v20, vcc_lo
	global_load_dword v4, v[55:56], off
	global_load_dword v12, v[58:59], off
	s_or_b32 exec_lo, exec_lo, s1
	s_and_saveexec_b32 s1, s0
	s_cbranch_execz .LBB159_33
.LBB159_44:                             ;   in Loop: Header=BB159_3 Depth=1
	v_add_co_u32 v55, vcc_lo, v46, v19
	v_add_co_ci_u32_e64 v56, null, v47, v20, vcc_lo
	v_add_co_u32 v58, vcc_lo, v48, v19
	v_add_co_ci_u32_e64 v59, null, v49, v20, vcc_lo
	global_load_dword v5, v[55:56], off
	global_load_dword v13, v[58:59], off
	s_or_b32 exec_lo, exec_lo, s1
	s_and_saveexec_b32 s1, s0
	s_cbranch_execz .LBB159_34
.LBB159_45:                             ;   in Loop: Header=BB159_3 Depth=1
	v_add_co_u32 v55, vcc_lo, v42, v19
	v_add_co_ci_u32_e64 v56, null, v43, v20, vcc_lo
	v_add_co_u32 v58, vcc_lo, v44, v19
	v_add_co_ci_u32_e64 v59, null, v45, v20, vcc_lo
	global_load_dword v6, v[55:56], off
	global_load_dword v14, v[58:59], off
	s_or_b32 exec_lo, exec_lo, s1
	s_and_saveexec_b32 s1, s0
	s_cbranch_execz .LBB159_35
.LBB159_46:                             ;   in Loop: Header=BB159_3 Depth=1
	v_add_co_u32 v55, vcc_lo, v38, v19
	v_add_co_ci_u32_e64 v56, null, v39, v20, vcc_lo
	v_add_co_u32 v58, vcc_lo, v40, v19
	v_add_co_ci_u32_e64 v59, null, v41, v20, vcc_lo
	global_load_dword v7, v[55:56], off
	global_load_dword v15, v[58:59], off
	s_or_b32 exec_lo, exec_lo, s1
	s_and_saveexec_b32 s1, s0
	s_cbranch_execz .LBB159_36
.LBB159_47:                             ;   in Loop: Header=BB159_3 Depth=1
	v_add_co_u32 v55, vcc_lo, v34, v19
	v_add_co_ci_u32_e64 v56, null, v35, v20, vcc_lo
	v_add_co_u32 v58, vcc_lo, v36, v19
	v_add_co_ci_u32_e64 v59, null, v37, v20, vcc_lo
	global_load_dword v8, v[55:56], off
	global_load_dword v16, v[58:59], off
	s_or_b32 exec_lo, exec_lo, s1
	s_and_saveexec_b32 s1, s0
	s_cbranch_execz .LBB159_37
.LBB159_48:                             ;   in Loop: Header=BB159_3 Depth=1
	v_add_co_u32 v55, vcc_lo, v30, v19
	v_add_co_ci_u32_e64 v56, null, v31, v20, vcc_lo
	v_add_co_u32 v58, vcc_lo, v32, v19
	v_add_co_ci_u32_e64 v59, null, v33, v20, vcc_lo
	global_load_dword v9, v[55:56], off
	global_load_dword v17, v[58:59], off
	s_or_b32 exec_lo, exec_lo, s1
	s_and_saveexec_b32 s1, s0
	s_cbranch_execnz .LBB159_38
	s_branch .LBB159_39
.LBB159_49:
                                        ; implicit-def: $vgpr83
	s_branch .LBB159_51
.LBB159_50:
	s_cbranch_execnz .LBB159_83
.LBB159_51:
	v_mov_b32_e32 v83, 0
	s_andn2_b32 vcc_lo, exec_lo, s7
	s_cbranch_vccnz .LBB159_83
; %bb.52:
	s_load_dword s7, s[4:5], 0x44
	v_lshlrev_b32_e32 v49, 3, v1
	v_lshlrev_b32_e32 v6, 5, v1
	v_mov_b32_e32 v82, 0
	v_add_co_u32 v10, s0, v49, s16
	v_add_co_ci_u32_e64 v11, null, 0, 0, s0
	s_add_u32 s0, s4, 64
	v_mul_lo_u32 v4, s11, v10
	v_mad_u64_u32 v[2:3], null, s10, v10, 0
	v_mul_lo_u32 v5, s10, v11
	s_addc_u32 s1, s5, 0
	s_waitcnt lgkmcnt(0)
	s_lshl_b32 s7, s7, 7
	v_add3_u32 v3, v3, v5, v4
	s_mul_i32 s19, s11, s7
	s_mul_hi_u32 s20, s10, s7
	s_mul_i32 s18, s10, s7
	s_add_i32 s19, s20, s19
	v_lshlrev_b64 v[4:5], 2, v[2:3]
	s_lshl_b64 s[18:19], s[18:19], 2
	s_add_u32 s20, s16, 0x7f
	s_addc_u32 s21, 0, 0
	s_lshl_b64 s[22:23], s[16:17], 2
	v_add_co_u32 v6, s22, v6, s22
	v_add_co_ci_u32_e64 v7, null, 0, s23, s22
	v_add_co_u32 v8, vcc_lo, v6, 4
	v_add_co_ci_u32_e64 v9, null, 0, v7, vcc_lo
	v_add_co_u32 v50, vcc_lo, s12, v4
	v_add_co_ci_u32_e64 v51, null, s13, v5, vcc_lo
	;; [unrolled: 2-line block ×6, first 2 shown]
	v_add_co_u32 v41, vcc_lo, v6, 20
	v_mad_u64_u32 v[21:22], null, s10, v4, s[12:13]
	v_mul_lo_u32 v5, s10, v5
	v_mul_lo_u32 v15, s11, v4
	v_mad_u64_u32 v[35:36], null, s10, v4, s[14:15]
	v_add_co_ci_u32_e64 v29, null, 0, v7, vcc_lo
	v_add_co_u32 v43, vcc_lo, v6, 24
	v_add_co_ci_u32_e64 v31, null, 0, v7, vcc_lo
	v_add_co_u32 v6, vcc_lo, v6, 28
	v_mad_u64_u32 v[19:20], null, s10, v8, s[12:13]
	v_mul_lo_u32 v9, s10, v9
	v_mul_lo_u32 v12, s11, v8
	v_mad_u64_u32 v[33:34], null, s10, v8, s[14:15]
	v_add_co_ci_u32_e64 v7, null, 0, v7, vcc_lo
	v_add_co_u32 v4, vcc_lo, v10, 7
	v_add3_u32 v22, v15, v22, v5
	v_add3_u32 v36, v15, v36, v5
	v_add_co_ci_u32_e64 v5, null, 0, v11, vcc_lo
	v_mul_lo_u32 v57, s10, v7
	v_add_co_u32 v7, vcc_lo, v10, 6
	v_add3_u32 v20, v12, v20, v9
	v_add3_u32 v34, v12, v34, v9
	v_add_co_ci_u32_e64 v12, null, 0, v11, vcc_lo
	v_mul_lo_u32 v8, s11, v4
	v_mul_lo_u32 v9, s10, v5
	v_mad_u64_u32 v[4:5], null, s10, v4, 0
	v_mad_u64_u32 v[23:24], null, s10, v13, s[12:13]
	v_mul_lo_u32 v17, s11, v13
	v_mul_lo_u32 v55, s10, v31
	v_mad_u64_u32 v[31:32], null, s10, v6, s[12:13]
	v_mul_lo_u32 v58, s11, v6
	v_mad_u64_u32 v[37:38], null, s10, v13, s[14:15]
	v_mad_u64_u32 v[45:46], null, s10, v6, s[14:15]
	v_mul_lo_u32 v13, s11, v7
	v_mul_lo_u32 v12, s10, v12
	v_mad_u64_u32 v[6:7], null, s10, v7, 0
	v_add3_u32 v5, v5, v9, v8
	v_add_co_u32 v8, vcc_lo, v10, 5
	v_mad_u64_u32 v[27:28], null, s10, v41, s[12:13]
	v_mul_lo_u32 v48, s10, v29
	v_mul_lo_u32 v54, s11, v41
	v_mad_u64_u32 v[41:42], null, s10, v41, s[14:15]
	v_add3_u32 v7, v7, v12, v13
	v_add_co_ci_u32_e64 v9, null, 0, v11, vcc_lo
	v_mad_u64_u32 v[29:30], null, s10, v43, s[12:13]
	v_mul_lo_u32 v56, s11, v43
	v_mad_u64_u32 v[43:44], null, s10, v43, s[14:15]
	v_lshlrev_b64 v[4:5], 2, v[4:5]
	v_lshlrev_b64 v[6:7], 2, v[6:7]
	v_mul_lo_u32 v12, s11, v8
	v_mul_lo_u32 v13, s10, v9
	v_mad_u64_u32 v[8:9], null, s10, v8, 0
	v_add3_u32 v28, v54, v28, v48
	v_add3_u32 v42, v54, v42, v48
	v_add_co_u32 v54, vcc_lo, s12, v4
	v_add3_u32 v30, v56, v30, v55
	v_add3_u32 v44, v56, v44, v55
	v_add_co_ci_u32_e64 v55, null, s13, v5, vcc_lo
	v_add_co_u32 v56, vcc_lo, s14, v4
	v_add3_u32 v32, v58, v32, v57
	v_add3_u32 v46, v58, v46, v57
	v_add_co_ci_u32_e64 v57, null, s15, v5, vcc_lo
	v_add_co_u32 v58, vcc_lo, s12, v6
	v_add_co_ci_u32_e64 v59, null, s13, v7, vcc_lo
	v_add3_u32 v9, v9, v13, v12
	v_add_co_u32 v12, vcc_lo, v10, 4
	v_add_co_ci_u32_e64 v13, null, 0, v11, vcc_lo
	v_add_co_u32 v60, vcc_lo, s14, v6
	v_add_co_ci_u32_e64 v61, null, s15, v7, vcc_lo
	v_lshlrev_b64 v[4:5], 2, v[8:9]
	v_mul_lo_u32 v8, s11, v12
	v_mul_lo_u32 v9, s10, v13
	v_mad_u64_u32 v[6:7], null, s10, v12, 0
	v_mul_lo_u32 v14, s10, v14
	v_add_co_u32 v12, vcc_lo, v10, 3
	v_add_co_ci_u32_e64 v13, null, 0, v11, vcc_lo
	v_add_co_u32 v62, vcc_lo, s12, v4
	v_add_co_ci_u32_e64 v63, null, s13, v5, vcc_lo
	v_add3_u32 v7, v7, v9, v8
	v_add_co_u32 v10, vcc_lo, v10, 2
	v_add3_u32 v24, v17, v24, v14
	v_add3_u32 v38, v17, v38, v14
	v_mul_lo_u32 v14, s11, v12
	v_mul_lo_u32 v13, s10, v13
	v_mad_u64_u32 v[8:9], null, s10, v12, 0
	v_add_co_ci_u32_e64 v11, null, 0, v11, vcc_lo
	v_add_co_u32 v64, vcc_lo, s14, v4
	v_add_co_ci_u32_e64 v65, null, s15, v5, vcc_lo
	v_lshlrev_b64 v[4:5], 2, v[6:7]
	v_mul_lo_u32 v12, s11, v10
	v_mul_lo_u32 v11, s10, v11
	v_mad_u64_u32 v[6:7], null, s10, v10, 0
	v_add3_u32 v9, v9, v13, v14
	v_add_co_u32 v66, vcc_lo, s12, v4
	v_add_co_ci_u32_e64 v67, null, s13, v5, vcc_lo
	v_add_co_u32 v68, vcc_lo, s14, v4
	v_add_co_ci_u32_e64 v69, null, s15, v5, vcc_lo
	v_lshlrev_b64 v[4:5], 2, v[8:9]
	v_add3_u32 v7, v7, v11, v12
	v_add_co_u32 v2, vcc_lo, v2, s10
	v_add_co_ci_u32_e64 v3, null, s11, v3, vcc_lo
	v_lshlrev_b64 v[6:7], 2, v[6:7]
	v_add_co_u32 v70, vcc_lo, s12, v4
	v_add_co_ci_u32_e64 v71, null, s13, v5, vcc_lo
	v_add_co_u32 v72, vcc_lo, s14, v4
	v_lshlrev_b64 v[3:4], 2, v[2:3]
	v_mov_b32_e32 v2, 0
	v_mad_u64_u32 v[25:26], null, s10, v16, s[12:13]
	v_mul_lo_u32 v18, s10, v18
	v_mul_lo_u32 v47, s11, v16
	v_mad_u64_u32 v[39:40], null, s10, v16, s[14:15]
	v_add_co_ci_u32_e64 v73, null, s15, v5, vcc_lo
	v_add_co_u32 v74, vcc_lo, s12, v6
	v_add_co_ci_u32_e64 v75, null, s13, v7, vcc_lo
	v_add_co_u32 v76, vcc_lo, s14, v6
	v_add_nc_u32_e32 v5, s26, v0
	v_mov_b32_e32 v6, v2
	v_add_co_ci_u32_e64 v77, null, s15, v7, vcc_lo
	v_add_co_u32 v78, vcc_lo, s12, v3
	v_add_co_ci_u32_e64 v79, null, s13, v4, vcc_lo
	v_add_co_u32 v80, vcc_lo, s14, v3
	v_add3_u32 v26, v47, v26, v18
	v_add3_u32 v40, v47, v40, v18
	v_lshlrev_b64 v[47:48], 2, v[5:6]
	v_add_co_ci_u32_e64 v81, null, s15, v4, vcc_lo
.LBB159_53:                             ; =>This Inner Loop Header: Depth=1
	v_cmp_ge_i64_e64 s12, s[20:21], s[8:9]
	v_add_co_u32 v84, s13, v49, s20
	v_add_co_ci_u32_e64 v85, null, 0, s21, s13
                                        ; implicit-def: $vgpr83
	s_and_b32 vcc_lo, exec_lo, s12
	s_mov_b32 s12, -1
	s_cbranch_vccz .LBB159_75
; %bb.54:                               ;   in Loop: Header=BB159_53 Depth=1
	s_load_dword s12, s[0:1], 0xc
	v_mov_b32_e32 v86, 0
	s_waitcnt lgkmcnt(0)
	s_and_b32 s12, s12, 0xffff
	v_mad_u32_u24 v3, v1, s12, v0
	s_mov_b32 s12, exec_lo
	v_and_b32_e32 v3, 31, v3
	v_cmpx_gt_u32_e32 8, v3
	s_cbranch_execz .LBB159_58
; %bb.55:                               ;   in Loop: Header=BB159_53 Depth=1
	v_add_co_u32 v3, vcc_lo, v84, v3
	v_add_co_ci_u32_e64 v4, null, 0, v85, vcc_lo
	v_mov_b32_e32 v86, 0
	v_add_co_u32 v3, vcc_lo, 0xffffff81, v3
	v_add_co_ci_u32_e64 v4, null, -1, v4, vcc_lo
	s_mov_b32 s13, exec_lo
	v_cmpx_gt_i64_e64 s[8:9], v[3:4]
	s_cbranch_execz .LBB159_57
; %bb.56:                               ;   in Loop: Header=BB159_53 Depth=1
	v_lshlrev_b64 v[3:4], 2, v[3:4]
	v_add_co_u32 v3, vcc_lo, s2, v3
	v_add_co_ci_u32_e64 v4, null, s3, v4, vcc_lo
	global_load_dword v86, v[3:4], off
.LBB159_57:                             ;   in Loop: Header=BB159_53 Depth=1
	s_or_b32 exec_lo, exec_lo, s13
.LBB159_58:                             ;   in Loop: Header=BB159_53 Depth=1
	s_or_b32 exec_lo, exec_lo, s12
	v_add_co_u32 v10, vcc_lo, 0xffffff81, v84
	v_add_co_ci_u32_e64 v11, null, -1, v85, vcc_lo
	v_mov_b32_e32 v9, v2
	v_mov_b32_e32 v3, v2
	;; [unrolled: 1-line block ×7, first 2 shown]
	v_cmp_gt_i64_e32 vcc_lo, s[8:9], v[10:11]
	v_mov_b32_e32 v18, v9
	v_mov_b32_e32 v15, v6
	;; [unrolled: 1-line block ×16, first 2 shown]
	s_and_saveexec_b32 s12, vcc_lo
	s_cbranch_execz .LBB159_60
; %bb.59:                               ;   in Loop: Header=BB159_53 Depth=1
	v_add_co_u32 v3, vcc_lo, v50, v47
	v_add_co_ci_u32_e64 v4, null, v51, v48, vcc_lo
	v_add_co_u32 v5, vcc_lo, v52, v47
	v_add_co_ci_u32_e64 v6, null, v53, v48, vcc_lo
	global_load_dword v3, v[3:4], off
	global_load_dword v11, v[5:6], off
	v_mov_b32_e32 v4, v2
	v_mov_b32_e32 v5, v2
	v_mov_b32_e32 v6, v2
	v_mov_b32_e32 v7, v2
	v_mov_b32_e32 v8, v2
	v_mov_b32_e32 v9, v2
	v_mov_b32_e32 v10, v2
	v_mov_b32_e32 v12, v2
	v_mov_b32_e32 v13, v2
	v_mov_b32_e32 v14, v2
	v_mov_b32_e32 v15, v2
	v_mov_b32_e32 v16, v2
	v_mov_b32_e32 v17, v2
	v_mov_b32_e32 v18, v2
.LBB159_60:                             ;   in Loop: Header=BB159_53 Depth=1
	s_or_b32 exec_lo, exec_lo, s12
	v_add_co_u32 v87, vcc_lo, 0xffffff82, v84
	v_add_co_ci_u32_e64 v88, null, -1, v85, vcc_lo
	s_mov_b32 s12, exec_lo
	v_cmpx_gt_i64_e64 s[8:9], v[87:88]
	s_cbranch_execz .LBB159_62
; %bb.61:                               ;   in Loop: Header=BB159_53 Depth=1
	v_add_co_u32 v87, vcc_lo, v78, v47
	v_add_co_ci_u32_e64 v88, null, v79, v48, vcc_lo
	v_add_co_u32 v89, vcc_lo, v80, v47
	v_add_co_ci_u32_e64 v90, null, v81, v48, vcc_lo
	global_load_dword v4, v[87:88], off
	global_load_dword v12, v[89:90], off
.LBB159_62:                             ;   in Loop: Header=BB159_53 Depth=1
	s_or_b32 exec_lo, exec_lo, s12
	v_add_co_u32 v87, vcc_lo, 0xffffff83, v84
	v_add_co_ci_u32_e64 v88, null, -1, v85, vcc_lo
	s_mov_b32 s12, exec_lo
	v_cmpx_gt_i64_e64 s[8:9], v[87:88]
	s_cbranch_execz .LBB159_64
; %bb.63:                               ;   in Loop: Header=BB159_53 Depth=1
	v_add_co_u32 v87, vcc_lo, v74, v47
	v_add_co_ci_u32_e64 v88, null, v75, v48, vcc_lo
	v_add_co_u32 v89, vcc_lo, v76, v47
	v_add_co_ci_u32_e64 v90, null, v77, v48, vcc_lo
	global_load_dword v5, v[87:88], off
	global_load_dword v13, v[89:90], off
.LBB159_64:                             ;   in Loop: Header=BB159_53 Depth=1
	;; [unrolled: 14-line block ×7, first 2 shown]
	s_or_b32 exec_lo, exec_lo, s12
	s_waitcnt vmcnt(0)
	ds_bpermute_b32 v83, v2, v86
	ds_bpermute_b32 v87, v2, v86 offset:4
	ds_bpermute_b32 v88, v2, v86 offset:8
	v_mul_f32_e32 v3, v11, v3
	ds_bpermute_b32 v11, v2, v86 offset:12
	v_mul_f32_e32 v4, v12, v4
	ds_bpermute_b32 v12, v2, v86 offset:16
	s_mov_b32 s12, 0
	s_waitcnt lgkmcnt(4)
	v_fma_f32 v83, v3, v83, v82
	v_mul_f32_e32 v3, v13, v5
	ds_bpermute_b32 v5, v2, v86 offset:20
	s_waitcnt lgkmcnt(4)
	v_fmac_f32_e32 v83, v4, v87
	v_mul_f32_e32 v4, v14, v6
	ds_bpermute_b32 v6, v2, v86 offset:24
	s_waitcnt lgkmcnt(4)
	v_fmac_f32_e32 v83, v3, v88
	v_mul_f32_e32 v3, v15, v7
	v_mul_f32_e32 v7, v16, v8
	s_waitcnt lgkmcnt(3)
	v_fmac_f32_e32 v83, v4, v11
	ds_bpermute_b32 v4, v2, v86 offset:28
	s_waitcnt lgkmcnt(3)
	v_fmac_f32_e32 v83, v3, v12
	v_mul_f32_e32 v3, v17, v9
	s_waitcnt lgkmcnt(2)
	v_fmac_f32_e32 v83, v7, v5
	s_waitcnt lgkmcnt(1)
	v_fmac_f32_e32 v83, v3, v6
	v_mul_f32_e32 v3, v18, v10
	s_waitcnt lgkmcnt(0)
	v_fmac_f32_e32 v83, v3, v4
.LBB159_75:                             ;   in Loop: Header=BB159_53 Depth=1
	s_and_b32 vcc_lo, exec_lo, s12
	s_cbranch_vccz .LBB159_81
; %bb.76:                               ;   in Loop: Header=BB159_53 Depth=1
	s_load_dword s12, s[0:1], 0x0
	v_mov_b32_e32 v5, 0
	s_waitcnt lgkmcnt(0)
	s_cmp_lt_u32 s6, s12
	s_cselect_b32 s12, 12, 18
	s_add_u32 s12, s0, s12
	s_addc_u32 s13, s1, 0
	global_load_ushort v3, v2, s[12:13]
	s_mov_b32 s12, exec_lo
	s_waitcnt vmcnt(0)
	v_mad_u32_u24 v3, v1, v3, v0
	v_and_b32_e32 v3, 31, v3
	v_cmpx_gt_u32_e32 8, v3
	s_cbranch_execz .LBB159_80
; %bb.77:                               ;   in Loop: Header=BB159_53 Depth=1
	v_add_co_u32 v3, vcc_lo, v84, v3
	v_add_co_ci_u32_e64 v4, null, 0, v85, vcc_lo
	v_mov_b32_e32 v5, 0
	v_add_co_u32 v3, vcc_lo, 0xffffff81, v3
	v_add_co_ci_u32_e64 v4, null, -1, v4, vcc_lo
	s_mov_b32 s13, exec_lo
	v_cmpx_gt_i64_e64 s[8:9], v[3:4]
	s_cbranch_execz .LBB159_79
; %bb.78:                               ;   in Loop: Header=BB159_53 Depth=1
	v_lshlrev_b64 v[3:4], 2, v[3:4]
	v_add_co_u32 v3, vcc_lo, s2, v3
	v_add_co_ci_u32_e64 v4, null, s3, v4, vcc_lo
	global_load_dword v5, v[3:4], off
.LBB159_79:                             ;   in Loop: Header=BB159_53 Depth=1
	s_or_b32 exec_lo, exec_lo, s13
.LBB159_80:                             ;   in Loop: Header=BB159_53 Depth=1
	s_or_b32 exec_lo, exec_lo, s12
	v_add_co_u32 v3, vcc_lo, v50, v47
	v_add_co_ci_u32_e64 v4, null, v51, v48, vcc_lo
	v_add_co_u32 v6, vcc_lo, v52, v47
	v_add_co_ci_u32_e64 v7, null, v53, v48, vcc_lo
	;; [unrolled: 2-line block ×4, first 2 shown]
	global_load_dword v14, v[3:4], off
	global_load_dword v15, v[6:7], off
	;; [unrolled: 1-line block ×4, first 2 shown]
	v_add_co_u32 v3, vcc_lo, v21, v47
	v_add_co_ci_u32_e64 v4, null, v22, v48, vcc_lo
	v_add_co_u32 v6, vcc_lo, v35, v47
	v_add_co_ci_u32_e64 v7, null, v36, v48, vcc_lo
	;; [unrolled: 2-line block ×5, first 2 shown]
	global_load_dword v18, v[3:4], off
	global_load_dword v83, v[6:7], off
	;; [unrolled: 1-line block ×5, first 2 shown]
	v_add_co_u32 v3, vcc_lo, v39, v47
	v_add_co_ci_u32_e64 v4, null, v40, v48, vcc_lo
	v_add_co_u32 v6, vcc_lo, v27, v47
	v_add_co_ci_u32_e64 v7, null, v28, v48, vcc_lo
	;; [unrolled: 2-line block ×5, first 2 shown]
	global_load_dword v87, v[3:4], off
	global_load_dword v88, v[6:7], off
	;; [unrolled: 1-line block ×5, first 2 shown]
	v_add_co_u32 v3, vcc_lo, v31, v47
	v_add_co_ci_u32_e64 v4, null, v32, v48, vcc_lo
	v_add_co_u32 v6, vcc_lo, v45, v47
	v_add_co_ci_u32_e64 v7, null, v46, v48, vcc_lo
	global_load_dword v3, v[3:4], off
	global_load_dword v4, v[6:7], off
	s_waitcnt vmcnt(16)
	ds_bpermute_b32 v6, v2, v5
	ds_bpermute_b32 v7, v2, v5 offset:4
	ds_bpermute_b32 v11, v2, v5 offset:8
	;; [unrolled: 1-line block ×3, first 2 shown]
	s_waitcnt vmcnt(14)
	v_mul_f32_e32 v13, v14, v15
	ds_bpermute_b32 v14, v2, v5 offset:16
	s_waitcnt vmcnt(12)
	v_mul_f32_e32 v15, v16, v17
	s_waitcnt lgkmcnt(4)
	v_fmac_f32_e32 v82, v13, v6
	ds_bpermute_b32 v6, v2, v5 offset:20
	s_waitcnt lgkmcnt(4)
	v_fmac_f32_e32 v82, v15, v7
	ds_bpermute_b32 v7, v2, v5 offset:24
	ds_bpermute_b32 v5, v2, v5 offset:28
	s_waitcnt vmcnt(10)
	v_mul_f32_e32 v13, v18, v83
	s_waitcnt vmcnt(8)
	v_mul_f32_e32 v15, v84, v85
	s_waitcnt lgkmcnt(5)
	v_fmac_f32_e32 v82, v13, v11
	s_waitcnt lgkmcnt(4)
	v_fmac_f32_e32 v82, v15, v12
	s_waitcnt vmcnt(6)
	v_mul_f32_e32 v11, v86, v87
	s_waitcnt vmcnt(4)
	v_mul_f32_e32 v8, v88, v8
	;; [unrolled: 2-line block ×3, first 2 shown]
	s_waitcnt lgkmcnt(3)
	v_fmac_f32_e32 v82, v11, v14
	s_waitcnt lgkmcnt(2)
	v_fmac_f32_e32 v82, v8, v6
	s_waitcnt lgkmcnt(1)
	v_fmac_f32_e32 v82, v9, v7
	s_waitcnt vmcnt(0)
	v_mul_f32_e32 v3, v3, v4
	s_waitcnt lgkmcnt(0)
	v_fmac_f32_e32 v82, v3, v5
	v_mov_b32_e32 v83, v82
.LBB159_81:                             ;   in Loop: Header=BB159_53 Depth=1
	v_add_co_u32 v50, vcc_lo, v50, s18
	v_add_co_ci_u32_e64 v51, null, s19, v51, vcc_lo
	v_add_co_u32 v52, vcc_lo, v52, s18
	v_add_co_ci_u32_e64 v53, null, s19, v53, vcc_lo
	;; [unrolled: 2-line block ×26, first 2 shown]
	v_add_co_u32 v74, vcc_lo, v74, s18
	s_add_u32 s16, s16, s7
	v_add_co_ci_u32_e64 v75, null, s19, v75, vcc_lo
	v_add_co_u32 v76, vcc_lo, v76, s18
	s_addc_u32 s17, s17, 0
	v_add_co_ci_u32_e64 v77, null, s19, v77, vcc_lo
	v_add_co_u32 v78, vcc_lo, v78, s18
	v_cmp_ge_i64_e64 s12, s[16:17], s[8:9]
	v_add_co_ci_u32_e64 v79, null, s19, v79, vcc_lo
	v_add_co_u32 v80, vcc_lo, v80, s18
	v_add_co_ci_u32_e64 v81, null, s19, v81, vcc_lo
	s_add_u32 s20, s20, s7
	s_addc_u32 s21, s21, 0
	s_and_b32 vcc_lo, exec_lo, s12
	s_cbranch_vccnz .LBB159_83
; %bb.82:                               ;   in Loop: Header=BB159_53 Depth=1
	v_mov_b32_e32 v82, v83
	s_branch .LBB159_53
.LBB159_83:
	v_mad_u32_u24 v2, v1, 33, v0
	v_lshrrev_b32_e32 v3, 5, v0
	s_mov_b32 s0, exec_lo
	v_lshl_add_u32 v2, v2, 2, 0
	v_add_nc_u32_e32 v3, v3, v1
	v_mov_b32_e32 v1, 0
	ds_write_b32 v2, v83
	ds_write_b32 v2, v1 offset:2112
	s_waitcnt lgkmcnt(0)
	s_barrier
	buffer_gl0_inv
	v_cmpx_gt_u32_e32 32, v3
	s_cbranch_execz .LBB159_93
; %bb.84:
	s_load_dwordx2 s[2:3], s[4:5], 0x30
	v_and_b32_e32 v1, 31, v0
	v_cmp_gt_u32_e32 vcc_lo, 16, v1
	v_mul_u32_u24_e32 v4, 33, v1
                                        ; implicit-def: $vgpr1
	s_and_saveexec_b32 s0, vcc_lo
	s_cbranch_execz .LBB159_86
; %bb.85:
	v_lshlrev_b32_e32 v1, 2, v3
	v_lshlrev_b32_e32 v2, 2, v4
	v_add3_u32 v1, 0, v1, v2
	ds_read_b32 v1, v1
.LBB159_86:
	s_or_b32 exec_lo, exec_lo, s0
	v_mbcnt_lo_u32_b32 v2, -1, 0
	s_mov_b32 s7, 0
	s_lshl_b64 s[4:5], s[6:7], 5
	s_waitcnt lgkmcnt(0)
	s_cmp_eq_u64 s[2:3], 0
	v_xor_b32_e32 v5, 8, v2
	v_xor_b32_e32 v6, 4, v2
	;; [unrolled: 1-line block ×3, first 2 shown]
	s_cselect_b32 s6, -1, 0
	v_cmp_gt_i32_e64 s0, 32, v5
	v_cndmask_b32_e64 v5, v2, v5, s0
	v_cmp_gt_i32_e64 s0, 32, v6
	v_lshlrev_b32_e32 v5, 2, v5
	v_cndmask_b32_e64 v6, v2, v6, s0
	ds_bpermute_b32 v7, v5, v1
	v_lshlrev_b32_e32 v6, 2, v6
	s_waitcnt lgkmcnt(0)
	v_add_f32_e32 v1, v1, v7
	v_xor_b32_e32 v7, 2, v2
	ds_bpermute_b32 v8, v6, v1
	v_cmp_gt_i32_e64 s0, 32, v7
	v_cndmask_b32_e64 v7, v2, v7, s0
	v_cmp_gt_i32_e64 s0, 32, v9
	v_lshlrev_b32_e32 v7, 2, v7
	v_cndmask_b32_e64 v2, v2, v9, s0
	v_cmp_ne_u32_e64 s0, 0, v0
	s_waitcnt lgkmcnt(0)
	v_add_f32_e32 v1, v1, v8
	ds_bpermute_b32 v8, v7, v1
	s_waitcnt lgkmcnt(0)
	v_add_f32_e32 v9, v1, v8
	v_lshlrev_b32_e32 v8, 2, v2
	v_or_b32_e32 v1, s4, v3
	v_mov_b32_e32 v2, s5
	ds_bpermute_b32 v10, v8, v9
	v_cmp_le_i64_e64 s1, s[10:11], v[1:2]
	s_or_b32 s1, s0, s1
	s_nor_b32 s1, s6, s1
	s_waitcnt lgkmcnt(0)
	v_add_f32_e32 v0, v9, v10
	s_and_saveexec_b32 s7, s1
	s_cbranch_execz .LBB159_88
; %bb.87:
	v_lshlrev_b64 v[1:2], 2, v[1:2]
	v_add_co_u32 v1, s1, s2, v1
	v_add_co_ci_u32_e64 v2, null, s3, v2, s1
	global_store_dword v[1:2], v0, off
.LBB159_88:
	s_or_b32 exec_lo, exec_lo, s7
	v_cmp_gt_u32_e64 s1, 16, v3
	s_and_b32 exec_lo, exec_lo, s1
	s_cbranch_execz .LBB159_93
; %bb.89:
	s_and_saveexec_b32 s1, vcc_lo
	s_cbranch_execz .LBB159_91
; %bb.90:
	v_lshlrev_b32_e32 v0, 2, v3
	v_lshlrev_b32_e32 v1, 2, v4
	v_add3_u32 v0, 0, v0, v1
	ds_read_b32 v0, v0 offset:64
.LBB159_91:
	s_or_b32 exec_lo, exec_lo, s1
	s_waitcnt lgkmcnt(0)
	ds_bpermute_b32 v1, v5, v0
	v_add_nc_u32_e32 v2, 16, v3
	v_mov_b32_e32 v5, s5
	v_or_b32_e32 v4, s4, v2
	v_cmp_le_i64_e32 vcc_lo, s[10:11], v[4:5]
	s_or_b32 s0, s0, vcc_lo
	s_nor_b32 s0, s6, s0
	s_waitcnt lgkmcnt(0)
	v_add_f32_e32 v0, v0, v1
	ds_bpermute_b32 v1, v6, v0
	s_waitcnt lgkmcnt(0)
	v_add_f32_e32 v0, v0, v1
	ds_bpermute_b32 v1, v7, v0
	;; [unrolled: 3-line block ×3, first 2 shown]
	s_and_saveexec_b32 s1, s0
	s_xor_b32 s1, exec_lo, s1
	s_cbranch_execz .LBB159_93
; %bb.92:
	v_add_co_u32 v2, s0, s4, v3
	v_add_co_ci_u32_e64 v3, null, s5, 0, s0
	s_waitcnt lgkmcnt(0)
	v_add_f32_e32 v4, v0, v1
	v_lshlrev_b64 v[2:3], 2, v[2:3]
	v_add_co_u32 v0, vcc_lo, s2, v2
	v_add_co_ci_u32_e64 v1, null, s3, v3, vcc_lo
	global_store_dword v[0:1], v4, off offset:64
.LBB159_93:
	s_endpgm
	.section	.rodata,"a",@progbits
	.p2align	6, 0x0
	.amdhsa_kernel _ZN2at6native12_GLOBAL__N_135GammaBetaBackwardCUDAKernelTemplateIffLj32ELj16ELj128ELb0ELb0ELb1EEEvllPKT_S5_PKT0_S8_PS3_S9_
		.amdhsa_group_segment_fixed_size 0
		.amdhsa_private_segment_fixed_size 0
		.amdhsa_kernarg_size 320
		.amdhsa_user_sgpr_count 6
		.amdhsa_user_sgpr_private_segment_buffer 1
		.amdhsa_user_sgpr_dispatch_ptr 0
		.amdhsa_user_sgpr_queue_ptr 0
		.amdhsa_user_sgpr_kernarg_segment_ptr 1
		.amdhsa_user_sgpr_dispatch_id 0
		.amdhsa_user_sgpr_flat_scratch_init 0
		.amdhsa_user_sgpr_private_segment_size 0
		.amdhsa_wavefront_size32 1
		.amdhsa_uses_dynamic_stack 0
		.amdhsa_system_sgpr_private_segment_wavefront_offset 0
		.amdhsa_system_sgpr_workgroup_id_x 1
		.amdhsa_system_sgpr_workgroup_id_y 1
		.amdhsa_system_sgpr_workgroup_id_z 0
		.amdhsa_system_sgpr_workgroup_info 0
		.amdhsa_system_vgpr_workitem_id 1
		.amdhsa_next_free_vgpr 91
		.amdhsa_next_free_sgpr 30
		.amdhsa_reserve_vcc 1
		.amdhsa_reserve_flat_scratch 0
		.amdhsa_float_round_mode_32 0
		.amdhsa_float_round_mode_16_64 0
		.amdhsa_float_denorm_mode_32 3
		.amdhsa_float_denorm_mode_16_64 3
		.amdhsa_dx10_clamp 1
		.amdhsa_ieee_mode 1
		.amdhsa_fp16_overflow 0
		.amdhsa_workgroup_processor_mode 1
		.amdhsa_memory_ordered 1
		.amdhsa_forward_progress 1
		.amdhsa_shared_vgpr_count 0
		.amdhsa_exception_fp_ieee_invalid_op 0
		.amdhsa_exception_fp_denorm_src 0
		.amdhsa_exception_fp_ieee_div_zero 0
		.amdhsa_exception_fp_ieee_overflow 0
		.amdhsa_exception_fp_ieee_underflow 0
		.amdhsa_exception_fp_ieee_inexact 0
		.amdhsa_exception_int_div_zero 0
	.end_amdhsa_kernel
	.section	.text._ZN2at6native12_GLOBAL__N_135GammaBetaBackwardCUDAKernelTemplateIffLj32ELj16ELj128ELb0ELb0ELb1EEEvllPKT_S5_PKT0_S8_PS3_S9_,"axG",@progbits,_ZN2at6native12_GLOBAL__N_135GammaBetaBackwardCUDAKernelTemplateIffLj32ELj16ELj128ELb0ELb0ELb1EEEvllPKT_S5_PKT0_S8_PS3_S9_,comdat
.Lfunc_end159:
	.size	_ZN2at6native12_GLOBAL__N_135GammaBetaBackwardCUDAKernelTemplateIffLj32ELj16ELj128ELb0ELb0ELb1EEEvllPKT_S5_PKT0_S8_PS3_S9_, .Lfunc_end159-_ZN2at6native12_GLOBAL__N_135GammaBetaBackwardCUDAKernelTemplateIffLj32ELj16ELj128ELb0ELb0ELb1EEEvllPKT_S5_PKT0_S8_PS3_S9_
                                        ; -- End function
	.set _ZN2at6native12_GLOBAL__N_135GammaBetaBackwardCUDAKernelTemplateIffLj32ELj16ELj128ELb0ELb0ELb1EEEvllPKT_S5_PKT0_S8_PS3_S9_.num_vgpr, 91
	.set _ZN2at6native12_GLOBAL__N_135GammaBetaBackwardCUDAKernelTemplateIffLj32ELj16ELj128ELb0ELb0ELb1EEEvllPKT_S5_PKT0_S8_PS3_S9_.num_agpr, 0
	.set _ZN2at6native12_GLOBAL__N_135GammaBetaBackwardCUDAKernelTemplateIffLj32ELj16ELj128ELb0ELb0ELb1EEEvllPKT_S5_PKT0_S8_PS3_S9_.numbered_sgpr, 30
	.set _ZN2at6native12_GLOBAL__N_135GammaBetaBackwardCUDAKernelTemplateIffLj32ELj16ELj128ELb0ELb0ELb1EEEvllPKT_S5_PKT0_S8_PS3_S9_.num_named_barrier, 0
	.set _ZN2at6native12_GLOBAL__N_135GammaBetaBackwardCUDAKernelTemplateIffLj32ELj16ELj128ELb0ELb0ELb1EEEvllPKT_S5_PKT0_S8_PS3_S9_.private_seg_size, 0
	.set _ZN2at6native12_GLOBAL__N_135GammaBetaBackwardCUDAKernelTemplateIffLj32ELj16ELj128ELb0ELb0ELb1EEEvllPKT_S5_PKT0_S8_PS3_S9_.uses_vcc, 1
	.set _ZN2at6native12_GLOBAL__N_135GammaBetaBackwardCUDAKernelTemplateIffLj32ELj16ELj128ELb0ELb0ELb1EEEvllPKT_S5_PKT0_S8_PS3_S9_.uses_flat_scratch, 0
	.set _ZN2at6native12_GLOBAL__N_135GammaBetaBackwardCUDAKernelTemplateIffLj32ELj16ELj128ELb0ELb0ELb1EEEvllPKT_S5_PKT0_S8_PS3_S9_.has_dyn_sized_stack, 0
	.set _ZN2at6native12_GLOBAL__N_135GammaBetaBackwardCUDAKernelTemplateIffLj32ELj16ELj128ELb0ELb0ELb1EEEvllPKT_S5_PKT0_S8_PS3_S9_.has_recursion, 0
	.set _ZN2at6native12_GLOBAL__N_135GammaBetaBackwardCUDAKernelTemplateIffLj32ELj16ELj128ELb0ELb0ELb1EEEvllPKT_S5_PKT0_S8_PS3_S9_.has_indirect_call, 0
	.section	.AMDGPU.csdata,"",@progbits
; Kernel info:
; codeLenInByte = 7728
; TotalNumSgprs: 32
; NumVgprs: 91
; ScratchSize: 0
; MemoryBound: 0
; FloatMode: 240
; IeeeMode: 1
; LDSByteSize: 0 bytes/workgroup (compile time only)
; SGPRBlocks: 0
; VGPRBlocks: 11
; NumSGPRsForWavesPerEU: 32
; NumVGPRsForWavesPerEU: 91
; Occupancy: 10
; WaveLimiterHint : 0
; COMPUTE_PGM_RSRC2:SCRATCH_EN: 0
; COMPUTE_PGM_RSRC2:USER_SGPR: 6
; COMPUTE_PGM_RSRC2:TRAP_HANDLER: 0
; COMPUTE_PGM_RSRC2:TGID_X_EN: 1
; COMPUTE_PGM_RSRC2:TGID_Y_EN: 1
; COMPUTE_PGM_RSRC2:TGID_Z_EN: 0
; COMPUTE_PGM_RSRC2:TIDIG_COMP_CNT: 1
	.section	.text._ZN2at6native12_GLOBAL__N_135GammaBetaBackwardCUDAKernelTemplateIffLj32ELj32ELj256ELb0ELb1ELb1EEEvllPKT_S5_PKT0_S8_PS3_S9_,"axG",@progbits,_ZN2at6native12_GLOBAL__N_135GammaBetaBackwardCUDAKernelTemplateIffLj32ELj32ELj256ELb0ELb1ELb1EEEvllPKT_S5_PKT0_S8_PS3_S9_,comdat
	.globl	_ZN2at6native12_GLOBAL__N_135GammaBetaBackwardCUDAKernelTemplateIffLj32ELj32ELj256ELb0ELb1ELb1EEEvllPKT_S5_PKT0_S8_PS3_S9_ ; -- Begin function _ZN2at6native12_GLOBAL__N_135GammaBetaBackwardCUDAKernelTemplateIffLj32ELj32ELj256ELb0ELb1ELb1EEEvllPKT_S5_PKT0_S8_PS3_S9_
	.p2align	8
	.type	_ZN2at6native12_GLOBAL__N_135GammaBetaBackwardCUDAKernelTemplateIffLj32ELj32ELj256ELb0ELb1ELb1EEEvllPKT_S5_PKT0_S8_PS3_S9_,@function
_ZN2at6native12_GLOBAL__N_135GammaBetaBackwardCUDAKernelTemplateIffLj32ELj32ELj256ELb0ELb1ELb1EEEvllPKT_S5_PKT0_S8_PS3_S9_: ; @_ZN2at6native12_GLOBAL__N_135GammaBetaBackwardCUDAKernelTemplateIffLj32ELj32ELj256ELb0ELb1ELb1EEEvllPKT_S5_PKT0_S8_PS3_S9_
; %bb.0:
	s_load_dwordx4 s[8:11], s[4:5], 0x0
	s_lshl_b32 s16, s7, 8
	s_mov_b32 s17, 0
	s_waitcnt lgkmcnt(0)
	v_cmp_gt_i64_e64 s0, s[8:9], s[16:17]
	s_and_b32 vcc_lo, exec_lo, s0
	s_cbranch_vccnz .LBB160_2
; %bb.1:
	s_mov_b32 s0, s17
	s_load_dwordx2 s[2:3], s[4:5], 0x30
	v_mov_b32_e32 v2, 0
	s_andn2_b32 vcc_lo, exec_lo, s0
	s_cbranch_vccz .LBB160_3
	s_branch .LBB160_9
.LBB160_2:
	s_load_dwordx2 s[2:3], s[4:5], 0x30
	v_mov_b32_e32 v2, 0
.LBB160_3:
	s_clause 0x3
	s_load_dword s0, s[4:5], 0x4c
	s_load_dword s1, s[4:5], 0x44
	s_load_dwordx4 s[12:15], s[4:5], 0x10
	s_load_dwordx2 s[18:19], s[4:5], 0x28
	v_lshlrev_b32_e32 v4, 3, v1
	v_mov_b32_e32 v3, 0
	v_lshl_add_u32 v2, s6, 5, v0
	v_mov_b32_e32 v8, 4
	v_mov_b32_e32 v9, 8
	v_add_co_u32 v4, s4, v4, s16
	v_add_co_ci_u32_e64 v5, null, 0, 0, s4
	v_lshlrev_b64 v[15:16], 2, v[2:3]
	v_mul_lo_u32 v17, s11, v4
	v_mov_b32_e32 v10, 12
	v_mul_lo_u32 v18, s10, v5
	v_mov_b32_e32 v11, 16
	v_mov_b32_e32 v12, 20
	;; [unrolled: 1-line block ×3, first 2 shown]
	s_waitcnt lgkmcnt(0)
	s_and_b32 s0, s0, 0xffff
	s_lshl_b32 s4, s1, 8
	v_mad_u32_u24 v6, v1, s0, v0
	s_mul_i32 s1, s11, s4
	s_mul_hi_u32 s7, s10, s4
	v_mov_b32_e32 v14, 28
	v_mov_b32_e32 v2, 0
	v_and_b32_e32 v21, 31, v6
	v_mad_u64_u32 v[6:7], null, s10, v4, 0
	s_mov_b32 s5, 0
	s_add_i32 s21, s7, s1
	v_add_co_u32 v4, vcc_lo, v4, v21
	v_add_co_ci_u32_e64 v5, null, 0, v5, vcc_lo
	v_add3_u32 v7, v7, v18, v17
	v_cmp_gt_u32_e64 s0, 8, v21
	s_mul_i32 s20, s10, s4
	v_lshlrev_b64 v[17:18], 2, v[4:5]
	s_lshl_b64 s[20:21], s[20:21], 2
	v_lshlrev_b64 v[19:20], 2, v[6:7]
	s_lshl_b64 s[10:11], s[10:11], 2
	v_add_co_u32 v6, vcc_lo, s18, v17
	v_add_co_ci_u32_e64 v7, null, s19, v18, vcc_lo
	v_add_co_u32 v15, vcc_lo, v19, v15
	v_add_co_ci_u32_e64 v16, null, v20, v16, vcc_lo
	s_lshl_b64 s[18:19], s[4:5], 2
	s_branch .LBB160_6
.LBB160_4:                              ;   in Loop: Header=BB160_6 Depth=1
	s_or_b32 exec_lo, exec_lo, s5
.LBB160_5:                              ;   in Loop: Header=BB160_6 Depth=1
	s_or_b32 exec_lo, exec_lo, s1
	v_add_co_u32 v18, vcc_lo, s12, v15
	v_add_co_ci_u32_e64 v19, null, s13, v16, vcc_lo
	v_add_co_u32 v20, vcc_lo, s14, v15
	v_add_co_ci_u32_e64 v21, null, s15, v16, vcc_lo
	;; [unrolled: 2-line block ×5, first 2 shown]
	global_load_dword v28, v[18:19], off
	global_load_dword v29, v[20:21], off
	;; [unrolled: 1-line block ×5, first 2 shown]
	v_add_co_u32 v18, vcc_lo, v24, s10
	v_add_co_ci_u32_e64 v19, null, s11, v25, vcc_lo
	v_add_co_u32 v20, vcc_lo, v26, s10
	v_add_co_ci_u32_e64 v21, null, s11, v27, vcc_lo
	;; [unrolled: 2-line block ×5, first 2 shown]
	global_load_dword v33, v[18:19], off
	global_load_dword v34, v[20:21], off
	;; [unrolled: 1-line block ×5, first 2 shown]
	v_add_co_u32 v18, vcc_lo, v24, s10
	v_add_co_ci_u32_e64 v19, null, s11, v25, vcc_lo
	v_add_co_u32 v20, vcc_lo, v26, s10
	v_add_co_ci_u32_e64 v21, null, s11, v27, vcc_lo
	;; [unrolled: 2-line block ×4, first 2 shown]
	global_load_dword v26, v[18:19], off
	global_load_dword v27, v[20:21], off
	;; [unrolled: 1-line block ×4, first 2 shown]
	v_add_co_u32 v18, vcc_lo, v22, s10
	v_add_co_ci_u32_e64 v19, null, s11, v23, vcc_lo
	v_add_co_u32 v20, vcc_lo, v24, s10
	v_add_co_ci_u32_e64 v21, null, s11, v25, vcc_lo
	global_load_dword v18, v[18:19], off
	global_load_dword v19, v[20:21], off
	s_waitcnt vmcnt(16)
	ds_bpermute_b32 v20, v3, v17
	ds_bpermute_b32 v21, v8, v17
	;; [unrolled: 1-line block ×4, first 2 shown]
	s_add_u32 s16, s16, s4
	v_add_co_u32 v6, vcc_lo, v6, s18
	s_addc_u32 s17, s17, 0
	v_add_co_ci_u32_e64 v7, null, s19, v7, vcc_lo
	v_add_co_u32 v4, vcc_lo, v4, s4
	v_cmp_lt_i64_e64 s1, s[16:17], s[8:9]
	v_add_co_ci_u32_e64 v5, null, 0, v5, vcc_lo
	v_add_co_u32 v15, vcc_lo, v15, s20
	v_add_co_ci_u32_e64 v16, null, s21, v16, vcc_lo
	s_and_b32 vcc_lo, exec_lo, s1
	s_waitcnt vmcnt(14)
	v_mul_f32_e32 v23, v28, v29
	s_waitcnt lgkmcnt(3)
	v_fmac_f32_e32 v2, v23, v20
	s_waitcnt vmcnt(12)
	v_mul_f32_e32 v20, v30, v31
	ds_bpermute_b32 v23, v11, v17
	s_waitcnt lgkmcnt(3)
	v_fmac_f32_e32 v2, v20, v21
	ds_bpermute_b32 v21, v12, v17
	s_waitcnt vmcnt(10)
	v_mul_f32_e32 v20, v32, v33
	s_waitcnt lgkmcnt(3)
	v_fmac_f32_e32 v2, v20, v22
	s_waitcnt vmcnt(8)
	v_mul_f32_e32 v20, v34, v35
	ds_bpermute_b32 v22, v13, v17
	ds_bpermute_b32 v17, v14, v17
	s_waitcnt lgkmcnt(4)
	v_fmac_f32_e32 v2, v20, v24
	s_waitcnt vmcnt(6)
	v_mul_f32_e32 v20, v36, v37
	s_waitcnt lgkmcnt(3)
	v_fmac_f32_e32 v2, v20, v23
	s_waitcnt vmcnt(4)
	v_mul_f32_e32 v20, v26, v27
	;; [unrolled: 4-line block ×4, first 2 shown]
	s_waitcnt lgkmcnt(0)
	v_fmac_f32_e32 v2, v18, v17
	s_cbranch_vccz .LBB160_9
.LBB160_6:                              ; =>This Inner Loop Header: Depth=1
	v_mov_b32_e32 v17, 0
	s_and_saveexec_b32 s1, s0
	s_cbranch_execz .LBB160_5
; %bb.7:                                ;   in Loop: Header=BB160_6 Depth=1
	v_mov_b32_e32 v17, 0
	s_mov_b32 s5, exec_lo
	v_cmpx_gt_i64_e64 s[8:9], v[4:5]
	s_cbranch_execz .LBB160_4
; %bb.8:                                ;   in Loop: Header=BB160_6 Depth=1
	global_load_dword v17, v[6:7], off
	s_branch .LBB160_4
.LBB160_9:
	v_mad_u32_u24 v3, v1, 33, v0
	v_lshrrev_b32_e32 v4, 5, v0
	s_mov_b32 s0, exec_lo
	v_lshl_add_u32 v3, v3, 2, 0
	v_add_nc_u32_e32 v1, v4, v1
	v_mov_b32_e32 v4, 0
	ds_write_b32 v3, v2
	ds_write_b32 v3, v4 offset:4224
	s_waitcnt lgkmcnt(0)
	s_barrier
	buffer_gl0_inv
	v_cmpx_gt_u32_e32 32, v1
	s_cbranch_execz .LBB160_12
; %bb.10:
	v_and_b32_e32 v2, 31, v0
	v_lshlrev_b32_e32 v3, 2, v1
	s_cmp_lg_u64 s[2:3], 0
	s_cselect_b32 s0, -1, 0
	v_mul_u32_u24_e32 v2, 0x84, v2
	v_add3_u32 v2, 0, v3, v2
	v_mbcnt_lo_u32_b32 v3, -1, 0
	ds_read_b32 v2, v2
	v_xor_b32_e32 v4, 16, v3
	v_xor_b32_e32 v5, 8, v3
	v_cmp_gt_i32_e32 vcc_lo, 32, v4
	v_cndmask_b32_e32 v4, v3, v4, vcc_lo
	v_cmp_gt_i32_e32 vcc_lo, 32, v5
	v_lshlrev_b32_e32 v4, 2, v4
	v_cndmask_b32_e32 v5, v3, v5, vcc_lo
	s_waitcnt lgkmcnt(0)
	ds_bpermute_b32 v4, v4, v2
	v_lshlrev_b32_e32 v5, 2, v5
	s_waitcnt lgkmcnt(0)
	v_add_f32_e32 v2, v2, v4
	ds_bpermute_b32 v4, v5, v2
	v_xor_b32_e32 v5, 4, v3
	v_cmp_gt_i32_e32 vcc_lo, 32, v5
	v_cndmask_b32_e32 v5, v3, v5, vcc_lo
	v_lshlrev_b32_e32 v5, 2, v5
	s_waitcnt lgkmcnt(0)
	v_add_f32_e32 v2, v2, v4
	ds_bpermute_b32 v4, v5, v2
	v_xor_b32_e32 v5, 2, v3
	v_cmp_gt_i32_e32 vcc_lo, 32, v5
	v_cndmask_b32_e32 v5, v3, v5, vcc_lo
	;; [unrolled: 7-line block ×3, first 2 shown]
	v_cmp_eq_u32_e32 vcc_lo, 0, v0
	s_and_b32 s0, vcc_lo, s0
	s_waitcnt lgkmcnt(0)
	v_add_f32_e32 v3, v2, v4
	v_lshlrev_b32_e32 v2, 2, v5
	ds_bpermute_b32 v4, v2, v3
	s_and_b32 exec_lo, exec_lo, s0
	s_cbranch_execz .LBB160_12
; %bb.11:
	v_mov_b32_e32 v2, 0
	s_mov_b32 s7, 0
	s_lshl_b64 s[0:1], s[6:7], 7
	s_add_u32 s0, s2, s0
	v_lshlrev_b64 v[0:1], 2, v[1:2]
	s_addc_u32 s1, s3, s1
	s_waitcnt lgkmcnt(0)
	v_add_f32_e32 v2, v3, v4
	v_add_co_u32 v0, vcc_lo, s0, v0
	v_add_co_ci_u32_e64 v1, null, s1, v1, vcc_lo
	global_store_dword v[0:1], v2, off
.LBB160_12:
	s_endpgm
	.section	.rodata,"a",@progbits
	.p2align	6, 0x0
	.amdhsa_kernel _ZN2at6native12_GLOBAL__N_135GammaBetaBackwardCUDAKernelTemplateIffLj32ELj32ELj256ELb0ELb1ELb1EEEvllPKT_S5_PKT0_S8_PS3_S9_
		.amdhsa_group_segment_fixed_size 0
		.amdhsa_private_segment_fixed_size 0
		.amdhsa_kernarg_size 320
		.amdhsa_user_sgpr_count 6
		.amdhsa_user_sgpr_private_segment_buffer 1
		.amdhsa_user_sgpr_dispatch_ptr 0
		.amdhsa_user_sgpr_queue_ptr 0
		.amdhsa_user_sgpr_kernarg_segment_ptr 1
		.amdhsa_user_sgpr_dispatch_id 0
		.amdhsa_user_sgpr_flat_scratch_init 0
		.amdhsa_user_sgpr_private_segment_size 0
		.amdhsa_wavefront_size32 1
		.amdhsa_uses_dynamic_stack 0
		.amdhsa_system_sgpr_private_segment_wavefront_offset 0
		.amdhsa_system_sgpr_workgroup_id_x 1
		.amdhsa_system_sgpr_workgroup_id_y 1
		.amdhsa_system_sgpr_workgroup_id_z 0
		.amdhsa_system_sgpr_workgroup_info 0
		.amdhsa_system_vgpr_workitem_id 1
		.amdhsa_next_free_vgpr 40
		.amdhsa_next_free_sgpr 22
		.amdhsa_reserve_vcc 1
		.amdhsa_reserve_flat_scratch 0
		.amdhsa_float_round_mode_32 0
		.amdhsa_float_round_mode_16_64 0
		.amdhsa_float_denorm_mode_32 3
		.amdhsa_float_denorm_mode_16_64 3
		.amdhsa_dx10_clamp 1
		.amdhsa_ieee_mode 1
		.amdhsa_fp16_overflow 0
		.amdhsa_workgroup_processor_mode 1
		.amdhsa_memory_ordered 1
		.amdhsa_forward_progress 1
		.amdhsa_shared_vgpr_count 0
		.amdhsa_exception_fp_ieee_invalid_op 0
		.amdhsa_exception_fp_denorm_src 0
		.amdhsa_exception_fp_ieee_div_zero 0
		.amdhsa_exception_fp_ieee_overflow 0
		.amdhsa_exception_fp_ieee_underflow 0
		.amdhsa_exception_fp_ieee_inexact 0
		.amdhsa_exception_int_div_zero 0
	.end_amdhsa_kernel
	.section	.text._ZN2at6native12_GLOBAL__N_135GammaBetaBackwardCUDAKernelTemplateIffLj32ELj32ELj256ELb0ELb1ELb1EEEvllPKT_S5_PKT0_S8_PS3_S9_,"axG",@progbits,_ZN2at6native12_GLOBAL__N_135GammaBetaBackwardCUDAKernelTemplateIffLj32ELj32ELj256ELb0ELb1ELb1EEEvllPKT_S5_PKT0_S8_PS3_S9_,comdat
.Lfunc_end160:
	.size	_ZN2at6native12_GLOBAL__N_135GammaBetaBackwardCUDAKernelTemplateIffLj32ELj32ELj256ELb0ELb1ELb1EEEvllPKT_S5_PKT0_S8_PS3_S9_, .Lfunc_end160-_ZN2at6native12_GLOBAL__N_135GammaBetaBackwardCUDAKernelTemplateIffLj32ELj32ELj256ELb0ELb1ELb1EEEvllPKT_S5_PKT0_S8_PS3_S9_
                                        ; -- End function
	.set _ZN2at6native12_GLOBAL__N_135GammaBetaBackwardCUDAKernelTemplateIffLj32ELj32ELj256ELb0ELb1ELb1EEEvllPKT_S5_PKT0_S8_PS3_S9_.num_vgpr, 40
	.set _ZN2at6native12_GLOBAL__N_135GammaBetaBackwardCUDAKernelTemplateIffLj32ELj32ELj256ELb0ELb1ELb1EEEvllPKT_S5_PKT0_S8_PS3_S9_.num_agpr, 0
	.set _ZN2at6native12_GLOBAL__N_135GammaBetaBackwardCUDAKernelTemplateIffLj32ELj32ELj256ELb0ELb1ELb1EEEvllPKT_S5_PKT0_S8_PS3_S9_.numbered_sgpr, 22
	.set _ZN2at6native12_GLOBAL__N_135GammaBetaBackwardCUDAKernelTemplateIffLj32ELj32ELj256ELb0ELb1ELb1EEEvllPKT_S5_PKT0_S8_PS3_S9_.num_named_barrier, 0
	.set _ZN2at6native12_GLOBAL__N_135GammaBetaBackwardCUDAKernelTemplateIffLj32ELj32ELj256ELb0ELb1ELb1EEEvllPKT_S5_PKT0_S8_PS3_S9_.private_seg_size, 0
	.set _ZN2at6native12_GLOBAL__N_135GammaBetaBackwardCUDAKernelTemplateIffLj32ELj32ELj256ELb0ELb1ELb1EEEvllPKT_S5_PKT0_S8_PS3_S9_.uses_vcc, 1
	.set _ZN2at6native12_GLOBAL__N_135GammaBetaBackwardCUDAKernelTemplateIffLj32ELj32ELj256ELb0ELb1ELb1EEEvllPKT_S5_PKT0_S8_PS3_S9_.uses_flat_scratch, 0
	.set _ZN2at6native12_GLOBAL__N_135GammaBetaBackwardCUDAKernelTemplateIffLj32ELj32ELj256ELb0ELb1ELb1EEEvllPKT_S5_PKT0_S8_PS3_S9_.has_dyn_sized_stack, 0
	.set _ZN2at6native12_GLOBAL__N_135GammaBetaBackwardCUDAKernelTemplateIffLj32ELj32ELj256ELb0ELb1ELb1EEEvllPKT_S5_PKT0_S8_PS3_S9_.has_recursion, 0
	.set _ZN2at6native12_GLOBAL__N_135GammaBetaBackwardCUDAKernelTemplateIffLj32ELj32ELj256ELb0ELb1ELb1EEEvllPKT_S5_PKT0_S8_PS3_S9_.has_indirect_call, 0
	.section	.AMDGPU.csdata,"",@progbits
; Kernel info:
; codeLenInByte = 1412
; TotalNumSgprs: 24
; NumVgprs: 40
; ScratchSize: 0
; MemoryBound: 0
; FloatMode: 240
; IeeeMode: 1
; LDSByteSize: 0 bytes/workgroup (compile time only)
; SGPRBlocks: 0
; VGPRBlocks: 4
; NumSGPRsForWavesPerEU: 24
; NumVGPRsForWavesPerEU: 40
; Occupancy: 16
; WaveLimiterHint : 0
; COMPUTE_PGM_RSRC2:SCRATCH_EN: 0
; COMPUTE_PGM_RSRC2:USER_SGPR: 6
; COMPUTE_PGM_RSRC2:TRAP_HANDLER: 0
; COMPUTE_PGM_RSRC2:TGID_X_EN: 1
; COMPUTE_PGM_RSRC2:TGID_Y_EN: 1
; COMPUTE_PGM_RSRC2:TGID_Z_EN: 0
; COMPUTE_PGM_RSRC2:TIDIG_COMP_CNT: 1
	.section	.text._ZN2at6native12_GLOBAL__N_135GammaBetaBackwardCUDAKernelTemplateIffLj32ELj32ELj256ELb0ELb0ELb1EEEvllPKT_S5_PKT0_S8_PS3_S9_,"axG",@progbits,_ZN2at6native12_GLOBAL__N_135GammaBetaBackwardCUDAKernelTemplateIffLj32ELj32ELj256ELb0ELb0ELb1EEEvllPKT_S5_PKT0_S8_PS3_S9_,comdat
	.globl	_ZN2at6native12_GLOBAL__N_135GammaBetaBackwardCUDAKernelTemplateIffLj32ELj32ELj256ELb0ELb0ELb1EEEvllPKT_S5_PKT0_S8_PS3_S9_ ; -- Begin function _ZN2at6native12_GLOBAL__N_135GammaBetaBackwardCUDAKernelTemplateIffLj32ELj32ELj256ELb0ELb0ELb1EEEvllPKT_S5_PKT0_S8_PS3_S9_
	.p2align	8
	.type	_ZN2at6native12_GLOBAL__N_135GammaBetaBackwardCUDAKernelTemplateIffLj32ELj32ELj256ELb0ELb0ELb1EEEvllPKT_S5_PKT0_S8_PS3_S9_,@function
_ZN2at6native12_GLOBAL__N_135GammaBetaBackwardCUDAKernelTemplateIffLj32ELj32ELj256ELb0ELb0ELb1EEEvllPKT_S5_PKT0_S8_PS3_S9_: ; @_ZN2at6native12_GLOBAL__N_135GammaBetaBackwardCUDAKernelTemplateIffLj32ELj32ELj256ELb0ELb0ELb1EEEvllPKT_S5_PKT0_S8_PS3_S9_
; %bb.0:
	s_clause 0x1
	s_load_dwordx8 s[8:15], s[4:5], 0x0
	s_load_dwordx2 s[2:3], s[4:5], 0x28
	s_lshl_b32 s26, s6, 5
	s_mov_b32 s17, 0
	s_or_b32 s16, s26, 31
	s_waitcnt lgkmcnt(0)
	v_cmp_le_i64_e64 s0, s[10:11], s[16:17]
	s_lshl_b32 s16, s7, 8
	v_cmp_gt_i64_e64 s7, s[8:9], s[16:17]
	s_and_b32 vcc_lo, exec_lo, s0
	v_cndmask_b32_e64 v2, 0, 1, s7
	v_cmp_ne_u32_e64 s0, 1, v2
	s_cbranch_vccz .LBB161_49
; %bb.1:
	v_mov_b32_e32 v83, 0
	s_and_b32 vcc_lo, exec_lo, s0
	s_cbranch_vccnz .LBB161_50
; %bb.2:
	v_lshlrev_b32_e32 v21, 3, v1
	v_mov_b32_e32 v2, 0
	v_add_nc_u32_e32 v5, s26, v0
	s_load_dword s1, s[4:5], 0x44
	s_add_u32 s18, s4, 64
	v_add_co_u32 v11, s0, v21, s16
	v_add_co_ci_u32_e64 v12, null, 0, 0, s0
	v_mov_b32_e32 v6, v2
	v_mul_lo_u32 v7, s11, v11
	v_mad_u64_u32 v[3:4], null, s10, v11, 0
	v_mul_lo_u32 v8, s10, v12
	v_cmp_gt_i64_e64 s0, s[10:11], v[5:6]
	v_lshlrev_b64 v[19:20], 2, v[5:6]
	s_addc_u32 s19, s5, 0
	v_mov_b32_e32 v54, 0
	s_mov_b64 s[24:25], s[16:17]
	v_add3_u32 v4, v4, v8, v7
	v_add_co_u32 v7, vcc_lo, v11, 7
	v_add_co_ci_u32_e64 v8, null, 0, v12, vcc_lo
	v_lshlrev_b64 v[5:6], 2, v[3:4]
	v_mul_lo_u32 v13, s11, v7
	s_waitcnt lgkmcnt(0)
	s_lshl_b32 s27, s1, 8
	v_mul_lo_u32 v14, s10, v8
	v_mad_u64_u32 v[7:8], null, s10, v7, 0
	v_add_co_u32 v22, vcc_lo, s12, v5
	v_add_co_ci_u32_e64 v23, null, s13, v6, vcc_lo
	v_add_co_u32 v9, vcc_lo, v11, 6
	v_add_co_ci_u32_e64 v10, null, 0, v12, vcc_lo
	v_add_co_u32 v24, vcc_lo, s14, v5
	v_mul_lo_u32 v15, s11, v9
	v_mul_lo_u32 v16, s10, v10
	v_mad_u64_u32 v[9:10], null, s10, v9, 0
	v_add3_u32 v8, v8, v14, v13
	v_add_co_ci_u32_e64 v25, null, s15, v6, vcc_lo
	v_add_co_u32 v13, vcc_lo, v11, 5
	v_add_co_ci_u32_e64 v14, null, 0, v12, vcc_lo
	v_add3_u32 v10, v10, v16, v15
	v_lshlrev_b64 v[5:6], 2, v[7:8]
	v_mul_lo_u32 v15, s11, v13
	v_mul_lo_u32 v14, s10, v14
	s_mul_i32 s1, s11, s27
	v_lshlrev_b64 v[7:8], 2, v[9:10]
	v_mad_u64_u32 v[9:10], null, s10, v13, 0
	v_add_co_u32 v26, vcc_lo, s12, v5
	v_add_co_ci_u32_e64 v27, null, s13, v6, vcc_lo
	v_add_co_u32 v28, vcc_lo, s14, v5
	v_add_co_ci_u32_e64 v29, null, s15, v6, vcc_lo
	v_add_co_u32 v30, vcc_lo, s12, v7
	v_add3_u32 v10, v10, v14, v15
	s_mul_hi_u32 s20, s10, s27
	v_add_co_ci_u32_e64 v31, null, s13, v8, vcc_lo
	v_add_co_u32 v13, vcc_lo, v11, 4
	s_add_i32 s21, s20, s1
	v_add_co_u32 v32, s1, s14, v7
	v_add_co_ci_u32_e64 v7, null, 0, v12, vcc_lo
	v_lshlrev_b64 v[5:6], 2, v[9:10]
	v_add_co_u32 v9, vcc_lo, v11, 3
	v_add_co_ci_u32_e64 v10, null, 0, v12, vcc_lo
	v_add_co_ci_u32_e64 v33, null, s15, v8, s1
	v_mul_lo_u32 v14, s11, v13
	v_mul_lo_u32 v15, s10, v7
	v_mad_u64_u32 v[7:8], null, s10, v13, 0
	v_mul_lo_u32 v13, s11, v9
	v_mul_lo_u32 v16, s10, v10
	v_mad_u64_u32 v[9:10], null, s10, v9, 0
	v_add_co_u32 v34, vcc_lo, s12, v5
	v_add_co_ci_u32_e64 v35, null, s13, v6, vcc_lo
	v_add3_u32 v8, v8, v15, v14
	v_add_co_u32 v36, vcc_lo, s14, v5
	v_add_co_ci_u32_e64 v37, null, s15, v6, vcc_lo
	v_add_co_u32 v11, vcc_lo, v11, 2
	v_add3_u32 v10, v10, v16, v13
	v_add_co_ci_u32_e64 v12, null, 0, v12, vcc_lo
	v_lshlrev_b64 v[5:6], 2, v[7:8]
	v_mul_lo_u32 v13, s11, v11
	v_lshlrev_b64 v[7:8], 2, v[9:10]
	v_mul_lo_u32 v12, s10, v12
	v_mad_u64_u32 v[9:10], null, s10, v11, 0
	v_add_co_u32 v38, vcc_lo, s12, v5
	v_add_co_ci_u32_e64 v39, null, s13, v6, vcc_lo
	v_add_co_u32 v40, vcc_lo, s14, v5
	v_add_co_ci_u32_e64 v41, null, s15, v6, vcc_lo
	;; [unrolled: 2-line block ×3, first 2 shown]
	v_add3_u32 v10, v10, v12, v13
	v_add_co_u32 v44, vcc_lo, s14, v7
	v_add_co_ci_u32_e64 v45, null, s15, v8, vcc_lo
	v_add_co_u32 v3, vcc_lo, v3, s10
	v_add_co_ci_u32_e64 v4, null, s11, v4, vcc_lo
	v_lshlrev_b64 v[5:6], 2, v[9:10]
	s_mul_i32 s20, s10, s27
	v_lshlrev_b64 v[3:4], 2, v[3:4]
	s_lshl_b64 s[20:21], s[20:21], 2
	s_add_u32 s22, s16, 0xff
	v_add_co_u32 v46, vcc_lo, s12, v5
	v_add_co_ci_u32_e64 v47, null, s13, v6, vcc_lo
	v_add_co_u32 v48, vcc_lo, s14, v5
	v_add_co_ci_u32_e64 v49, null, s15, v6, vcc_lo
	;; [unrolled: 2-line block ×4, first 2 shown]
	s_addc_u32 s23, 0, 0
.LBB161_3:                              ; =>This Inner Loop Header: Depth=1
	v_cmp_ge_i64_e64 s1, s[22:23], s[8:9]
	v_add_co_u32 v55, s28, v21, s22
	v_add_co_ci_u32_e64 v56, null, 0, s23, s28
                                        ; implicit-def: $vgpr3_vgpr4_vgpr5_vgpr6_vgpr7_vgpr8_vgpr9_vgpr10
                                        ; implicit-def: $vgpr83
                                        ; implicit-def: $vgpr11_vgpr12_vgpr13_vgpr14_vgpr15_vgpr16_vgpr17_vgpr18
                                        ; implicit-def: $vgpr3
	s_and_b32 vcc_lo, exec_lo, s1
	s_mov_b32 s1, -1
	s_cbranch_vccz .LBB161_25
; %bb.4:                                ;   in Loop: Header=BB161_3 Depth=1
	s_load_dword s1, s[18:19], 0xc
	v_mov_b32_e32 v57, 0
	s_waitcnt lgkmcnt(0)
	s_and_b32 s1, s1, 0xffff
	v_mad_u32_u24 v3, v1, s1, v0
	s_mov_b32 s1, exec_lo
	v_and_b32_e32 v3, 31, v3
	v_cmpx_gt_u32_e32 8, v3
	s_cbranch_execz .LBB161_8
; %bb.5:                                ;   in Loop: Header=BB161_3 Depth=1
	v_add_co_u32 v3, vcc_lo, v55, v3
	v_add_co_ci_u32_e64 v4, null, 0, v56, vcc_lo
	v_mov_b32_e32 v57, 0
	v_add_co_u32 v3, vcc_lo, 0xffffff01, v3
	v_add_co_ci_u32_e64 v4, null, -1, v4, vcc_lo
	s_mov_b32 s28, exec_lo
	v_cmpx_gt_i64_e64 s[8:9], v[3:4]
	s_cbranch_execz .LBB161_7
; %bb.6:                                ;   in Loop: Header=BB161_3 Depth=1
	v_lshlrev_b64 v[3:4], 2, v[3:4]
	v_add_co_u32 v3, vcc_lo, s2, v3
	v_add_co_ci_u32_e64 v4, null, s3, v4, vcc_lo
	global_load_dword v57, v[3:4], off
.LBB161_7:                              ;   in Loop: Header=BB161_3 Depth=1
	s_or_b32 exec_lo, exec_lo, s28
.LBB161_8:                              ;   in Loop: Header=BB161_3 Depth=1
	s_or_b32 exec_lo, exec_lo, s1
	v_add_co_u32 v10, vcc_lo, 0xffffff01, v55
	v_add_co_ci_u32_e64 v11, null, -1, v56, vcc_lo
	v_mov_b32_e32 v9, v2
	v_mov_b32_e32 v3, v2
	;; [unrolled: 1-line block ×7, first 2 shown]
	v_cmp_gt_i64_e32 vcc_lo, s[8:9], v[10:11]
	v_mov_b32_e32 v18, v9
	v_mov_b32_e32 v15, v6
	;; [unrolled: 1-line block ×16, first 2 shown]
	s_and_b32 s28, s0, vcc_lo
	s_and_saveexec_b32 s1, s28
	s_cbranch_execz .LBB161_10
; %bb.9:                                ;   in Loop: Header=BB161_3 Depth=1
	v_add_co_u32 v3, vcc_lo, v22, v19
	v_add_co_ci_u32_e64 v4, null, v23, v20, vcc_lo
	v_add_co_u32 v5, vcc_lo, v24, v19
	v_add_co_ci_u32_e64 v6, null, v25, v20, vcc_lo
	global_load_dword v3, v[3:4], off
	global_load_dword v11, v[5:6], off
	v_mov_b32_e32 v4, v2
	v_mov_b32_e32 v5, v2
	;; [unrolled: 1-line block ×14, first 2 shown]
.LBB161_10:                             ;   in Loop: Header=BB161_3 Depth=1
	s_or_b32 exec_lo, exec_lo, s1
	v_add_co_u32 v58, vcc_lo, 0xffffff02, v55
	v_add_co_ci_u32_e64 v59, null, -1, v56, vcc_lo
	v_cmp_gt_i64_e32 vcc_lo, s[8:9], v[58:59]
	s_and_b32 s28, s0, vcc_lo
	s_and_saveexec_b32 s1, s28
	s_cbranch_execz .LBB161_12
; %bb.11:                               ;   in Loop: Header=BB161_3 Depth=1
	v_add_co_u32 v58, vcc_lo, v50, v19
	v_add_co_ci_u32_e64 v59, null, v51, v20, vcc_lo
	v_add_co_u32 v60, vcc_lo, v52, v19
	v_add_co_ci_u32_e64 v61, null, v53, v20, vcc_lo
	global_load_dword v4, v[58:59], off
	global_load_dword v12, v[60:61], off
.LBB161_12:                             ;   in Loop: Header=BB161_3 Depth=1
	s_or_b32 exec_lo, exec_lo, s1
	v_add_co_u32 v58, vcc_lo, 0xffffff03, v55
	v_add_co_ci_u32_e64 v59, null, -1, v56, vcc_lo
	v_cmp_gt_i64_e32 vcc_lo, s[8:9], v[58:59]
	s_and_b32 s28, s0, vcc_lo
	s_and_saveexec_b32 s1, s28
	s_cbranch_execz .LBB161_14
; %bb.13:                               ;   in Loop: Header=BB161_3 Depth=1
	v_add_co_u32 v58, vcc_lo, v46, v19
	v_add_co_ci_u32_e64 v59, null, v47, v20, vcc_lo
	v_add_co_u32 v60, vcc_lo, v48, v19
	v_add_co_ci_u32_e64 v61, null, v49, v20, vcc_lo
	global_load_dword v5, v[58:59], off
	global_load_dword v13, v[60:61], off
.LBB161_14:                             ;   in Loop: Header=BB161_3 Depth=1
	;; [unrolled: 15-line block ×7, first 2 shown]
	s_or_b32 exec_lo, exec_lo, s1
	s_waitcnt vmcnt(0)
	ds_bpermute_b32 v58, v2, v57
	ds_bpermute_b32 v59, v2, v57 offset:4
	ds_bpermute_b32 v60, v2, v57 offset:8
	v_mul_f32_e32 v3, v11, v3
	ds_bpermute_b32 v11, v2, v57 offset:12
	v_mul_f32_e32 v4, v12, v4
	;; [unrolled: 2-line block ×3, first 2 shown]
	s_mov_b32 s1, 0
	s_waitcnt lgkmcnt(4)
	v_fma_f32 v83, v3, v58, v54
	v_mul_f32_e32 v3, v13, v5
	ds_bpermute_b32 v5, v2, v57 offset:20
	s_waitcnt lgkmcnt(4)
	v_fmac_f32_e32 v83, v4, v59
	v_mul_f32_e32 v4, v14, v6
	ds_bpermute_b32 v6, v2, v57 offset:24
	s_waitcnt lgkmcnt(4)
	v_fmac_f32_e32 v83, v3, v60
	ds_bpermute_b32 v3, v2, v57 offset:28
	s_waitcnt lgkmcnt(4)
	v_fmac_f32_e32 v83, v4, v11
	v_mul_f32_e32 v4, v16, v8
	s_waitcnt lgkmcnt(3)
	v_fmac_f32_e32 v83, v7, v12
	s_waitcnt lgkmcnt(2)
	v_fmac_f32_e32 v83, v4, v5
	v_mul_f32_e32 v4, v17, v9
	s_waitcnt lgkmcnt(1)
	v_fmac_f32_e32 v83, v4, v6
.LBB161_25:                             ;   in Loop: Header=BB161_3 Depth=1
	s_and_b32 vcc_lo, exec_lo, s1
	s_cbranch_vccz .LBB161_40
; %bb.26:                               ;   in Loop: Header=BB161_3 Depth=1
	s_load_dword s1, s[18:19], 0x0
	v_mov_b32_e32 v57, 0
	s_waitcnt lgkmcnt(0)
	s_cmp_lt_u32 s6, s1
	s_cselect_b32 s1, 12, 18
	s_add_u32 s28, s18, s1
	s_addc_u32 s29, s19, 0
	s_mov_b32 s1, exec_lo
	global_load_ushort v3, v2, s[28:29]
	s_waitcnt vmcnt(0)
	v_mad_u32_u24 v3, v1, v3, v0
	v_and_b32_e32 v3, 31, v3
	v_cmpx_gt_u32_e32 8, v3
	s_cbranch_execz .LBB161_30
; %bb.27:                               ;   in Loop: Header=BB161_3 Depth=1
	v_add_co_u32 v3, vcc_lo, v55, v3
	v_add_co_ci_u32_e64 v4, null, 0, v56, vcc_lo
	v_mov_b32_e32 v57, 0
	v_add_co_u32 v3, vcc_lo, 0xffffff01, v3
	v_add_co_ci_u32_e64 v4, null, -1, v4, vcc_lo
	s_mov_b32 s28, exec_lo
	v_cmpx_gt_i64_e64 s[8:9], v[3:4]
	s_cbranch_execz .LBB161_29
; %bb.28:                               ;   in Loop: Header=BB161_3 Depth=1
	v_lshlrev_b64 v[3:4], 2, v[3:4]
	v_add_co_u32 v3, vcc_lo, s2, v3
	v_add_co_ci_u32_e64 v4, null, s3, v4, vcc_lo
	global_load_dword v57, v[3:4], off
.LBB161_29:                             ;   in Loop: Header=BB161_3 Depth=1
	s_or_b32 exec_lo, exec_lo, s28
.LBB161_30:                             ;   in Loop: Header=BB161_3 Depth=1
	s_or_b32 exec_lo, exec_lo, s1
	v_mov_b32_e32 v9, v2
	v_mov_b32_e32 v3, v2
	;; [unrolled: 1-line block ×23, first 2 shown]
	s_and_saveexec_b32 s1, s0
	s_cbranch_execnz .LBB161_42
; %bb.31:                               ;   in Loop: Header=BB161_3 Depth=1
	s_or_b32 exec_lo, exec_lo, s1
	s_and_saveexec_b32 s1, s0
	s_cbranch_execnz .LBB161_43
.LBB161_32:                             ;   in Loop: Header=BB161_3 Depth=1
	s_or_b32 exec_lo, exec_lo, s1
	s_and_saveexec_b32 s1, s0
	s_cbranch_execnz .LBB161_44
.LBB161_33:                             ;   in Loop: Header=BB161_3 Depth=1
	s_or_b32 exec_lo, exec_lo, s1
	s_and_saveexec_b32 s1, s0
	s_cbranch_execnz .LBB161_45
.LBB161_34:                             ;   in Loop: Header=BB161_3 Depth=1
	s_or_b32 exec_lo, exec_lo, s1
	s_and_saveexec_b32 s1, s0
	s_cbranch_execnz .LBB161_46
.LBB161_35:                             ;   in Loop: Header=BB161_3 Depth=1
	s_or_b32 exec_lo, exec_lo, s1
	s_and_saveexec_b32 s1, s0
	s_cbranch_execnz .LBB161_47
.LBB161_36:                             ;   in Loop: Header=BB161_3 Depth=1
	s_or_b32 exec_lo, exec_lo, s1
	s_and_saveexec_b32 s1, s0
	s_cbranch_execnz .LBB161_48
.LBB161_37:                             ;   in Loop: Header=BB161_3 Depth=1
	s_or_b32 exec_lo, exec_lo, s1
	s_and_saveexec_b32 s1, s0
	s_cbranch_execz .LBB161_39
.LBB161_38:                             ;   in Loop: Header=BB161_3 Depth=1
	v_add_co_u32 v55, vcc_lo, v26, v19
	v_add_co_ci_u32_e64 v56, null, v27, v20, vcc_lo
	v_add_co_u32 v58, vcc_lo, v28, v19
	v_add_co_ci_u32_e64 v59, null, v29, v20, vcc_lo
	global_load_dword v10, v[55:56], off
	global_load_dword v18, v[58:59], off
.LBB161_39:                             ;   in Loop: Header=BB161_3 Depth=1
	s_or_b32 exec_lo, exec_lo, s1
	s_waitcnt vmcnt(0)
	ds_bpermute_b32 v55, v2, v57
	ds_bpermute_b32 v56, v2, v57 offset:4
	ds_bpermute_b32 v58, v2, v57 offset:8
	v_mul_f32_e32 v3, v11, v3
	ds_bpermute_b32 v11, v2, v57 offset:12
	v_mul_f32_e32 v4, v12, v4
	ds_bpermute_b32 v12, v2, v57 offset:16
	s_waitcnt lgkmcnt(4)
	v_fmac_f32_e32 v54, v3, v55
	v_mul_f32_e32 v3, v13, v5
	ds_bpermute_b32 v5, v2, v57 offset:20
	s_waitcnt lgkmcnt(4)
	v_fmac_f32_e32 v54, v4, v56
	;; [unrolled: 4-line block ×3, first 2 shown]
	v_mul_f32_e32 v3, v15, v7
	s_waitcnt lgkmcnt(3)
	v_fmac_f32_e32 v54, v4, v11
	v_mul_f32_e32 v4, v16, v8
	s_waitcnt lgkmcnt(2)
	v_fmac_f32_e32 v54, v3, v12
	ds_bpermute_b32 v3, v2, v57 offset:28
	s_waitcnt lgkmcnt(2)
	v_fmac_f32_e32 v54, v4, v5
	v_mul_f32_e32 v4, v17, v9
	s_waitcnt lgkmcnt(1)
	v_fmac_f32_e32 v54, v4, v6
	v_mov_b32_e32 v83, v54
.LBB161_40:                             ;   in Loop: Header=BB161_3 Depth=1
	v_add_co_u32 v22, vcc_lo, v22, s20
	v_add_co_ci_u32_e64 v23, null, s21, v23, vcc_lo
	v_add_co_u32 v24, vcc_lo, v24, s20
	v_add_co_ci_u32_e64 v25, null, s21, v25, vcc_lo
	;; [unrolled: 2-line block ×12, first 2 shown]
	v_add_co_u32 v46, vcc_lo, v46, s20
	s_add_u32 s24, s24, s27
	v_add_co_ci_u32_e64 v47, null, s21, v47, vcc_lo
	v_add_co_u32 v48, vcc_lo, v48, s20
	v_mul_f32_e32 v4, v10, v18
	s_addc_u32 s25, s25, 0
	v_add_co_ci_u32_e64 v49, null, s21, v49, vcc_lo
	v_add_co_u32 v50, vcc_lo, v50, s20
	v_cmp_lt_i64_e64 s1, s[24:25], s[8:9]
	v_add_co_ci_u32_e64 v51, null, s21, v51, vcc_lo
	v_add_co_u32 v52, vcc_lo, v52, s20
	s_waitcnt lgkmcnt(0)
	v_fmac_f32_e32 v83, v4, v3
	v_add_co_ci_u32_e64 v53, null, s21, v53, vcc_lo
	s_add_u32 s22, s22, s27
	s_addc_u32 s23, s23, 0
	s_and_b32 vcc_lo, exec_lo, s1
	s_cbranch_vccz .LBB161_50
; %bb.41:                               ;   in Loop: Header=BB161_3 Depth=1
	v_mov_b32_e32 v54, v83
	s_branch .LBB161_3
.LBB161_42:                             ;   in Loop: Header=BB161_3 Depth=1
	v_add_co_u32 v3, vcc_lo, v22, v19
	v_add_co_ci_u32_e64 v4, null, v23, v20, vcc_lo
	v_add_co_u32 v5, vcc_lo, v24, v19
	v_add_co_ci_u32_e64 v6, null, v25, v20, vcc_lo
	global_load_dword v3, v[3:4], off
	global_load_dword v11, v[5:6], off
	v_mov_b32_e32 v4, v2
	v_mov_b32_e32 v5, v2
	;; [unrolled: 1-line block ×14, first 2 shown]
	s_or_b32 exec_lo, exec_lo, s1
	s_and_saveexec_b32 s1, s0
	s_cbranch_execz .LBB161_32
.LBB161_43:                             ;   in Loop: Header=BB161_3 Depth=1
	v_add_co_u32 v55, vcc_lo, v50, v19
	v_add_co_ci_u32_e64 v56, null, v51, v20, vcc_lo
	v_add_co_u32 v58, vcc_lo, v52, v19
	v_add_co_ci_u32_e64 v59, null, v53, v20, vcc_lo
	global_load_dword v4, v[55:56], off
	global_load_dword v12, v[58:59], off
	s_or_b32 exec_lo, exec_lo, s1
	s_and_saveexec_b32 s1, s0
	s_cbranch_execz .LBB161_33
.LBB161_44:                             ;   in Loop: Header=BB161_3 Depth=1
	v_add_co_u32 v55, vcc_lo, v46, v19
	v_add_co_ci_u32_e64 v56, null, v47, v20, vcc_lo
	v_add_co_u32 v58, vcc_lo, v48, v19
	v_add_co_ci_u32_e64 v59, null, v49, v20, vcc_lo
	global_load_dword v5, v[55:56], off
	global_load_dword v13, v[58:59], off
	s_or_b32 exec_lo, exec_lo, s1
	s_and_saveexec_b32 s1, s0
	s_cbranch_execz .LBB161_34
.LBB161_45:                             ;   in Loop: Header=BB161_3 Depth=1
	v_add_co_u32 v55, vcc_lo, v42, v19
	v_add_co_ci_u32_e64 v56, null, v43, v20, vcc_lo
	v_add_co_u32 v58, vcc_lo, v44, v19
	v_add_co_ci_u32_e64 v59, null, v45, v20, vcc_lo
	global_load_dword v6, v[55:56], off
	global_load_dword v14, v[58:59], off
	s_or_b32 exec_lo, exec_lo, s1
	s_and_saveexec_b32 s1, s0
	s_cbranch_execz .LBB161_35
.LBB161_46:                             ;   in Loop: Header=BB161_3 Depth=1
	v_add_co_u32 v55, vcc_lo, v38, v19
	v_add_co_ci_u32_e64 v56, null, v39, v20, vcc_lo
	v_add_co_u32 v58, vcc_lo, v40, v19
	v_add_co_ci_u32_e64 v59, null, v41, v20, vcc_lo
	global_load_dword v7, v[55:56], off
	global_load_dword v15, v[58:59], off
	s_or_b32 exec_lo, exec_lo, s1
	s_and_saveexec_b32 s1, s0
	s_cbranch_execz .LBB161_36
.LBB161_47:                             ;   in Loop: Header=BB161_3 Depth=1
	v_add_co_u32 v55, vcc_lo, v34, v19
	v_add_co_ci_u32_e64 v56, null, v35, v20, vcc_lo
	v_add_co_u32 v58, vcc_lo, v36, v19
	v_add_co_ci_u32_e64 v59, null, v37, v20, vcc_lo
	global_load_dword v8, v[55:56], off
	global_load_dword v16, v[58:59], off
	s_or_b32 exec_lo, exec_lo, s1
	s_and_saveexec_b32 s1, s0
	s_cbranch_execz .LBB161_37
.LBB161_48:                             ;   in Loop: Header=BB161_3 Depth=1
	v_add_co_u32 v55, vcc_lo, v30, v19
	v_add_co_ci_u32_e64 v56, null, v31, v20, vcc_lo
	v_add_co_u32 v58, vcc_lo, v32, v19
	v_add_co_ci_u32_e64 v59, null, v33, v20, vcc_lo
	global_load_dword v9, v[55:56], off
	global_load_dword v17, v[58:59], off
	s_or_b32 exec_lo, exec_lo, s1
	s_and_saveexec_b32 s1, s0
	s_cbranch_execnz .LBB161_38
	s_branch .LBB161_39
.LBB161_49:
                                        ; implicit-def: $vgpr83
	s_branch .LBB161_51
.LBB161_50:
	s_cbranch_execnz .LBB161_83
.LBB161_51:
	v_mov_b32_e32 v83, 0
	s_andn2_b32 vcc_lo, exec_lo, s7
	s_cbranch_vccnz .LBB161_83
; %bb.52:
	s_load_dword s7, s[4:5], 0x44
	v_lshlrev_b32_e32 v49, 3, v1
	v_lshlrev_b32_e32 v8, 5, v1
	v_mov_b32_e32 v82, 0
	v_add_co_u32 v4, s0, v49, s16
	v_add_co_ci_u32_e64 v5, null, 0, 0, s0
	s_add_u32 s0, s4, 64
	v_mul_lo_u32 v6, s11, v4
	v_mad_u64_u32 v[2:3], null, s10, v4, 0
	v_mul_lo_u32 v7, s10, v5
	s_addc_u32 s1, s5, 0
	s_waitcnt lgkmcnt(0)
	s_lshl_b32 s7, s7, 8
	v_add3_u32 v3, v3, v7, v6
	s_mul_i32 s19, s11, s7
	s_mul_hi_u32 s20, s10, s7
	s_mul_i32 s18, s10, s7
	s_add_i32 s19, s20, s19
	v_lshlrev_b64 v[6:7], 2, v[2:3]
	s_lshl_b64 s[18:19], s[18:19], 2
	s_add_u32 s20, s16, 0xff
	s_addc_u32 s21, 0, 0
	s_lshl_b64 s[22:23], s[16:17], 2
	v_add_co_u32 v8, s22, v8, s22
	v_add_co_ci_u32_e64 v9, null, 0, s23, s22
	v_add_co_u32 v10, vcc_lo, v8, 4
	v_add_co_ci_u32_e64 v11, null, 0, v9, vcc_lo
	v_add_co_u32 v50, vcc_lo, s12, v6
	v_add_co_ci_u32_e64 v51, null, s13, v7, vcc_lo
	;; [unrolled: 2-line block ×6, first 2 shown]
	v_add_co_u32 v41, vcc_lo, v8, 20
	v_mad_u64_u32 v[21:22], null, s10, v6, s[12:13]
	v_mul_lo_u32 v7, s10, v7
	v_mul_lo_u32 v15, s11, v6
	v_mad_u64_u32 v[35:36], null, s10, v6, s[14:15]
	v_add_co_ci_u32_e64 v29, null, 0, v9, vcc_lo
	v_add_co_u32 v43, vcc_lo, v8, 24
	v_add_co_ci_u32_e64 v31, null, 0, v9, vcc_lo
	v_add_co_u32 v8, vcc_lo, v8, 28
	v_mad_u64_u32 v[19:20], null, s10, v10, s[12:13]
	v_mul_lo_u32 v11, s10, v11
	v_mul_lo_u32 v12, s11, v10
	v_mad_u64_u32 v[33:34], null, s10, v10, s[14:15]
	v_add_co_ci_u32_e64 v9, null, 0, v9, vcc_lo
	v_add_co_u32 v6, vcc_lo, v4, 7
	v_add3_u32 v22, v15, v22, v7
	v_add3_u32 v36, v15, v36, v7
	v_add_co_ci_u32_e64 v7, null, 0, v5, vcc_lo
	v_mul_lo_u32 v57, s10, v9
	v_add_co_u32 v9, vcc_lo, v4, 6
	v_add3_u32 v20, v12, v20, v11
	v_add3_u32 v34, v12, v34, v11
	v_add_co_ci_u32_e64 v12, null, 0, v5, vcc_lo
	v_mul_lo_u32 v10, s11, v6
	v_mul_lo_u32 v11, s10, v7
	v_mad_u64_u32 v[6:7], null, s10, v6, 0
	v_mad_u64_u32 v[23:24], null, s10, v13, s[12:13]
	v_mul_lo_u32 v17, s11, v13
	v_mul_lo_u32 v55, s10, v31
	v_mad_u64_u32 v[31:32], null, s10, v8, s[12:13]
	v_mul_lo_u32 v58, s11, v8
	v_mad_u64_u32 v[37:38], null, s10, v13, s[14:15]
	v_mad_u64_u32 v[45:46], null, s10, v8, s[14:15]
	v_mul_lo_u32 v13, s11, v9
	v_mul_lo_u32 v12, s10, v12
	v_mad_u64_u32 v[8:9], null, s10, v9, 0
	v_add3_u32 v7, v7, v11, v10
	v_add_co_u32 v10, vcc_lo, v4, 5
	v_mad_u64_u32 v[27:28], null, s10, v41, s[12:13]
	v_mul_lo_u32 v48, s10, v29
	v_mul_lo_u32 v54, s11, v41
	v_mad_u64_u32 v[41:42], null, s10, v41, s[14:15]
	v_add3_u32 v9, v9, v12, v13
	v_add_co_ci_u32_e64 v11, null, 0, v5, vcc_lo
	v_mad_u64_u32 v[29:30], null, s10, v43, s[12:13]
	v_mul_lo_u32 v56, s11, v43
	v_mad_u64_u32 v[43:44], null, s10, v43, s[14:15]
	v_lshlrev_b64 v[6:7], 2, v[6:7]
	v_lshlrev_b64 v[8:9], 2, v[8:9]
	v_mul_lo_u32 v12, s11, v10
	v_mul_lo_u32 v13, s10, v11
	v_mad_u64_u32 v[10:11], null, s10, v10, 0
	v_add3_u32 v28, v54, v28, v48
	v_add3_u32 v42, v54, v42, v48
	v_add_co_u32 v54, vcc_lo, s12, v6
	v_add3_u32 v30, v56, v30, v55
	v_add3_u32 v44, v56, v44, v55
	v_add_co_ci_u32_e64 v55, null, s13, v7, vcc_lo
	v_add_co_u32 v56, vcc_lo, s14, v6
	v_add3_u32 v32, v58, v32, v57
	v_add3_u32 v46, v58, v46, v57
	v_add_co_ci_u32_e64 v57, null, s15, v7, vcc_lo
	v_add_co_u32 v58, vcc_lo, s12, v8
	v_add_co_ci_u32_e64 v59, null, s13, v9, vcc_lo
	v_add3_u32 v11, v11, v13, v12
	v_add_co_u32 v12, vcc_lo, v4, 4
	v_add_co_ci_u32_e64 v13, null, 0, v5, vcc_lo
	v_add_co_u32 v60, vcc_lo, s14, v8
	v_mul_lo_u32 v14, s10, v14
	v_add_co_ci_u32_e64 v61, null, s15, v9, vcc_lo
	v_lshlrev_b64 v[6:7], 2, v[10:11]
	v_mul_lo_u32 v10, s11, v12
	v_mul_lo_u32 v11, s10, v13
	v_mad_u64_u32 v[8:9], null, s10, v12, 0
	v_add_co_u32 v12, vcc_lo, v4, 3
	v_add_co_ci_u32_e64 v13, null, 0, v5, vcc_lo
	v_add_co_u32 v62, vcc_lo, s12, v6
	v_add3_u32 v24, v17, v24, v14
	v_add3_u32 v38, v17, v38, v14
	v_add_co_ci_u32_e64 v63, null, s13, v7, vcc_lo
	v_add3_u32 v9, v9, v11, v10
	v_mul_lo_u32 v14, s11, v12
	v_mad_u64_u32 v[10:11], null, s10, v12, 0
	v_add_co_u32 v12, vcc_lo, v4, 2
	v_mul_lo_u32 v13, s10, v13
	v_add_co_ci_u32_e64 v15, null, 0, v5, vcc_lo
	v_add_co_u32 v64, vcc_lo, s14, v6
	v_lshlrev_b64 v[4:5], 2, v[8:9]
	v_add_co_ci_u32_e64 v65, null, s15, v7, vcc_lo
	v_mul_lo_u32 v8, s11, v12
	v_mul_lo_u32 v9, s10, v15
	v_mad_u64_u32 v[6:7], null, s10, v12, 0
	v_add3_u32 v11, v11, v13, v14
	v_add_co_u32 v66, vcc_lo, s12, v4
	v_add_co_ci_u32_e64 v67, null, s13, v5, vcc_lo
	v_add_co_u32 v68, vcc_lo, s14, v4
	v_add_co_ci_u32_e64 v69, null, s15, v5, vcc_lo
	v_lshlrev_b64 v[4:5], 2, v[10:11]
	v_add3_u32 v7, v7, v9, v8
	v_add_co_u32 v2, vcc_lo, v2, s10
	v_add_co_ci_u32_e64 v3, null, s11, v3, vcc_lo
	v_lshlrev_b64 v[6:7], 2, v[6:7]
	v_add_co_u32 v70, vcc_lo, s12, v4
	v_add_co_ci_u32_e64 v71, null, s13, v5, vcc_lo
	v_add_co_u32 v72, vcc_lo, s14, v4
	v_lshlrev_b64 v[3:4], 2, v[2:3]
	v_mov_b32_e32 v2, 0
	v_mad_u64_u32 v[25:26], null, s10, v16, s[12:13]
	v_mul_lo_u32 v18, s10, v18
	v_mul_lo_u32 v47, s11, v16
	v_mad_u64_u32 v[39:40], null, s10, v16, s[14:15]
	v_add_co_ci_u32_e64 v73, null, s15, v5, vcc_lo
	v_add_co_u32 v74, vcc_lo, s12, v6
	v_add_co_ci_u32_e64 v75, null, s13, v7, vcc_lo
	v_add_co_u32 v76, vcc_lo, s14, v6
	v_add_nc_u32_e32 v5, s26, v0
	v_mov_b32_e32 v6, v2
	v_add_co_ci_u32_e64 v77, null, s15, v7, vcc_lo
	v_add_co_u32 v78, vcc_lo, s12, v3
	v_add_co_ci_u32_e64 v79, null, s13, v4, vcc_lo
	v_add_co_u32 v80, vcc_lo, s14, v3
	v_add3_u32 v26, v47, v26, v18
	v_add3_u32 v40, v47, v40, v18
	v_lshlrev_b64 v[47:48], 2, v[5:6]
	v_add_co_ci_u32_e64 v81, null, s15, v4, vcc_lo
.LBB161_53:                             ; =>This Inner Loop Header: Depth=1
	v_cmp_ge_i64_e64 s12, s[20:21], s[8:9]
	v_add_co_u32 v84, s13, v49, s20
	v_add_co_ci_u32_e64 v85, null, 0, s21, s13
                                        ; implicit-def: $vgpr83
	s_and_b32 vcc_lo, exec_lo, s12
	s_mov_b32 s12, -1
	s_cbranch_vccz .LBB161_75
; %bb.54:                               ;   in Loop: Header=BB161_53 Depth=1
	s_load_dword s12, s[0:1], 0xc
	v_mov_b32_e32 v86, 0
	s_waitcnt lgkmcnt(0)
	s_and_b32 s12, s12, 0xffff
	v_mad_u32_u24 v3, v1, s12, v0
	s_mov_b32 s12, exec_lo
	v_and_b32_e32 v3, 31, v3
	v_cmpx_gt_u32_e32 8, v3
	s_cbranch_execz .LBB161_58
; %bb.55:                               ;   in Loop: Header=BB161_53 Depth=1
	v_add_co_u32 v3, vcc_lo, v84, v3
	v_add_co_ci_u32_e64 v4, null, 0, v85, vcc_lo
	v_mov_b32_e32 v86, 0
	v_add_co_u32 v3, vcc_lo, 0xffffff01, v3
	v_add_co_ci_u32_e64 v4, null, -1, v4, vcc_lo
	s_mov_b32 s13, exec_lo
	v_cmpx_gt_i64_e64 s[8:9], v[3:4]
	s_cbranch_execz .LBB161_57
; %bb.56:                               ;   in Loop: Header=BB161_53 Depth=1
	v_lshlrev_b64 v[3:4], 2, v[3:4]
	v_add_co_u32 v3, vcc_lo, s2, v3
	v_add_co_ci_u32_e64 v4, null, s3, v4, vcc_lo
	global_load_dword v86, v[3:4], off
.LBB161_57:                             ;   in Loop: Header=BB161_53 Depth=1
	s_or_b32 exec_lo, exec_lo, s13
.LBB161_58:                             ;   in Loop: Header=BB161_53 Depth=1
	s_or_b32 exec_lo, exec_lo, s12
	v_add_co_u32 v10, vcc_lo, 0xffffff01, v84
	v_add_co_ci_u32_e64 v11, null, -1, v85, vcc_lo
	v_mov_b32_e32 v9, v2
	v_mov_b32_e32 v3, v2
	;; [unrolled: 1-line block ×7, first 2 shown]
	v_cmp_gt_i64_e32 vcc_lo, s[8:9], v[10:11]
	v_mov_b32_e32 v18, v9
	v_mov_b32_e32 v15, v6
	v_mov_b32_e32 v16, v7
	v_mov_b32_e32 v17, v8
	v_mov_b32_e32 v14, v5
	v_mov_b32_e32 v13, v4
	v_mov_b32_e32 v12, v3
	v_mov_b32_e32 v11, v2
	v_mov_b32_e32 v10, v9
	v_mov_b32_e32 v9, v8
	v_mov_b32_e32 v8, v7
	v_mov_b32_e32 v7, v6
	v_mov_b32_e32 v6, v5
	v_mov_b32_e32 v5, v4
	v_mov_b32_e32 v4, v3
	v_mov_b32_e32 v3, v2
	s_and_saveexec_b32 s12, vcc_lo
	s_cbranch_execz .LBB161_60
; %bb.59:                               ;   in Loop: Header=BB161_53 Depth=1
	v_add_co_u32 v3, vcc_lo, v50, v47
	v_add_co_ci_u32_e64 v4, null, v51, v48, vcc_lo
	v_add_co_u32 v5, vcc_lo, v52, v47
	v_add_co_ci_u32_e64 v6, null, v53, v48, vcc_lo
	global_load_dword v3, v[3:4], off
	global_load_dword v11, v[5:6], off
	v_mov_b32_e32 v4, v2
	v_mov_b32_e32 v5, v2
	;; [unrolled: 1-line block ×14, first 2 shown]
.LBB161_60:                             ;   in Loop: Header=BB161_53 Depth=1
	s_or_b32 exec_lo, exec_lo, s12
	v_add_co_u32 v87, vcc_lo, 0xffffff02, v84
	v_add_co_ci_u32_e64 v88, null, -1, v85, vcc_lo
	s_mov_b32 s12, exec_lo
	v_cmpx_gt_i64_e64 s[8:9], v[87:88]
	s_cbranch_execz .LBB161_62
; %bb.61:                               ;   in Loop: Header=BB161_53 Depth=1
	v_add_co_u32 v87, vcc_lo, v78, v47
	v_add_co_ci_u32_e64 v88, null, v79, v48, vcc_lo
	v_add_co_u32 v89, vcc_lo, v80, v47
	v_add_co_ci_u32_e64 v90, null, v81, v48, vcc_lo
	global_load_dword v4, v[87:88], off
	global_load_dword v12, v[89:90], off
.LBB161_62:                             ;   in Loop: Header=BB161_53 Depth=1
	s_or_b32 exec_lo, exec_lo, s12
	v_add_co_u32 v87, vcc_lo, 0xffffff03, v84
	v_add_co_ci_u32_e64 v88, null, -1, v85, vcc_lo
	s_mov_b32 s12, exec_lo
	v_cmpx_gt_i64_e64 s[8:9], v[87:88]
	s_cbranch_execz .LBB161_64
; %bb.63:                               ;   in Loop: Header=BB161_53 Depth=1
	v_add_co_u32 v87, vcc_lo, v74, v47
	v_add_co_ci_u32_e64 v88, null, v75, v48, vcc_lo
	v_add_co_u32 v89, vcc_lo, v76, v47
	v_add_co_ci_u32_e64 v90, null, v77, v48, vcc_lo
	global_load_dword v5, v[87:88], off
	global_load_dword v13, v[89:90], off
.LBB161_64:                             ;   in Loop: Header=BB161_53 Depth=1
	;; [unrolled: 14-line block ×7, first 2 shown]
	s_or_b32 exec_lo, exec_lo, s12
	s_waitcnt vmcnt(0)
	ds_bpermute_b32 v83, v2, v86
	ds_bpermute_b32 v87, v2, v86 offset:4
	ds_bpermute_b32 v88, v2, v86 offset:8
	v_mul_f32_e32 v3, v11, v3
	ds_bpermute_b32 v11, v2, v86 offset:12
	v_mul_f32_e32 v4, v12, v4
	ds_bpermute_b32 v12, v2, v86 offset:16
	s_mov_b32 s12, 0
	s_waitcnt lgkmcnt(4)
	v_fma_f32 v83, v3, v83, v82
	v_mul_f32_e32 v3, v13, v5
	ds_bpermute_b32 v5, v2, v86 offset:20
	s_waitcnt lgkmcnt(4)
	v_fmac_f32_e32 v83, v4, v87
	v_mul_f32_e32 v4, v14, v6
	ds_bpermute_b32 v6, v2, v86 offset:24
	s_waitcnt lgkmcnt(4)
	v_fmac_f32_e32 v83, v3, v88
	v_mul_f32_e32 v3, v15, v7
	v_mul_f32_e32 v7, v16, v8
	s_waitcnt lgkmcnt(3)
	v_fmac_f32_e32 v83, v4, v11
	ds_bpermute_b32 v4, v2, v86 offset:28
	s_waitcnt lgkmcnt(3)
	v_fmac_f32_e32 v83, v3, v12
	v_mul_f32_e32 v3, v17, v9
	s_waitcnt lgkmcnt(2)
	v_fmac_f32_e32 v83, v7, v5
	s_waitcnt lgkmcnt(1)
	v_fmac_f32_e32 v83, v3, v6
	v_mul_f32_e32 v3, v18, v10
	s_waitcnt lgkmcnt(0)
	v_fmac_f32_e32 v83, v3, v4
.LBB161_75:                             ;   in Loop: Header=BB161_53 Depth=1
	s_and_b32 vcc_lo, exec_lo, s12
	s_cbranch_vccz .LBB161_81
; %bb.76:                               ;   in Loop: Header=BB161_53 Depth=1
	s_load_dword s12, s[0:1], 0x0
	v_mov_b32_e32 v5, 0
	s_waitcnt lgkmcnt(0)
	s_cmp_lt_u32 s6, s12
	s_cselect_b32 s12, 12, 18
	s_add_u32 s12, s0, s12
	s_addc_u32 s13, s1, 0
	global_load_ushort v3, v2, s[12:13]
	s_mov_b32 s12, exec_lo
	s_waitcnt vmcnt(0)
	v_mad_u32_u24 v3, v1, v3, v0
	v_and_b32_e32 v3, 31, v3
	v_cmpx_gt_u32_e32 8, v3
	s_cbranch_execz .LBB161_80
; %bb.77:                               ;   in Loop: Header=BB161_53 Depth=1
	v_add_co_u32 v3, vcc_lo, v84, v3
	v_add_co_ci_u32_e64 v4, null, 0, v85, vcc_lo
	v_mov_b32_e32 v5, 0
	v_add_co_u32 v3, vcc_lo, 0xffffff01, v3
	v_add_co_ci_u32_e64 v4, null, -1, v4, vcc_lo
	s_mov_b32 s13, exec_lo
	v_cmpx_gt_i64_e64 s[8:9], v[3:4]
	s_cbranch_execz .LBB161_79
; %bb.78:                               ;   in Loop: Header=BB161_53 Depth=1
	v_lshlrev_b64 v[3:4], 2, v[3:4]
	v_add_co_u32 v3, vcc_lo, s2, v3
	v_add_co_ci_u32_e64 v4, null, s3, v4, vcc_lo
	global_load_dword v5, v[3:4], off
.LBB161_79:                             ;   in Loop: Header=BB161_53 Depth=1
	s_or_b32 exec_lo, exec_lo, s13
.LBB161_80:                             ;   in Loop: Header=BB161_53 Depth=1
	s_or_b32 exec_lo, exec_lo, s12
	v_add_co_u32 v3, vcc_lo, v50, v47
	v_add_co_ci_u32_e64 v4, null, v51, v48, vcc_lo
	v_add_co_u32 v6, vcc_lo, v52, v47
	v_add_co_ci_u32_e64 v7, null, v53, v48, vcc_lo
	;; [unrolled: 2-line block ×4, first 2 shown]
	global_load_dword v14, v[3:4], off
	global_load_dword v15, v[6:7], off
	;; [unrolled: 1-line block ×4, first 2 shown]
	v_add_co_u32 v3, vcc_lo, v21, v47
	v_add_co_ci_u32_e64 v4, null, v22, v48, vcc_lo
	v_add_co_u32 v6, vcc_lo, v35, v47
	v_add_co_ci_u32_e64 v7, null, v36, v48, vcc_lo
	v_add_co_u32 v8, vcc_lo, v23, v47
	v_add_co_ci_u32_e64 v9, null, v24, v48, vcc_lo
	v_add_co_u32 v10, vcc_lo, v37, v47
	v_add_co_ci_u32_e64 v11, null, v38, v48, vcc_lo
	v_add_co_u32 v12, vcc_lo, v25, v47
	v_add_co_ci_u32_e64 v13, null, v26, v48, vcc_lo
	global_load_dword v18, v[3:4], off
	global_load_dword v83, v[6:7], off
	;; [unrolled: 1-line block ×5, first 2 shown]
	v_add_co_u32 v3, vcc_lo, v39, v47
	v_add_co_ci_u32_e64 v4, null, v40, v48, vcc_lo
	v_add_co_u32 v6, vcc_lo, v27, v47
	v_add_co_ci_u32_e64 v7, null, v28, v48, vcc_lo
	v_add_co_u32 v8, vcc_lo, v41, v47
	v_add_co_ci_u32_e64 v9, null, v42, v48, vcc_lo
	v_add_co_u32 v10, vcc_lo, v29, v47
	v_add_co_ci_u32_e64 v11, null, v30, v48, vcc_lo
	v_add_co_u32 v12, vcc_lo, v43, v47
	v_add_co_ci_u32_e64 v13, null, v44, v48, vcc_lo
	global_load_dword v87, v[3:4], off
	global_load_dword v88, v[6:7], off
	;; [unrolled: 1-line block ×5, first 2 shown]
	v_add_co_u32 v3, vcc_lo, v31, v47
	v_add_co_ci_u32_e64 v4, null, v32, v48, vcc_lo
	v_add_co_u32 v6, vcc_lo, v45, v47
	v_add_co_ci_u32_e64 v7, null, v46, v48, vcc_lo
	global_load_dword v3, v[3:4], off
	global_load_dword v4, v[6:7], off
	s_waitcnt vmcnt(16)
	ds_bpermute_b32 v6, v2, v5
	ds_bpermute_b32 v7, v2, v5 offset:4
	ds_bpermute_b32 v11, v2, v5 offset:8
	ds_bpermute_b32 v12, v2, v5 offset:12
	s_waitcnt vmcnt(14)
	v_mul_f32_e32 v13, v14, v15
	ds_bpermute_b32 v14, v2, v5 offset:16
	s_waitcnt vmcnt(12)
	v_mul_f32_e32 v15, v16, v17
	s_waitcnt lgkmcnt(4)
	v_fmac_f32_e32 v82, v13, v6
	ds_bpermute_b32 v6, v2, v5 offset:20
	s_waitcnt lgkmcnt(4)
	v_fmac_f32_e32 v82, v15, v7
	ds_bpermute_b32 v7, v2, v5 offset:24
	ds_bpermute_b32 v5, v2, v5 offset:28
	s_waitcnt vmcnt(10)
	v_mul_f32_e32 v13, v18, v83
	s_waitcnt vmcnt(8)
	v_mul_f32_e32 v15, v84, v85
	s_waitcnt lgkmcnt(5)
	v_fmac_f32_e32 v82, v13, v11
	s_waitcnt lgkmcnt(4)
	v_fmac_f32_e32 v82, v15, v12
	s_waitcnt vmcnt(6)
	v_mul_f32_e32 v11, v86, v87
	s_waitcnt vmcnt(4)
	v_mul_f32_e32 v8, v88, v8
	s_waitcnt vmcnt(2)
	v_mul_f32_e32 v9, v9, v10
	s_waitcnt lgkmcnt(3)
	v_fmac_f32_e32 v82, v11, v14
	s_waitcnt lgkmcnt(2)
	v_fmac_f32_e32 v82, v8, v6
	;; [unrolled: 2-line block ×3, first 2 shown]
	s_waitcnt vmcnt(0)
	v_mul_f32_e32 v3, v3, v4
	s_waitcnt lgkmcnt(0)
	v_fmac_f32_e32 v82, v3, v5
	v_mov_b32_e32 v83, v82
.LBB161_81:                             ;   in Loop: Header=BB161_53 Depth=1
	v_add_co_u32 v50, vcc_lo, v50, s18
	v_add_co_ci_u32_e64 v51, null, s19, v51, vcc_lo
	v_add_co_u32 v52, vcc_lo, v52, s18
	v_add_co_ci_u32_e64 v53, null, s19, v53, vcc_lo
	;; [unrolled: 2-line block ×26, first 2 shown]
	v_add_co_u32 v74, vcc_lo, v74, s18
	s_add_u32 s16, s16, s7
	v_add_co_ci_u32_e64 v75, null, s19, v75, vcc_lo
	v_add_co_u32 v76, vcc_lo, v76, s18
	s_addc_u32 s17, s17, 0
	v_add_co_ci_u32_e64 v77, null, s19, v77, vcc_lo
	v_add_co_u32 v78, vcc_lo, v78, s18
	v_cmp_ge_i64_e64 s12, s[16:17], s[8:9]
	v_add_co_ci_u32_e64 v79, null, s19, v79, vcc_lo
	v_add_co_u32 v80, vcc_lo, v80, s18
	v_add_co_ci_u32_e64 v81, null, s19, v81, vcc_lo
	s_add_u32 s20, s20, s7
	s_addc_u32 s21, s21, 0
	s_and_b32 vcc_lo, exec_lo, s12
	s_cbranch_vccnz .LBB161_83
; %bb.82:                               ;   in Loop: Header=BB161_53 Depth=1
	v_mov_b32_e32 v82, v83
	s_branch .LBB161_53
.LBB161_83:
	v_mad_u32_u24 v2, v1, 33, v0
	v_lshrrev_b32_e32 v3, 5, v0
	s_mov_b32 s7, 0
	s_mov_b32 s0, exec_lo
	v_lshl_add_u32 v2, v2, 2, 0
	v_add_nc_u32_e32 v1, v3, v1
	v_mov_b32_e32 v3, 0
	ds_write_b32 v2, v83
	ds_write_b32 v2, v3 offset:4224
	s_waitcnt lgkmcnt(0)
	s_barrier
	buffer_gl0_inv
	v_cmpx_gt_u32_e32 32, v1
	s_cbranch_execz .LBB161_86
; %bb.84:
	v_and_b32_e32 v2, 31, v0
	v_lshlrev_b32_e32 v3, 2, v1
	s_load_dwordx2 s[2:3], s[4:5], 0x30
	s_lshl_b64 s[0:1], s[6:7], 5
	v_or_b32_e32 v1, s0, v1
	v_mul_u32_u24_e32 v2, 0x84, v2
	v_cmp_eq_u32_e64 s0, 0, v0
	v_add3_u32 v2, 0, v3, v2
	v_mbcnt_lo_u32_b32 v3, -1, 0
	ds_read_b32 v2, v2
	v_xor_b32_e32 v4, 16, v3
	v_xor_b32_e32 v5, 8, v3
	v_cmp_gt_i32_e32 vcc_lo, 32, v4
	s_waitcnt lgkmcnt(0)
	s_cmp_lg_u64 s[2:3], 0
	v_cndmask_b32_e32 v4, v3, v4, vcc_lo
	v_cmp_gt_i32_e32 vcc_lo, 32, v5
	v_lshlrev_b32_e32 v4, 2, v4
	v_cndmask_b32_e32 v5, v3, v5, vcc_lo
	ds_bpermute_b32 v4, v4, v2
	v_lshlrev_b32_e32 v5, 2, v5
	s_waitcnt lgkmcnt(0)
	v_add_f32_e32 v2, v2, v4
	ds_bpermute_b32 v4, v5, v2
	v_xor_b32_e32 v5, 4, v3
	v_cmp_gt_i32_e32 vcc_lo, 32, v5
	v_cndmask_b32_e32 v5, v3, v5, vcc_lo
	v_lshlrev_b32_e32 v5, 2, v5
	s_waitcnt lgkmcnt(0)
	v_add_f32_e32 v2, v2, v4
	ds_bpermute_b32 v4, v5, v2
	v_xor_b32_e32 v5, 2, v3
	v_cmp_gt_i32_e32 vcc_lo, 32, v5
	v_cndmask_b32_e32 v5, v3, v5, vcc_lo
	;; [unrolled: 7-line block ×3, first 2 shown]
	s_waitcnt lgkmcnt(0)
	v_add_f32_e32 v3, v2, v4
	v_lshlrev_b32_e32 v2, 2, v5
	ds_bpermute_b32 v4, v2, v3
	v_mov_b32_e32 v2, s1
	s_cselect_b32 s1, -1, 0
	v_cmp_gt_i64_e32 vcc_lo, s[10:11], v[1:2]
	s_and_b32 s0, s0, vcc_lo
	s_and_b32 s0, s1, s0
	s_and_b32 exec_lo, exec_lo, s0
	s_cbranch_execz .LBB161_86
; %bb.85:
	v_lshlrev_b64 v[0:1], 2, v[1:2]
	s_waitcnt lgkmcnt(0)
	v_add_f32_e32 v2, v3, v4
	v_add_co_u32 v0, vcc_lo, s2, v0
	v_add_co_ci_u32_e64 v1, null, s3, v1, vcc_lo
	global_store_dword v[0:1], v2, off
.LBB161_86:
	s_endpgm
	.section	.rodata,"a",@progbits
	.p2align	6, 0x0
	.amdhsa_kernel _ZN2at6native12_GLOBAL__N_135GammaBetaBackwardCUDAKernelTemplateIffLj32ELj32ELj256ELb0ELb0ELb1EEEvllPKT_S5_PKT0_S8_PS3_S9_
		.amdhsa_group_segment_fixed_size 0
		.amdhsa_private_segment_fixed_size 0
		.amdhsa_kernarg_size 320
		.amdhsa_user_sgpr_count 6
		.amdhsa_user_sgpr_private_segment_buffer 1
		.amdhsa_user_sgpr_dispatch_ptr 0
		.amdhsa_user_sgpr_queue_ptr 0
		.amdhsa_user_sgpr_kernarg_segment_ptr 1
		.amdhsa_user_sgpr_dispatch_id 0
		.amdhsa_user_sgpr_flat_scratch_init 0
		.amdhsa_user_sgpr_private_segment_size 0
		.amdhsa_wavefront_size32 1
		.amdhsa_uses_dynamic_stack 0
		.amdhsa_system_sgpr_private_segment_wavefront_offset 0
		.amdhsa_system_sgpr_workgroup_id_x 1
		.amdhsa_system_sgpr_workgroup_id_y 1
		.amdhsa_system_sgpr_workgroup_id_z 0
		.amdhsa_system_sgpr_workgroup_info 0
		.amdhsa_system_vgpr_workitem_id 1
		.amdhsa_next_free_vgpr 91
		.amdhsa_next_free_sgpr 30
		.amdhsa_reserve_vcc 1
		.amdhsa_reserve_flat_scratch 0
		.amdhsa_float_round_mode_32 0
		.amdhsa_float_round_mode_16_64 0
		.amdhsa_float_denorm_mode_32 3
		.amdhsa_float_denorm_mode_16_64 3
		.amdhsa_dx10_clamp 1
		.amdhsa_ieee_mode 1
		.amdhsa_fp16_overflow 0
		.amdhsa_workgroup_processor_mode 1
		.amdhsa_memory_ordered 1
		.amdhsa_forward_progress 1
		.amdhsa_shared_vgpr_count 0
		.amdhsa_exception_fp_ieee_invalid_op 0
		.amdhsa_exception_fp_denorm_src 0
		.amdhsa_exception_fp_ieee_div_zero 0
		.amdhsa_exception_fp_ieee_overflow 0
		.amdhsa_exception_fp_ieee_underflow 0
		.amdhsa_exception_fp_ieee_inexact 0
		.amdhsa_exception_int_div_zero 0
	.end_amdhsa_kernel
	.section	.text._ZN2at6native12_GLOBAL__N_135GammaBetaBackwardCUDAKernelTemplateIffLj32ELj32ELj256ELb0ELb0ELb1EEEvllPKT_S5_PKT0_S8_PS3_S9_,"axG",@progbits,_ZN2at6native12_GLOBAL__N_135GammaBetaBackwardCUDAKernelTemplateIffLj32ELj32ELj256ELb0ELb0ELb1EEEvllPKT_S5_PKT0_S8_PS3_S9_,comdat
.Lfunc_end161:
	.size	_ZN2at6native12_GLOBAL__N_135GammaBetaBackwardCUDAKernelTemplateIffLj32ELj32ELj256ELb0ELb0ELb1EEEvllPKT_S5_PKT0_S8_PS3_S9_, .Lfunc_end161-_ZN2at6native12_GLOBAL__N_135GammaBetaBackwardCUDAKernelTemplateIffLj32ELj32ELj256ELb0ELb0ELb1EEEvllPKT_S5_PKT0_S8_PS3_S9_
                                        ; -- End function
	.set _ZN2at6native12_GLOBAL__N_135GammaBetaBackwardCUDAKernelTemplateIffLj32ELj32ELj256ELb0ELb0ELb1EEEvllPKT_S5_PKT0_S8_PS3_S9_.num_vgpr, 91
	.set _ZN2at6native12_GLOBAL__N_135GammaBetaBackwardCUDAKernelTemplateIffLj32ELj32ELj256ELb0ELb0ELb1EEEvllPKT_S5_PKT0_S8_PS3_S9_.num_agpr, 0
	.set _ZN2at6native12_GLOBAL__N_135GammaBetaBackwardCUDAKernelTemplateIffLj32ELj32ELj256ELb0ELb0ELb1EEEvllPKT_S5_PKT0_S8_PS3_S9_.numbered_sgpr, 30
	.set _ZN2at6native12_GLOBAL__N_135GammaBetaBackwardCUDAKernelTemplateIffLj32ELj32ELj256ELb0ELb0ELb1EEEvllPKT_S5_PKT0_S8_PS3_S9_.num_named_barrier, 0
	.set _ZN2at6native12_GLOBAL__N_135GammaBetaBackwardCUDAKernelTemplateIffLj32ELj32ELj256ELb0ELb0ELb1EEEvllPKT_S5_PKT0_S8_PS3_S9_.private_seg_size, 0
	.set _ZN2at6native12_GLOBAL__N_135GammaBetaBackwardCUDAKernelTemplateIffLj32ELj32ELj256ELb0ELb0ELb1EEEvllPKT_S5_PKT0_S8_PS3_S9_.uses_vcc, 1
	.set _ZN2at6native12_GLOBAL__N_135GammaBetaBackwardCUDAKernelTemplateIffLj32ELj32ELj256ELb0ELb0ELb1EEEvllPKT_S5_PKT0_S8_PS3_S9_.uses_flat_scratch, 0
	.set _ZN2at6native12_GLOBAL__N_135GammaBetaBackwardCUDAKernelTemplateIffLj32ELj32ELj256ELb0ELb0ELb1EEEvllPKT_S5_PKT0_S8_PS3_S9_.has_dyn_sized_stack, 0
	.set _ZN2at6native12_GLOBAL__N_135GammaBetaBackwardCUDAKernelTemplateIffLj32ELj32ELj256ELb0ELb0ELb1EEEvllPKT_S5_PKT0_S8_PS3_S9_.has_recursion, 0
	.set _ZN2at6native12_GLOBAL__N_135GammaBetaBackwardCUDAKernelTemplateIffLj32ELj32ELj256ELb0ELb0ELb1EEEvllPKT_S5_PKT0_S8_PS3_S9_.has_indirect_call, 0
	.section	.AMDGPU.csdata,"",@progbits
; Kernel info:
; codeLenInByte = 7500
; TotalNumSgprs: 32
; NumVgprs: 91
; ScratchSize: 0
; MemoryBound: 0
; FloatMode: 240
; IeeeMode: 1
; LDSByteSize: 0 bytes/workgroup (compile time only)
; SGPRBlocks: 0
; VGPRBlocks: 11
; NumSGPRsForWavesPerEU: 32
; NumVGPRsForWavesPerEU: 91
; Occupancy: 10
; WaveLimiterHint : 0
; COMPUTE_PGM_RSRC2:SCRATCH_EN: 0
; COMPUTE_PGM_RSRC2:USER_SGPR: 6
; COMPUTE_PGM_RSRC2:TRAP_HANDLER: 0
; COMPUTE_PGM_RSRC2:TGID_X_EN: 1
; COMPUTE_PGM_RSRC2:TGID_Y_EN: 1
; COMPUTE_PGM_RSRC2:TGID_Z_EN: 0
; COMPUTE_PGM_RSRC2:TIDIG_COMP_CNT: 1
	.section	.text._ZN2at6native12_GLOBAL__N_118cuComputeGradInputIN3c104HalfEfLb1EEEvPKT_S7_llPKT0_SA_S7_PS5_,"axG",@progbits,_ZN2at6native12_GLOBAL__N_118cuComputeGradInputIN3c104HalfEfLb1EEEvPKT_S7_llPKT0_SA_S7_PS5_,comdat
	.globl	_ZN2at6native12_GLOBAL__N_118cuComputeGradInputIN3c104HalfEfLb1EEEvPKT_S7_llPKT0_SA_S7_PS5_ ; -- Begin function _ZN2at6native12_GLOBAL__N_118cuComputeGradInputIN3c104HalfEfLb1EEEvPKT_S7_llPKT0_SA_S7_PS5_
	.p2align	8
	.type	_ZN2at6native12_GLOBAL__N_118cuComputeGradInputIN3c104HalfEfLb1EEEvPKT_S7_llPKT0_SA_S7_PS5_,@function
_ZN2at6native12_GLOBAL__N_118cuComputeGradInputIN3c104HalfEfLb1EEEvPKT_S7_llPKT0_SA_S7_PS5_: ; @_ZN2at6native12_GLOBAL__N_118cuComputeGradInputIN3c104HalfEfLb1EEEvPKT_S7_llPKT0_SA_S7_PS5_
; %bb.0:
	s_load_dwordx4 s[8:11], s[4:5], 0x10
	s_mov_b32 s6, s7
	s_ashr_i32 s7, s7, 31
	s_waitcnt lgkmcnt(0)
	v_cmp_le_i64_e64 s0, s[8:9], s[6:7]
	s_and_b32 vcc_lo, exec_lo, s0
	s_cbranch_vccnz .LBB162_47
; %bb.1:
	s_clause 0x2
	s_load_dword s0, s[4:5], 0x4c
	s_load_dwordx4 s[12:15], s[4:5], 0x30
	s_load_dword s24, s[4:5], 0x44
	s_flbit_i32 s1, s11
	s_clause 0x1
	s_load_dwordx4 s[16:19], s[4:5], 0x0
	s_load_dwordx2 s[20:21], s[4:5], 0x28
	v_mov_b32_e32 v3, 0
	v_cmp_gt_i64_e64 s30, s[10:11], 0
	v_lshlrev_b32_e32 v7, 3, v0
	v_mbcnt_lo_u32_b32 v12, -1, 0
	v_cndmask_b32_e64 v11, 0, 1, s30
	v_add_nc_u32_e32 v15, 0, v7
	s_waitcnt lgkmcnt(0)
	s_lshr_b32 s25, s0, 16
	s_and_b32 s26, s0, 0xffff
	s_cmp_lg_u64 s[12:13], 0
	s_mul_i32 s31, s25, s26
	s_cselect_b32 s27, -1, 0
	s_cmp_gt_u32 s26, 1
	s_cselect_b32 s28, -1, 0
	s_cmp_gt_u32 s25, 1
	s_cselect_b32 s29, -1, 0
	s_xor_b32 s0, s10, s11
	s_add_i32 s1, s1, -1
	s_ashr_i32 s0, s0, 31
	s_ashr_i32 s33, s31, 31
	s_add_i32 s0, s0, 32
	s_min_u32 s2, s1, s0
	s_lshl_b64 s[0:1], s[10:11], s2
	s_min_u32 s0, s0, 1
	s_or_b32 s0, s1, s0
	v_cmp_ne_u32_e64 s1, 0, v1
	v_cvt_f32_i32_e32 v2, s0
	s_sub_i32 s0, 32, s2
	v_ldexp_f32 v10, v2, s0
	v_cmp_eq_u32_e64 s0, 0, v1
	v_div_scale_f32 v4, null, v10, v10, 1.0
	v_div_scale_f32 v6, vcc_lo, 1.0, v10, 1.0
	v_rcp_f32_e32 v5, v4
	v_fma_f32 v2, -v4, v5, 1.0
	v_fmac_f32_e32 v5, v2, v5
	v_mad_u32_u24 v2, v1, s26, v0
	v_mul_f32_e32 v8, v6, v5
	v_lshlrev_b32_e32 v13, 3, v2
	v_cmp_gt_i64_e64 s2, s[10:11], v[2:3]
	v_fma_f32 v9, -v4, v8, v6
	v_add_nc_u32_e32 v13, 0, v13
	v_fmac_f32_e32 v8, v9, v5
	v_add_nc_u32_e32 v9, s31, v2
	v_fma_f32 v4, -v4, v8, v6
	v_ashrrev_i32_e32 v6, 31, v9
	v_div_fmas_f32 v8, v4, v5, v8
	v_sub_co_u32 v4, vcc_lo, v9, s31
	v_subrev_co_ci_u32_e64 v5, null, s33, v6, vcc_lo
	v_div_fixup_f32 v14, v8, v10, 1.0
	s_branch .LBB162_4
.LBB162_2:                              ;   in Loop: Header=BB162_4 Depth=1
	s_inst_prefetch 0x2
	s_or_b32 exec_lo, exec_lo, s22
.LBB162_3:                              ;   in Loop: Header=BB162_4 Depth=1
	s_add_i32 s6, s24, s6
	s_waitcnt_vscnt null, 0x0
	s_ashr_i32 s7, s6, 31
	s_barrier
	v_cmp_le_i64_e64 s3, s[8:9], s[6:7]
	buffer_gl0_inv
	s_and_b32 vcc_lo, exec_lo, s3
	s_cbranch_vccnz .LBB162_47
.LBB162_4:                              ; =>This Loop Header: Depth=1
                                        ;     Child Loop BB162_8 Depth 2
                                        ;     Child Loop BB162_19 Depth 2
	;; [unrolled: 1-line block ×6, first 2 shown]
	s_mul_i32 s3, s6, s11
	s_mul_hi_u32 s4, s6, s10
	s_mul_i32 s22, s7, s10
	s_add_i32 s3, s4, s3
	s_lshl_b64 s[4:5], s[6:7], 2
	s_add_i32 s23, s3, s22
	s_add_u32 s4, s20, s4
	s_addc_u32 s5, s21, s5
	s_mul_i32 s22, s6, s10
	s_load_dword s7, s[4:5], 0x0
	s_lshl_b64 s[22:23], s[22:23], 1
	v_cmp_ne_u32_e64 s3, 1, v11
	s_add_u32 s34, s18, s22
	s_addc_u32 s35, s19, s23
	s_add_u32 s36, s16, s22
	s_addc_u32 s37, s17, s23
	s_andn2_b32 vcc_lo, exec_lo, s27
	s_mov_b32 s4, -1
                                        ; implicit-def: $vgpr16
	s_cbranch_vccnz .LBB162_15
; %bb.5:                                ;   in Loop: Header=BB162_4 Depth=1
	v_mov_b32_e32 v16, 0
	s_and_b32 vcc_lo, exec_lo, s3
	s_cbranch_vccnz .LBB162_14
; %bb.6:                                ;   in Loop: Header=BB162_4 Depth=1
	s_mov_b32 s4, 0
	s_inst_prefetch 0x1
	s_branch .LBB162_8
	.p2align	6
.LBB162_7:                              ;   in Loop: Header=BB162_8 Depth=2
	s_or_b32 exec_lo, exec_lo, s3
	v_mul_f32_e32 v6, v8, v17
	s_add_i32 s4, s4, s31
	s_ashr_i32 s5, s4, 31
	v_cmp_le_i64_e64 s3, s[10:11], s[4:5]
	v_mul_f32_e32 v6, v9, v6
	s_waitcnt lgkmcnt(0)
	v_fmac_f32_e32 v16, s7, v6
	s_and_b32 vcc_lo, exec_lo, s3
	s_cbranch_vccnz .LBB162_14
.LBB162_8:                              ;   Parent Loop BB162_4 Depth=1
                                        ; =>  This Inner Loop Header: Depth=2
	v_add_nc_u32_e32 v6, s4, v2
	v_mov_b32_e32 v8, 0
	v_ashrrev_i32_e32 v7, 31, v6
	v_cmp_gt_i64_e32 vcc_lo, s[10:11], v[6:7]
	v_lshlrev_b64 v[6:7], 1, v[6:7]
	s_and_saveexec_b32 s5, vcc_lo
	s_cbranch_execz .LBB162_10
; %bb.9:                                ;   in Loop: Header=BB162_8 Depth=2
	v_add_co_u32 v8, s3, s12, v6
	v_add_co_ci_u32_e64 v9, null, s13, v7, s3
	global_load_ushort v8, v[8:9], off
	s_waitcnt vmcnt(0)
	v_cvt_f32_f16_e32 v8, v8
.LBB162_10:                             ;   in Loop: Header=BB162_8 Depth=2
	s_or_b32 exec_lo, exec_lo, s5
	v_mov_b32_e32 v17, 0
	v_mov_b32_e32 v9, 0
	s_and_saveexec_b32 s5, vcc_lo
	s_cbranch_execz .LBB162_12
; %bb.11:                               ;   in Loop: Header=BB162_8 Depth=2
	v_add_co_u32 v18, s3, s34, v6
	v_add_co_ci_u32_e64 v19, null, s35, v7, s3
	global_load_ushort v9, v[18:19], off
	s_waitcnt vmcnt(0)
	v_cvt_f32_f16_e32 v9, v9
.LBB162_12:                             ;   in Loop: Header=BB162_8 Depth=2
	s_or_b32 exec_lo, exec_lo, s5
	s_and_saveexec_b32 s3, vcc_lo
	s_cbranch_execz .LBB162_7
; %bb.13:                               ;   in Loop: Header=BB162_8 Depth=2
	v_add_co_u32 v6, vcc_lo, s36, v6
	v_add_co_ci_u32_e64 v7, null, s37, v7, vcc_lo
	global_load_ushort v6, v[6:7], off
	s_waitcnt vmcnt(0)
	v_cvt_f32_f16_e32 v17, v6
	s_branch .LBB162_7
.LBB162_14:                             ;   in Loop: Header=BB162_4 Depth=1
	s_inst_prefetch 0x2
	s_mov_b32 s4, 0
.LBB162_15:                             ;   in Loop: Header=BB162_4 Depth=1
	s_andn2_b32 vcc_lo, exec_lo, s4
	s_cbranch_vccnz .LBB162_23
; %bb.16:                               ;   in Loop: Header=BB162_4 Depth=1
	v_mov_b32_e32 v16, 0
	s_andn2_b32 vcc_lo, exec_lo, s30
	s_cbranch_vccnz .LBB162_23
; %bb.17:                               ;   in Loop: Header=BB162_4 Depth=1
	s_mov_b32 s4, 0
	s_inst_prefetch 0x1
	s_branch .LBB162_19
	.p2align	6
.LBB162_18:                             ;   in Loop: Header=BB162_19 Depth=2
	s_or_b32 exec_lo, exec_lo, s3
	s_add_i32 s4, s4, s31
	v_mul_f32_e32 v6, v8, v9
	s_ashr_i32 s5, s4, 31
	v_cmp_le_i64_e64 s3, s[10:11], s[4:5]
	s_waitcnt lgkmcnt(0)
	v_fmac_f32_e32 v16, s7, v6
	s_and_b32 vcc_lo, exec_lo, s3
	s_cbranch_vccnz .LBB162_23
.LBB162_19:                             ;   Parent Loop BB162_4 Depth=1
                                        ; =>  This Inner Loop Header: Depth=2
	v_add_nc_u32_e32 v6, s4, v2
	v_mov_b32_e32 v8, 0
	v_ashrrev_i32_e32 v7, 31, v6
	v_cmp_gt_i64_e32 vcc_lo, s[10:11], v[6:7]
	v_lshlrev_b64 v[6:7], 1, v[6:7]
	s_and_saveexec_b32 s5, vcc_lo
	s_cbranch_execz .LBB162_21
; %bb.20:                               ;   in Loop: Header=BB162_19 Depth=2
	v_add_co_u32 v8, s3, s34, v6
	v_add_co_ci_u32_e64 v9, null, s35, v7, s3
	global_load_ushort v8, v[8:9], off
	s_waitcnt vmcnt(0)
	v_cvt_f32_f16_e32 v8, v8
.LBB162_21:                             ;   in Loop: Header=BB162_19 Depth=2
	s_or_b32 exec_lo, exec_lo, s5
	v_mov_b32_e32 v9, 0
	s_and_saveexec_b32 s3, vcc_lo
	s_cbranch_execz .LBB162_18
; %bb.22:                               ;   in Loop: Header=BB162_19 Depth=2
	v_add_co_u32 v6, vcc_lo, s36, v6
	v_add_co_ci_u32_e64 v7, null, s37, v7, vcc_lo
	global_load_ushort v6, v[6:7], off
	s_waitcnt vmcnt(0)
	v_cvt_f32_f16_e32 v9, v6
	s_branch .LBB162_18
.LBB162_23:                             ;   in Loop: Header=BB162_4 Depth=1
	s_inst_prefetch 0x2
	s_andn2_b32 vcc_lo, exec_lo, s28
	s_cbranch_vccnz .LBB162_26
; %bb.24:                               ;   in Loop: Header=BB162_4 Depth=1
	s_mov_b32 s3, s26
.LBB162_25:                             ;   Parent Loop BB162_4 Depth=1
                                        ; =>  This Inner Loop Header: Depth=2
	s_lshr_b32 s4, s3, 1
	s_cmp_lt_u32 s3, 4
	v_xor_b32_e32 v6, s4, v12
	s_mov_b32 s3, s4
	v_cmp_gt_i32_e32 vcc_lo, 32, v6
	v_cndmask_b32_e32 v6, v12, v6, vcc_lo
	v_lshlrev_b32_e32 v6, 2, v6
	ds_bpermute_b32 v6, v6, v16
	s_waitcnt lgkmcnt(0)
	v_add_f32_e32 v16, v16, v6
	s_cbranch_scc0 .LBB162_25
.LBB162_26:                             ;   in Loop: Header=BB162_4 Depth=1
	s_andn2_b32 vcc_lo, exec_lo, s29
	s_mov_b32 s5, s25
	s_cbranch_vccnz .LBB162_38
	.p2align	6
.LBB162_27:                             ;   Parent Loop BB162_4 Depth=1
                                        ; =>  This Inner Loop Header: Depth=2
	s_lshr_b32 s38, s5, 1
	s_and_b32 s4, s5, 0xfffe
	v_cmp_le_u32_e64 s3, s38, v1
	v_cmp_gt_u32_e64 s4, s4, v1
	v_cmp_gt_u32_e32 vcc_lo, s38, v1
	s_and_b32 s4, s3, s4
	s_and_saveexec_b32 s3, s4
	s_cbranch_execz .LBB162_29
; %bb.28:                               ;   in Loop: Header=BB162_27 Depth=2
	v_subrev_nc_u32_e32 v6, s38, v1
	v_mad_u32_u24 v6, v6, s26, v0
	v_lshl_add_u32 v6, v6, 3, 0
	ds_write_b32 v6, v16 offset:4
.LBB162_29:                             ;   in Loop: Header=BB162_27 Depth=2
	s_or_b32 exec_lo, exec_lo, s3
	s_waitcnt lgkmcnt(0)
	s_barrier
	buffer_gl0_inv
	s_and_saveexec_b32 s3, vcc_lo
	s_cbranch_execz .LBB162_31
; %bb.30:                               ;   in Loop: Header=BB162_27 Depth=2
	ds_read_b32 v6, v13 offset:4
	s_waitcnt lgkmcnt(0)
	v_add_f32_e32 v16, v16, v6
.LBB162_31:                             ;   in Loop: Header=BB162_27 Depth=2
	s_or_b32 exec_lo, exec_lo, s3
	s_cmp_lt_u32 s5, 4
	s_barrier
	buffer_gl0_inv
	s_cbranch_scc1 .LBB162_33
; %bb.32:                               ;   in Loop: Header=BB162_27 Depth=2
	s_mov_b32 s5, s38
	s_branch .LBB162_27
.LBB162_33:                             ;   in Loop: Header=BB162_4 Depth=1
	s_and_saveexec_b32 s3, s0
; %bb.34:                               ;   in Loop: Header=BB162_4 Depth=1
	ds_write_b32 v15, v16 offset:4
; %bb.35:                               ;   in Loop: Header=BB162_4 Depth=1
	s_or_b32 exec_lo, exec_lo, s3
	s_waitcnt lgkmcnt(0)
	s_barrier
	buffer_gl0_inv
	s_and_saveexec_b32 s3, s1
; %bb.36:                               ;   in Loop: Header=BB162_4 Depth=1
	ds_read_b32 v16, v15 offset:4
; %bb.37:                               ;   in Loop: Header=BB162_4 Depth=1
	s_or_b32 exec_lo, exec_lo, s3
.LBB162_38:                             ;   in Loop: Header=BB162_4 Depth=1
	s_waitcnt lgkmcnt(0)
	v_mul_f32_e32 v17, s7, v14
	s_add_u32 s4, s14, s22
	s_addc_u32 s5, s15, s23
	s_andn2_b32 vcc_lo, exec_lo, s27
	s_cbranch_vccnz .LBB162_43
; %bb.39:                               ;   in Loop: Header=BB162_4 Depth=1
	s_and_saveexec_b32 s22, s2
	s_cbranch_execz .LBB162_42
; %bb.40:                               ;   in Loop: Header=BB162_4 Depth=1
	v_mov_b32_e32 v7, v5
	v_mov_b32_e32 v9, v3
	;; [unrolled: 1-line block ×4, first 2 shown]
	s_mov_b32 s23, 0
	s_inst_prefetch 0x1
	.p2align	6
.LBB162_41:                             ;   Parent Loop BB162_4 Depth=1
                                        ; =>  This Inner Loop Header: Depth=2
	v_lshlrev_b64 v[18:19], 1, v[8:9]
	v_add_co_u32 v8, vcc_lo, s34, v18
	v_add_co_ci_u32_e64 v9, null, s35, v19, vcc_lo
	v_add_co_u32 v20, vcc_lo, s36, v18
	v_add_co_ci_u32_e64 v21, null, s37, v19, vcc_lo
	global_load_ushort v22, v[8:9], off
	global_load_ushort v20, v[20:21], off
	v_add_co_u32 v8, vcc_lo, s12, v18
	v_add_co_ci_u32_e64 v9, null, s13, v19, vcc_lo
	v_add_co_u32 v6, vcc_lo, v6, s31
	v_add_co_ci_u32_e64 v7, null, s33, v7, vcc_lo
	global_load_ushort v8, v[8:9], off
	v_add_co_u32 v18, s3, s4, v18
	v_cmp_le_i64_e32 vcc_lo, s[10:11], v[6:7]
	v_add_co_ci_u32_e64 v19, null, s5, v19, s3
	s_or_b32 s23, vcc_lo, s23
	s_waitcnt vmcnt(2)
	v_cvt_f32_f16_e32 v9, v22
	s_waitcnt vmcnt(1)
	v_cvt_f32_f16_e32 v20, v20
	v_mul_f32_e32 v9, s7, v9
	v_mul_f32_e32 v20, v10, v20
	;; [unrolled: 1-line block ×3, first 2 shown]
	v_ashrrev_i32_e32 v9, 31, v6
	s_waitcnt vmcnt(0)
	v_fma_mix_f32 v8, v20, v8, -v21 op_sel_hi:[0,1,0]
	v_fma_mixlo_f16 v20, v17, v8, 0
	v_mov_b32_e32 v8, v6
	global_store_short v[18:19], v20, off
	s_andn2_b32 exec_lo, exec_lo, s23
	s_cbranch_execnz .LBB162_41
.LBB162_42:                             ;   in Loop: Header=BB162_4 Depth=1
	s_inst_prefetch 0x2
	s_or_b32 exec_lo, exec_lo, s22
	s_cbranch_execnz .LBB162_3
	s_branch .LBB162_44
.LBB162_43:                             ;   in Loop: Header=BB162_4 Depth=1
.LBB162_44:                             ;   in Loop: Header=BB162_4 Depth=1
	s_and_saveexec_b32 s22, s2
	s_cbranch_execz .LBB162_2
; %bb.45:                               ;   in Loop: Header=BB162_4 Depth=1
	v_mov_b32_e32 v7, v5
	v_mov_b32_e32 v9, v3
	;; [unrolled: 1-line block ×4, first 2 shown]
	s_mov_b32 s23, 0
	s_inst_prefetch 0x1
	.p2align	6
.LBB162_46:                             ;   Parent Loop BB162_4 Depth=1
                                        ; =>  This Inner Loop Header: Depth=2
	v_lshlrev_b64 v[18:19], 1, v[8:9]
	v_add_co_u32 v8, vcc_lo, s34, v18
	v_add_co_ci_u32_e64 v9, null, s35, v19, vcc_lo
	global_load_ushort v20, v[8:9], off
	v_add_co_u32 v8, vcc_lo, s36, v18
	v_add_co_ci_u32_e64 v9, null, s37, v19, vcc_lo
	v_add_co_u32 v6, vcc_lo, v6, s31
	v_add_co_ci_u32_e64 v7, null, s33, v7, vcc_lo
	global_load_ushort v8, v[8:9], off
	v_add_co_u32 v18, s3, s4, v18
	v_cmp_le_i64_e32 vcc_lo, s[10:11], v[6:7]
	v_add_co_ci_u32_e64 v19, null, s5, v19, s3
	s_or_b32 s23, vcc_lo, s23
	s_waitcnt vmcnt(1)
	v_cvt_f32_f16_e32 v9, v20
	v_mul_f32_e32 v9, s7, v9
	v_mul_f32_e32 v20, v16, v9
	v_ashrrev_i32_e32 v9, 31, v6
	s_waitcnt vmcnt(0)
	v_fma_mix_f32 v8, v10, v8, -v20 op_sel_hi:[0,1,0]
	v_fma_mixlo_f16 v20, v17, v8, 0
	v_mov_b32_e32 v8, v6
	global_store_short v[18:19], v20, off
	s_andn2_b32 exec_lo, exec_lo, s23
	s_cbranch_execnz .LBB162_46
	s_branch .LBB162_2
.LBB162_47:
	s_endpgm
	.section	.rodata,"a",@progbits
	.p2align	6, 0x0
	.amdhsa_kernel _ZN2at6native12_GLOBAL__N_118cuComputeGradInputIN3c104HalfEfLb1EEEvPKT_S7_llPKT0_SA_S7_PS5_
		.amdhsa_group_segment_fixed_size 0
		.amdhsa_private_segment_fixed_size 0
		.amdhsa_kernarg_size 320
		.amdhsa_user_sgpr_count 6
		.amdhsa_user_sgpr_private_segment_buffer 1
		.amdhsa_user_sgpr_dispatch_ptr 0
		.amdhsa_user_sgpr_queue_ptr 0
		.amdhsa_user_sgpr_kernarg_segment_ptr 1
		.amdhsa_user_sgpr_dispatch_id 0
		.amdhsa_user_sgpr_flat_scratch_init 0
		.amdhsa_user_sgpr_private_segment_size 0
		.amdhsa_wavefront_size32 1
		.amdhsa_uses_dynamic_stack 0
		.amdhsa_system_sgpr_private_segment_wavefront_offset 0
		.amdhsa_system_sgpr_workgroup_id_x 1
		.amdhsa_system_sgpr_workgroup_id_y 1
		.amdhsa_system_sgpr_workgroup_id_z 0
		.amdhsa_system_sgpr_workgroup_info 0
		.amdhsa_system_vgpr_workitem_id 1
		.amdhsa_next_free_vgpr 23
		.amdhsa_next_free_sgpr 39
		.amdhsa_reserve_vcc 1
		.amdhsa_reserve_flat_scratch 0
		.amdhsa_float_round_mode_32 0
		.amdhsa_float_round_mode_16_64 0
		.amdhsa_float_denorm_mode_32 3
		.amdhsa_float_denorm_mode_16_64 3
		.amdhsa_dx10_clamp 1
		.amdhsa_ieee_mode 1
		.amdhsa_fp16_overflow 0
		.amdhsa_workgroup_processor_mode 1
		.amdhsa_memory_ordered 1
		.amdhsa_forward_progress 1
		.amdhsa_shared_vgpr_count 0
		.amdhsa_exception_fp_ieee_invalid_op 0
		.amdhsa_exception_fp_denorm_src 0
		.amdhsa_exception_fp_ieee_div_zero 0
		.amdhsa_exception_fp_ieee_overflow 0
		.amdhsa_exception_fp_ieee_underflow 0
		.amdhsa_exception_fp_ieee_inexact 0
		.amdhsa_exception_int_div_zero 0
	.end_amdhsa_kernel
	.section	.text._ZN2at6native12_GLOBAL__N_118cuComputeGradInputIN3c104HalfEfLb1EEEvPKT_S7_llPKT0_SA_S7_PS5_,"axG",@progbits,_ZN2at6native12_GLOBAL__N_118cuComputeGradInputIN3c104HalfEfLb1EEEvPKT_S7_llPKT0_SA_S7_PS5_,comdat
.Lfunc_end162:
	.size	_ZN2at6native12_GLOBAL__N_118cuComputeGradInputIN3c104HalfEfLb1EEEvPKT_S7_llPKT0_SA_S7_PS5_, .Lfunc_end162-_ZN2at6native12_GLOBAL__N_118cuComputeGradInputIN3c104HalfEfLb1EEEvPKT_S7_llPKT0_SA_S7_PS5_
                                        ; -- End function
	.set _ZN2at6native12_GLOBAL__N_118cuComputeGradInputIN3c104HalfEfLb1EEEvPKT_S7_llPKT0_SA_S7_PS5_.num_vgpr, 23
	.set _ZN2at6native12_GLOBAL__N_118cuComputeGradInputIN3c104HalfEfLb1EEEvPKT_S7_llPKT0_SA_S7_PS5_.num_agpr, 0
	.set _ZN2at6native12_GLOBAL__N_118cuComputeGradInputIN3c104HalfEfLb1EEEvPKT_S7_llPKT0_SA_S7_PS5_.numbered_sgpr, 39
	.set _ZN2at6native12_GLOBAL__N_118cuComputeGradInputIN3c104HalfEfLb1EEEvPKT_S7_llPKT0_SA_S7_PS5_.num_named_barrier, 0
	.set _ZN2at6native12_GLOBAL__N_118cuComputeGradInputIN3c104HalfEfLb1EEEvPKT_S7_llPKT0_SA_S7_PS5_.private_seg_size, 0
	.set _ZN2at6native12_GLOBAL__N_118cuComputeGradInputIN3c104HalfEfLb1EEEvPKT_S7_llPKT0_SA_S7_PS5_.uses_vcc, 1
	.set _ZN2at6native12_GLOBAL__N_118cuComputeGradInputIN3c104HalfEfLb1EEEvPKT_S7_llPKT0_SA_S7_PS5_.uses_flat_scratch, 0
	.set _ZN2at6native12_GLOBAL__N_118cuComputeGradInputIN3c104HalfEfLb1EEEvPKT_S7_llPKT0_SA_S7_PS5_.has_dyn_sized_stack, 0
	.set _ZN2at6native12_GLOBAL__N_118cuComputeGradInputIN3c104HalfEfLb1EEEvPKT_S7_llPKT0_SA_S7_PS5_.has_recursion, 0
	.set _ZN2at6native12_GLOBAL__N_118cuComputeGradInputIN3c104HalfEfLb1EEEvPKT_S7_llPKT0_SA_S7_PS5_.has_indirect_call, 0
	.section	.AMDGPU.csdata,"",@progbits
; Kernel info:
; codeLenInByte = 1764
; TotalNumSgprs: 41
; NumVgprs: 23
; ScratchSize: 0
; MemoryBound: 0
; FloatMode: 240
; IeeeMode: 1
; LDSByteSize: 0 bytes/workgroup (compile time only)
; SGPRBlocks: 0
; VGPRBlocks: 2
; NumSGPRsForWavesPerEU: 41
; NumVGPRsForWavesPerEU: 23
; Occupancy: 16
; WaveLimiterHint : 0
; COMPUTE_PGM_RSRC2:SCRATCH_EN: 0
; COMPUTE_PGM_RSRC2:USER_SGPR: 6
; COMPUTE_PGM_RSRC2:TRAP_HANDLER: 0
; COMPUTE_PGM_RSRC2:TGID_X_EN: 1
; COMPUTE_PGM_RSRC2:TGID_Y_EN: 1
; COMPUTE_PGM_RSRC2:TGID_Z_EN: 0
; COMPUTE_PGM_RSRC2:TIDIG_COMP_CNT: 1
	.section	.text._ZN2at6native12_GLOBAL__N_128layer_norm_grad_input_kernelIN3c104HalfEfLb1EEEvPKT_S7_PKT0_SA_S7_PS5_i,"axG",@progbits,_ZN2at6native12_GLOBAL__N_128layer_norm_grad_input_kernelIN3c104HalfEfLb1EEEvPKT_S7_PKT0_SA_S7_PS5_i,comdat
	.globl	_ZN2at6native12_GLOBAL__N_128layer_norm_grad_input_kernelIN3c104HalfEfLb1EEEvPKT_S7_PKT0_SA_S7_PS5_i ; -- Begin function _ZN2at6native12_GLOBAL__N_128layer_norm_grad_input_kernelIN3c104HalfEfLb1EEEvPKT_S7_PKT0_SA_S7_PS5_i
	.p2align	8
	.type	_ZN2at6native12_GLOBAL__N_128layer_norm_grad_input_kernelIN3c104HalfEfLb1EEEvPKT_S7_PKT0_SA_S7_PS5_i,@function
_ZN2at6native12_GLOBAL__N_128layer_norm_grad_input_kernelIN3c104HalfEfLb1EEEvPKT_S7_PKT0_SA_S7_PS5_i: ; @_ZN2at6native12_GLOBAL__N_128layer_norm_grad_input_kernelIN3c104HalfEfLb1EEEvPKT_S7_PKT0_SA_S7_PS5_i
; %bb.0:
	s_clause 0x2
	s_load_dword s14, s[4:5], 0x30
	s_load_dwordx4 s[0:3], s[4:5], 0x18
	s_load_dwordx4 s[8:11], s[4:5], 0x0
	s_mov_b32 s7, 0
	v_lshlrev_b32_e32 v1, 2, v0
	v_mov_b32_e32 v9, 0
	v_or_b32_e32 v2, 3, v1
	s_waitcnt lgkmcnt(0)
	s_ashr_i32 s12, s14, 31
	s_mul_hi_u32 s15, s14, s6
	s_mul_i32 s16, s12, s6
	s_lshl_b64 s[12:13], s[6:7], 2
	s_add_i32 s17, s15, s16
	s_add_u32 s0, s0, s12
	s_addc_u32 s1, s1, s13
	s_mul_i32 s16, s14, s6
	s_load_dword s1, s[0:1], 0x0
	s_lshl_b64 s[12:13], s[16:17], 1
	s_mov_b32 s0, exec_lo
	s_add_u32 s6, s10, s12
	s_addc_u32 s15, s11, s13
	s_add_u32 s16, s8, s12
	s_addc_u32 s17, s9, s13
	v_cmpx_gt_u32_e64 s14, v2
	s_cbranch_execz .LBB163_12
; %bb.1:
	s_load_dword s19, s[4:5], 0x44
	s_cmp_lg_u64 s[2:3], 0
	v_mov_b32_e32 v2, 0
	v_mov_b32_e32 v9, 0
	s_cselect_b32 s18, -1, 0
	s_waitcnt lgkmcnt(0)
	s_and_b32 s19, s19, 0xffff
	s_lshl_b32 s19, s19, 2
	s_branch .LBB163_3
.LBB163_2:                              ;   in Loop: Header=BB163_3 Depth=1
	global_load_ushort v5, v[5:6], off offset:6
	global_load_ushort v3, v[3:4], off offset:6
	s_waitcnt vmcnt(6)
	v_cvt_f32_f16_e32 v4, v13
	v_cvt_f32_f16_e32 v6, v12
	s_waitcnt vmcnt(4)
	v_cvt_f32_f16_e32 v7, v16
	s_waitcnt vmcnt(2)
	v_cvt_f32_f16_e32 v8, v19
	v_add_nc_u32_e32 v1, s19, v1
	v_mul_f32_e32 v4, v11, v4
	v_mul_f32_e32 v7, v10, v7
	;; [unrolled: 1-line block ×3, first 2 shown]
	v_cvt_f32_f16_e32 v6, v15
	v_fmac_f32_e32 v9, s1, v4
	v_mul_f32_e32 v4, v7, v6
	v_cvt_f32_f16_e32 v6, v18
	v_mul_f32_e32 v7, v17, v8
	v_fmac_f32_e32 v9, s1, v4
	v_mul_f32_e32 v4, v7, v6
	v_add_nc_u32_e32 v6, 3, v1
	v_fmac_f32_e32 v9, s1, v4
	v_cmp_le_u32_e32 vcc_lo, s14, v6
	s_or_b32 s7, vcc_lo, s7
	s_waitcnt vmcnt(1)
	v_cvt_f32_f16_e32 v5, v5
	s_waitcnt vmcnt(0)
	v_cvt_f32_f16_e32 v3, v3
	v_mul_f32_e32 v5, v14, v5
	v_mul_f32_e32 v3, v5, v3
	v_fmac_f32_e32 v9, s1, v3
	s_andn2_b32 exec_lo, exec_lo, s7
	s_cbranch_execz .LBB163_11
.LBB163_3:                              ; =>This Inner Loop Header: Depth=1
	v_lshlrev_b64 v[7:8], 1, v[1:2]
	v_mov_b32_e32 v10, 1.0
	v_mov_b32_e32 v11, 1.0
	s_and_b32 vcc_lo, exec_lo, s18
	s_cbranch_vccz .LBB163_5
; %bb.4:                                ;   in Loop: Header=BB163_3 Depth=1
	v_add_co_u32 v3, vcc_lo, s2, v7
	v_add_co_ci_u32_e64 v4, null, s3, v8, vcc_lo
	global_load_ushort v3, v[3:4], off
	s_waitcnt vmcnt(0)
	v_cvt_f32_f16_e32 v11, v3
.LBB163_5:                              ;   in Loop: Header=BB163_3 Depth=1
	v_add_co_u32 v3, vcc_lo, s6, v7
	v_add_co_ci_u32_e64 v4, null, s15, v8, vcc_lo
	v_add_co_u32 v5, vcc_lo, s16, v7
	v_add_co_ci_u32_e64 v6, null, s17, v8, vcc_lo
	global_load_ushort v12, v[3:4], off
	global_load_ushort v13, v[5:6], off
	s_andn2_b32 vcc_lo, exec_lo, s18
	s_cbranch_vccnz .LBB163_7
; %bb.6:                                ;   in Loop: Header=BB163_3 Depth=1
	v_add_co_u32 v14, vcc_lo, s2, v7
	v_add_co_ci_u32_e64 v15, null, s3, v8, vcc_lo
	global_load_ushort v10, v[14:15], off offset:2
	s_waitcnt vmcnt(0)
	v_cvt_f32_f16_e32 v10, v10
.LBB163_7:                              ;   in Loop: Header=BB163_3 Depth=1
	global_load_ushort v15, v[3:4], off offset:2
	global_load_ushort v16, v[5:6], off offset:2
	v_mov_b32_e32 v14, 1.0
	v_mov_b32_e32 v17, 1.0
	s_andn2_b32 vcc_lo, exec_lo, s18
	s_cbranch_vccnz .LBB163_9
; %bb.8:                                ;   in Loop: Header=BB163_3 Depth=1
	v_add_co_u32 v17, vcc_lo, s2, v7
	v_add_co_ci_u32_e64 v18, null, s3, v8, vcc_lo
	global_load_ushort v17, v[17:18], off offset:4
	s_waitcnt vmcnt(0)
	v_cvt_f32_f16_e32 v17, v17
.LBB163_9:                              ;   in Loop: Header=BB163_3 Depth=1
	global_load_ushort v18, v[3:4], off offset:4
	global_load_ushort v19, v[5:6], off offset:4
	s_andn2_b32 vcc_lo, exec_lo, s18
	s_cbranch_vccnz .LBB163_2
; %bb.10:                               ;   in Loop: Header=BB163_3 Depth=1
	v_add_co_u32 v7, vcc_lo, s2, v7
	v_add_co_ci_u32_e64 v8, null, s3, v8, vcc_lo
	global_load_ushort v7, v[7:8], off offset:6
	s_waitcnt vmcnt(0)
	v_cvt_f32_f16_e32 v14, v7
	s_branch .LBB163_2
.LBB163_11:
	s_or_b32 exec_lo, exec_lo, s7
.LBB163_12:
	s_or_b32 exec_lo, exec_lo, s0
	s_mov_b32 s7, exec_lo
	v_cmpx_gt_u32_e64 s14, v1
	s_cbranch_execz .LBB163_19
; %bb.13:
	v_mov_b32_e32 v2, 0
	s_cmp_lg_u64 s[2:3], 0
	v_lshlrev_b64 v[2:3], 1, v[1:2]
	v_add_co_u32 v6, vcc_lo, s12, v2
	v_add_co_ci_u32_e64 v7, null, s13, v3, vcc_lo
	v_add_co_u32 v2, vcc_lo, s2, v2
	v_add_co_ci_u32_e64 v3, null, s3, v3, vcc_lo
	;; [unrolled: 2-line block ×4, first 2 shown]
	s_cselect_b32 s8, -1, 0
	s_mov_b32 s9, 0
	s_inst_prefetch 0x1
	s_branch .LBB163_16
	.p2align	6
.LBB163_14:                             ;   in Loop: Header=BB163_16 Depth=1
	global_load_ushort v8, v[2:3], off
	s_waitcnt vmcnt(0)
	v_cvt_f32_f16_e32 v8, v8
.LBB163_15:                             ;   in Loop: Header=BB163_16 Depth=1
	global_load_ushort v10, v[6:7], off
	global_load_ushort v11, v[4:5], off
	v_add_nc_u32_e32 v1, 1, v1
	v_add_co_u32 v2, vcc_lo, v2, 2
	v_add_co_ci_u32_e64 v3, null, 0, v3, vcc_lo
	v_add_co_u32 v4, vcc_lo, v4, 2
	v_add_co_ci_u32_e64 v5, null, 0, v5, vcc_lo
	v_cmp_le_u32_e32 vcc_lo, s14, v1
	v_add_co_u32 v6, s0, v6, 2
	v_add_co_ci_u32_e64 v7, null, 0, v7, s0
	s_or_b32 s9, vcc_lo, s9
	s_waitcnt vmcnt(1)
	v_cvt_f32_f16_e32 v10, v10
	s_waitcnt vmcnt(0)
	v_cvt_f32_f16_e32 v11, v11
	v_mul_f32_e32 v8, v8, v10
	v_mul_f32_e32 v8, v8, v11
	s_waitcnt lgkmcnt(0)
	v_fmac_f32_e32 v9, s1, v8
	s_andn2_b32 exec_lo, exec_lo, s9
	s_cbranch_execz .LBB163_18
.LBB163_16:                             ; =>This Inner Loop Header: Depth=1
	s_andn2_b32 vcc_lo, exec_lo, s8
	s_cbranch_vccz .LBB163_14
; %bb.17:                               ;   in Loop: Header=BB163_16 Depth=1
	v_mov_b32_e32 v8, 1.0
	s_branch .LBB163_15
.LBB163_18:
	s_inst_prefetch 0x2
	s_or_b32 exec_lo, exec_lo, s9
.LBB163_19:
	s_or_b32 exec_lo, exec_lo, s7
	v_mbcnt_lo_u32_b32 v5, -1, 0
	s_mov_b32 s0, exec_lo
	s_waitcnt lgkmcnt(0)
	s_barrier
	buffer_gl0_inv
	v_lshl_or_b32 v1, v5, 2, 64
	v_cmp_gt_u32_e32 vcc_lo, 24, v5
	ds_bpermute_b32 v3, v1, v9
	v_cndmask_b32_e64 v2, 0, 8, vcc_lo
	v_cmp_gt_u32_e32 vcc_lo, 28, v5
	v_add_lshl_u32 v2, v2, v5, 2
	s_waitcnt lgkmcnt(0)
	v_add_f32_e32 v4, v9, v3
	v_cndmask_b32_e64 v3, 0, 4, vcc_lo
	v_cmp_gt_u32_e32 vcc_lo, 30, v5
	ds_bpermute_b32 v6, v2, v4
	v_add_lshl_u32 v3, v3, v5, 2
	s_waitcnt lgkmcnt(0)
	v_add_f32_e32 v6, v4, v6
	v_cndmask_b32_e64 v4, 0, 2, vcc_lo
	v_cmp_ne_u32_e32 vcc_lo, 31, v5
	ds_bpermute_b32 v7, v3, v6
	v_add_lshl_u32 v4, v4, v5, 2
	v_add_co_ci_u32_e64 v5, null, 0, v5, vcc_lo
	v_lshlrev_b32_e32 v5, 2, v5
	s_waitcnt lgkmcnt(0)
	v_add_f32_e32 v6, v6, v7
	ds_bpermute_b32 v7, v4, v6
	s_waitcnt lgkmcnt(0)
	v_add_f32_e32 v7, v6, v7
	v_and_b32_e32 v6, 31, v0
	ds_bpermute_b32 v8, v5, v7
	v_cmpx_eq_u32_e32 0, v6
	s_cbranch_execz .LBB163_21
; %bb.20:
	v_lshrrev_b32_e32 v9, 3, v0
	s_waitcnt lgkmcnt(0)
	v_add_f32_e32 v7, v7, v8
	v_add_nc_u32_e32 v9, 0, v9
	ds_write_b32 v9, v7
.LBB163_21:
	s_or_b32 exec_lo, exec_lo, s0
	s_waitcnt lgkmcnt(0)
	s_barrier
	buffer_gl0_inv
	s_load_dword s0, s[4:5], 0x44
	v_mov_b32_e32 v7, 0
	s_waitcnt lgkmcnt(0)
	s_bfe_u32 s7, s0, 0xb0005
	v_cmp_gt_u32_e32 vcc_lo, s7, v0
	s_and_saveexec_b32 s7, vcc_lo
; %bb.22:
	v_lshl_add_u32 v6, v6, 2, 0
	ds_read_b32 v7, v6
; %bb.23:
	s_or_b32 exec_lo, exec_lo, s7
	s_mov_b32 s7, exec_lo
	v_cmpx_gt_u32_e32 32, v0
	s_cbranch_execz .LBB163_25
; %bb.24:
	s_waitcnt lgkmcnt(0)
	ds_bpermute_b32 v1, v1, v7
	s_waitcnt lgkmcnt(0)
	v_add_f32_e32 v1, v7, v1
	ds_bpermute_b32 v2, v2, v1
	s_waitcnt lgkmcnt(0)
	v_add_f32_e32 v1, v1, v2
	;; [unrolled: 3-line block ×5, first 2 shown]
.LBB163_25:
	s_or_b32 exec_lo, exec_lo, s7
	s_mov_b32 s7, exec_lo
	v_cmpx_eq_u32_e32 0, v0
	s_cbranch_execz .LBB163_27
; %bb.26:
	v_mov_b32_e32 v1, 0
	s_waitcnt lgkmcnt(0)
	ds_write_b32 v1, v7 offset:4
.LBB163_27:
	s_or_b32 exec_lo, exec_lo, s7
	s_waitcnt lgkmcnt(0)
	s_barrier
	buffer_gl0_inv
	s_mov_b32 s7, exec_lo
	v_cmpx_gt_i32_e64 s14, v0
	s_cbranch_execz .LBB163_33
; %bb.28:
	v_cvt_f32_i32_e32 v3, s14
	s_load_dwordx2 s[8:9], s[4:5], 0x28
	s_and_b32 s4, 0xffff, s0
	v_div_scale_f32 v1, null, v3, v3, 1.0
	v_div_scale_f32 v5, vcc_lo, 1.0, v3, 1.0
	v_rcp_f32_e32 v2, v1
	v_fma_f32 v4, -v1, v2, 1.0
	s_waitcnt lgkmcnt(0)
	s_add_u32 s5, s8, s12
	s_addc_u32 s7, s9, s13
	s_cmp_lg_u64 s[2:3], 0
	s_mov_b32 s9, 0
	v_fmac_f32_e32 v2, v4, v2
	s_cselect_b32 s8, -1, 0
	v_mul_f32_e32 v6, v5, v2
	v_fma_f32 v4, -v1, v6, v5
	v_fmac_f32_e32 v6, v4, v2
	v_mov_b32_e32 v4, 0
	v_fma_f32 v1, -v1, v6, v5
	ds_read_b32 v4, v4 offset:4
	v_div_fmas_f32 v1, v1, v2, v6
	v_div_fixup_f32 v1, v1, v3, 1.0
	v_mul_f32_e32 v5, s1, v1
	s_inst_prefetch 0x1
	s_branch .LBB163_31
	.p2align	6
.LBB163_29:                             ;   in Loop: Header=BB163_31 Depth=1
	v_add_co_u32 v8, vcc_lo, s2, v1
	v_add_co_ci_u32_e64 v9, null, s3, v2, vcc_lo
	global_load_ushort v8, v[8:9], off
	s_waitcnt vmcnt(0)
	v_cvt_f32_f16_e32 v8, v8
.LBB163_30:                             ;   in Loop: Header=BB163_31 Depth=1
	s_waitcnt vmcnt(1)
	v_cvt_f32_f16_e32 v7, v7
	v_mul_f32_e32 v8, v8, v3
	v_add_nc_u32_e32 v0, s4, v0
	v_add_co_u32 v1, s0, s5, v1
	v_mul_f32_e32 v7, s1, v7
	v_add_co_ci_u32_e64 v2, null, s7, v2, s0
	v_cmp_le_i32_e32 vcc_lo, s14, v0
	s_waitcnt lgkmcnt(0)
	v_mul_f32_e32 v7, v4, v7
	s_or_b32 s9, vcc_lo, s9
	s_waitcnt vmcnt(0)
	v_fma_mix_f32 v6, v8, v6, -v7 op_sel_hi:[0,1,0]
	v_fma_mixlo_f16 v6, v5, v6, 0
	global_store_short v[1:2], v6, off
	s_andn2_b32 exec_lo, exec_lo, s9
	s_cbranch_execz .LBB163_33
.LBB163_31:                             ; =>This Inner Loop Header: Depth=1
	v_ashrrev_i32_e32 v1, 31, v0
	v_lshlrev_b64 v[1:2], 1, v[0:1]
	v_add_co_u32 v6, vcc_lo, s6, v1
	v_add_co_ci_u32_e64 v7, null, s15, v2, vcc_lo
	v_add_co_u32 v8, vcc_lo, s16, v1
	v_add_co_ci_u32_e64 v9, null, s17, v2, vcc_lo
	global_load_ushort v7, v[6:7], off
	global_load_ushort v6, v[8:9], off
	s_andn2_b32 vcc_lo, exec_lo, s8
	s_cbranch_vccz .LBB163_29
; %bb.32:                               ;   in Loop: Header=BB163_31 Depth=1
	v_mov_b32_e32 v8, 1.0
	s_branch .LBB163_30
.LBB163_33:
	s_inst_prefetch 0x2
	s_endpgm
	.section	.rodata,"a",@progbits
	.p2align	6, 0x0
	.amdhsa_kernel _ZN2at6native12_GLOBAL__N_128layer_norm_grad_input_kernelIN3c104HalfEfLb1EEEvPKT_S7_PKT0_SA_S7_PS5_i
		.amdhsa_group_segment_fixed_size 0
		.amdhsa_private_segment_fixed_size 0
		.amdhsa_kernarg_size 312
		.amdhsa_user_sgpr_count 6
		.amdhsa_user_sgpr_private_segment_buffer 1
		.amdhsa_user_sgpr_dispatch_ptr 0
		.amdhsa_user_sgpr_queue_ptr 0
		.amdhsa_user_sgpr_kernarg_segment_ptr 1
		.amdhsa_user_sgpr_dispatch_id 0
		.amdhsa_user_sgpr_flat_scratch_init 0
		.amdhsa_user_sgpr_private_segment_size 0
		.amdhsa_wavefront_size32 1
		.amdhsa_uses_dynamic_stack 0
		.amdhsa_system_sgpr_private_segment_wavefront_offset 0
		.amdhsa_system_sgpr_workgroup_id_x 1
		.amdhsa_system_sgpr_workgroup_id_y 0
		.amdhsa_system_sgpr_workgroup_id_z 0
		.amdhsa_system_sgpr_workgroup_info 0
		.amdhsa_system_vgpr_workitem_id 0
		.amdhsa_next_free_vgpr 20
		.amdhsa_next_free_sgpr 20
		.amdhsa_reserve_vcc 1
		.amdhsa_reserve_flat_scratch 0
		.amdhsa_float_round_mode_32 0
		.amdhsa_float_round_mode_16_64 0
		.amdhsa_float_denorm_mode_32 3
		.amdhsa_float_denorm_mode_16_64 3
		.amdhsa_dx10_clamp 1
		.amdhsa_ieee_mode 1
		.amdhsa_fp16_overflow 0
		.amdhsa_workgroup_processor_mode 1
		.amdhsa_memory_ordered 1
		.amdhsa_forward_progress 1
		.amdhsa_shared_vgpr_count 0
		.amdhsa_exception_fp_ieee_invalid_op 0
		.amdhsa_exception_fp_denorm_src 0
		.amdhsa_exception_fp_ieee_div_zero 0
		.amdhsa_exception_fp_ieee_overflow 0
		.amdhsa_exception_fp_ieee_underflow 0
		.amdhsa_exception_fp_ieee_inexact 0
		.amdhsa_exception_int_div_zero 0
	.end_amdhsa_kernel
	.section	.text._ZN2at6native12_GLOBAL__N_128layer_norm_grad_input_kernelIN3c104HalfEfLb1EEEvPKT_S7_PKT0_SA_S7_PS5_i,"axG",@progbits,_ZN2at6native12_GLOBAL__N_128layer_norm_grad_input_kernelIN3c104HalfEfLb1EEEvPKT_S7_PKT0_SA_S7_PS5_i,comdat
.Lfunc_end163:
	.size	_ZN2at6native12_GLOBAL__N_128layer_norm_grad_input_kernelIN3c104HalfEfLb1EEEvPKT_S7_PKT0_SA_S7_PS5_i, .Lfunc_end163-_ZN2at6native12_GLOBAL__N_128layer_norm_grad_input_kernelIN3c104HalfEfLb1EEEvPKT_S7_PKT0_SA_S7_PS5_i
                                        ; -- End function
	.set _ZN2at6native12_GLOBAL__N_128layer_norm_grad_input_kernelIN3c104HalfEfLb1EEEvPKT_S7_PKT0_SA_S7_PS5_i.num_vgpr, 20
	.set _ZN2at6native12_GLOBAL__N_128layer_norm_grad_input_kernelIN3c104HalfEfLb1EEEvPKT_S7_PKT0_SA_S7_PS5_i.num_agpr, 0
	.set _ZN2at6native12_GLOBAL__N_128layer_norm_grad_input_kernelIN3c104HalfEfLb1EEEvPKT_S7_PKT0_SA_S7_PS5_i.numbered_sgpr, 20
	.set _ZN2at6native12_GLOBAL__N_128layer_norm_grad_input_kernelIN3c104HalfEfLb1EEEvPKT_S7_PKT0_SA_S7_PS5_i.num_named_barrier, 0
	.set _ZN2at6native12_GLOBAL__N_128layer_norm_grad_input_kernelIN3c104HalfEfLb1EEEvPKT_S7_PKT0_SA_S7_PS5_i.private_seg_size, 0
	.set _ZN2at6native12_GLOBAL__N_128layer_norm_grad_input_kernelIN3c104HalfEfLb1EEEvPKT_S7_PKT0_SA_S7_PS5_i.uses_vcc, 1
	.set _ZN2at6native12_GLOBAL__N_128layer_norm_grad_input_kernelIN3c104HalfEfLb1EEEvPKT_S7_PKT0_SA_S7_PS5_i.uses_flat_scratch, 0
	.set _ZN2at6native12_GLOBAL__N_128layer_norm_grad_input_kernelIN3c104HalfEfLb1EEEvPKT_S7_PKT0_SA_S7_PS5_i.has_dyn_sized_stack, 0
	.set _ZN2at6native12_GLOBAL__N_128layer_norm_grad_input_kernelIN3c104HalfEfLb1EEEvPKT_S7_PKT0_SA_S7_PS5_i.has_recursion, 0
	.set _ZN2at6native12_GLOBAL__N_128layer_norm_grad_input_kernelIN3c104HalfEfLb1EEEvPKT_S7_PKT0_SA_S7_PS5_i.has_indirect_call, 0
	.section	.AMDGPU.csdata,"",@progbits
; Kernel info:
; codeLenInByte = 1676
; TotalNumSgprs: 22
; NumVgprs: 20
; ScratchSize: 0
; MemoryBound: 0
; FloatMode: 240
; IeeeMode: 1
; LDSByteSize: 0 bytes/workgroup (compile time only)
; SGPRBlocks: 0
; VGPRBlocks: 2
; NumSGPRsForWavesPerEU: 22
; NumVGPRsForWavesPerEU: 20
; Occupancy: 16
; WaveLimiterHint : 0
; COMPUTE_PGM_RSRC2:SCRATCH_EN: 0
; COMPUTE_PGM_RSRC2:USER_SGPR: 6
; COMPUTE_PGM_RSRC2:TRAP_HANDLER: 0
; COMPUTE_PGM_RSRC2:TGID_X_EN: 1
; COMPUTE_PGM_RSRC2:TGID_Y_EN: 0
; COMPUTE_PGM_RSRC2:TGID_Z_EN: 0
; COMPUTE_PGM_RSRC2:TIDIG_COMP_CNT: 0
	.section	.text._ZN2at6native12_GLOBAL__N_133GammaBetaBackwardSimpleCUDAKernelIN3c104HalfEfLb1EEEvllPKT_S7_PKT0_SA_PS5_SB_,"axG",@progbits,_ZN2at6native12_GLOBAL__N_133GammaBetaBackwardSimpleCUDAKernelIN3c104HalfEfLb1EEEvllPKT_S7_PKT0_SA_PS5_SB_,comdat
	.globl	_ZN2at6native12_GLOBAL__N_133GammaBetaBackwardSimpleCUDAKernelIN3c104HalfEfLb1EEEvllPKT_S7_PKT0_SA_PS5_SB_ ; -- Begin function _ZN2at6native12_GLOBAL__N_133GammaBetaBackwardSimpleCUDAKernelIN3c104HalfEfLb1EEEvllPKT_S7_PKT0_SA_PS5_SB_
	.p2align	8
	.type	_ZN2at6native12_GLOBAL__N_133GammaBetaBackwardSimpleCUDAKernelIN3c104HalfEfLb1EEEvllPKT_S7_PKT0_SA_PS5_SB_,@function
_ZN2at6native12_GLOBAL__N_133GammaBetaBackwardSimpleCUDAKernelIN3c104HalfEfLb1EEEvllPKT_S7_PKT0_SA_PS5_SB_: ; @_ZN2at6native12_GLOBAL__N_133GammaBetaBackwardSimpleCUDAKernelIN3c104HalfEfLb1EEEvllPKT_S7_PKT0_SA_PS5_SB_
; %bb.0:
	s_clause 0x1
	s_load_dword s0, s[4:5], 0x4c
	s_load_dwordx8 s[8:15], s[4:5], 0x0
	v_mov_b32_e32 v1, 0
	s_waitcnt lgkmcnt(0)
	s_and_b32 s0, s0, 0xffff
	v_mad_u64_u32 v[2:3], null, s0, s6, v[0:1]
	s_mov_b32 s0, exec_lo
	v_cmpx_gt_i64_e64 s[10:11], v[2:3]
	s_cbranch_execz .LBB164_9
; %bb.1:
	s_load_dwordx4 s[0:3], s[4:5], 0x28
	v_cmp_lt_i64_e64 s4, s[8:9], 1
	v_lshlrev_b64 v[2:3], 1, v[2:3]
	s_and_b32 vcc_lo, exec_lo, s4
	s_cbranch_vccnz .LBB164_7
; %bb.2:
	v_mov_b32_e32 v0, v2
	v_mov_b32_e32 v4, 0
	;; [unrolled: 1-line block ×3, first 2 shown]
	s_waitcnt lgkmcnt(0)
	s_cmp_lg_u64 s[2:3], 0
	s_cselect_b32 s6, -1, 0
	s_lshl_b64 s[4:5], s[10:11], 1
	s_inst_prefetch 0x1
	s_branch .LBB164_4
	.p2align	6
.LBB164_3:                              ;   in Loop: Header=BB164_4 Depth=1
	v_add_co_u32 v0, vcc_lo, v0, s4
	s_add_u32 s8, s8, -1
	v_add_f32_e32 v4, v4, v5
	s_addc_u32 s9, s9, -1
	v_add_co_ci_u32_e64 v1, null, s5, v1, vcc_lo
	s_add_u32 s0, s0, 4
	s_addc_u32 s1, s1, 0
	s_cmp_eq_u64 s[8:9], 0
	s_cbranch_scc1 .LBB164_6
.LBB164_4:                              ; =>This Inner Loop Header: Depth=1
	v_mov_b32_e32 v5, 0
	s_andn2_b32 vcc_lo, exec_lo, s6
	s_cbranch_vccnz .LBB164_3
; %bb.5:                                ;   in Loop: Header=BB164_4 Depth=1
	v_add_co_u32 v5, vcc_lo, s12, v0
	v_add_co_ci_u32_e64 v6, null, s13, v1, vcc_lo
	v_add_co_u32 v7, vcc_lo, s14, v0
	v_add_co_ci_u32_e64 v8, null, s15, v1, vcc_lo
	global_load_ushort v5, v[5:6], off
	global_load_ushort v6, v[7:8], off
	s_load_dword s7, s[0:1], 0x0
	s_waitcnt vmcnt(1)
	v_cvt_f32_f16_e32 v5, v5
	s_waitcnt vmcnt(0)
	v_cvt_f32_f16_e32 v6, v6
	v_mul_f32_e32 v5, v5, v6
	s_waitcnt lgkmcnt(0)
	v_mul_f32_e32 v5, s7, v5
	s_branch .LBB164_3
.LBB164_6:
	s_inst_prefetch 0x2
	v_cvt_f16_f32_e32 v1, v4
.LBB164_7:
	s_waitcnt lgkmcnt(0)
	s_cmp_lg_u64 s[2:3], 0
	s_cbranch_scc0 .LBB164_9
; %bb.8:
	v_add_co_u32 v2, vcc_lo, s2, v2
	v_add_co_ci_u32_e64 v3, null, s3, v3, vcc_lo
	global_store_short v[2:3], v1, off
.LBB164_9:
	s_endpgm
	.section	.rodata,"a",@progbits
	.p2align	6, 0x0
	.amdhsa_kernel _ZN2at6native12_GLOBAL__N_133GammaBetaBackwardSimpleCUDAKernelIN3c104HalfEfLb1EEEvllPKT_S7_PKT0_SA_PS5_SB_
		.amdhsa_group_segment_fixed_size 0
		.amdhsa_private_segment_fixed_size 0
		.amdhsa_kernarg_size 320
		.amdhsa_user_sgpr_count 6
		.amdhsa_user_sgpr_private_segment_buffer 1
		.amdhsa_user_sgpr_dispatch_ptr 0
		.amdhsa_user_sgpr_queue_ptr 0
		.amdhsa_user_sgpr_kernarg_segment_ptr 1
		.amdhsa_user_sgpr_dispatch_id 0
		.amdhsa_user_sgpr_flat_scratch_init 0
		.amdhsa_user_sgpr_private_segment_size 0
		.amdhsa_wavefront_size32 1
		.amdhsa_uses_dynamic_stack 0
		.amdhsa_system_sgpr_private_segment_wavefront_offset 0
		.amdhsa_system_sgpr_workgroup_id_x 1
		.amdhsa_system_sgpr_workgroup_id_y 0
		.amdhsa_system_sgpr_workgroup_id_z 0
		.amdhsa_system_sgpr_workgroup_info 0
		.amdhsa_system_vgpr_workitem_id 0
		.amdhsa_next_free_vgpr 9
		.amdhsa_next_free_sgpr 16
		.amdhsa_reserve_vcc 1
		.amdhsa_reserve_flat_scratch 0
		.amdhsa_float_round_mode_32 0
		.amdhsa_float_round_mode_16_64 0
		.amdhsa_float_denorm_mode_32 3
		.amdhsa_float_denorm_mode_16_64 3
		.amdhsa_dx10_clamp 1
		.amdhsa_ieee_mode 1
		.amdhsa_fp16_overflow 0
		.amdhsa_workgroup_processor_mode 1
		.amdhsa_memory_ordered 1
		.amdhsa_forward_progress 1
		.amdhsa_shared_vgpr_count 0
		.amdhsa_exception_fp_ieee_invalid_op 0
		.amdhsa_exception_fp_denorm_src 0
		.amdhsa_exception_fp_ieee_div_zero 0
		.amdhsa_exception_fp_ieee_overflow 0
		.amdhsa_exception_fp_ieee_underflow 0
		.amdhsa_exception_fp_ieee_inexact 0
		.amdhsa_exception_int_div_zero 0
	.end_amdhsa_kernel
	.section	.text._ZN2at6native12_GLOBAL__N_133GammaBetaBackwardSimpleCUDAKernelIN3c104HalfEfLb1EEEvllPKT_S7_PKT0_SA_PS5_SB_,"axG",@progbits,_ZN2at6native12_GLOBAL__N_133GammaBetaBackwardSimpleCUDAKernelIN3c104HalfEfLb1EEEvllPKT_S7_PKT0_SA_PS5_SB_,comdat
.Lfunc_end164:
	.size	_ZN2at6native12_GLOBAL__N_133GammaBetaBackwardSimpleCUDAKernelIN3c104HalfEfLb1EEEvllPKT_S7_PKT0_SA_PS5_SB_, .Lfunc_end164-_ZN2at6native12_GLOBAL__N_133GammaBetaBackwardSimpleCUDAKernelIN3c104HalfEfLb1EEEvllPKT_S7_PKT0_SA_PS5_SB_
                                        ; -- End function
	.set _ZN2at6native12_GLOBAL__N_133GammaBetaBackwardSimpleCUDAKernelIN3c104HalfEfLb1EEEvllPKT_S7_PKT0_SA_PS5_SB_.num_vgpr, 9
	.set _ZN2at6native12_GLOBAL__N_133GammaBetaBackwardSimpleCUDAKernelIN3c104HalfEfLb1EEEvllPKT_S7_PKT0_SA_PS5_SB_.num_agpr, 0
	.set _ZN2at6native12_GLOBAL__N_133GammaBetaBackwardSimpleCUDAKernelIN3c104HalfEfLb1EEEvllPKT_S7_PKT0_SA_PS5_SB_.numbered_sgpr, 16
	.set _ZN2at6native12_GLOBAL__N_133GammaBetaBackwardSimpleCUDAKernelIN3c104HalfEfLb1EEEvllPKT_S7_PKT0_SA_PS5_SB_.num_named_barrier, 0
	.set _ZN2at6native12_GLOBAL__N_133GammaBetaBackwardSimpleCUDAKernelIN3c104HalfEfLb1EEEvllPKT_S7_PKT0_SA_PS5_SB_.private_seg_size, 0
	.set _ZN2at6native12_GLOBAL__N_133GammaBetaBackwardSimpleCUDAKernelIN3c104HalfEfLb1EEEvllPKT_S7_PKT0_SA_PS5_SB_.uses_vcc, 1
	.set _ZN2at6native12_GLOBAL__N_133GammaBetaBackwardSimpleCUDAKernelIN3c104HalfEfLb1EEEvllPKT_S7_PKT0_SA_PS5_SB_.uses_flat_scratch, 0
	.set _ZN2at6native12_GLOBAL__N_133GammaBetaBackwardSimpleCUDAKernelIN3c104HalfEfLb1EEEvllPKT_S7_PKT0_SA_PS5_SB_.has_dyn_sized_stack, 0
	.set _ZN2at6native12_GLOBAL__N_133GammaBetaBackwardSimpleCUDAKernelIN3c104HalfEfLb1EEEvllPKT_S7_PKT0_SA_PS5_SB_.has_recursion, 0
	.set _ZN2at6native12_GLOBAL__N_133GammaBetaBackwardSimpleCUDAKernelIN3c104HalfEfLb1EEEvllPKT_S7_PKT0_SA_PS5_SB_.has_indirect_call, 0
	.section	.AMDGPU.csdata,"",@progbits
; Kernel info:
; codeLenInByte = 320
; TotalNumSgprs: 18
; NumVgprs: 9
; ScratchSize: 0
; MemoryBound: 0
; FloatMode: 240
; IeeeMode: 1
; LDSByteSize: 0 bytes/workgroup (compile time only)
; SGPRBlocks: 0
; VGPRBlocks: 1
; NumSGPRsForWavesPerEU: 18
; NumVGPRsForWavesPerEU: 9
; Occupancy: 16
; WaveLimiterHint : 0
; COMPUTE_PGM_RSRC2:SCRATCH_EN: 0
; COMPUTE_PGM_RSRC2:USER_SGPR: 6
; COMPUTE_PGM_RSRC2:TRAP_HANDLER: 0
; COMPUTE_PGM_RSRC2:TGID_X_EN: 1
; COMPUTE_PGM_RSRC2:TGID_Y_EN: 0
; COMPUTE_PGM_RSRC2:TGID_Z_EN: 0
; COMPUTE_PGM_RSRC2:TIDIG_COMP_CNT: 0
	.section	.text._ZN2at6native12_GLOBAL__N_135GammaBetaBackwardCUDAKernelTemplateIN3c104HalfEfLj64ELj1ELj32ELb1ELb1ELb1EEEvllPKT_S7_PKT0_SA_PS5_SB_,"axG",@progbits,_ZN2at6native12_GLOBAL__N_135GammaBetaBackwardCUDAKernelTemplateIN3c104HalfEfLj64ELj1ELj32ELb1ELb1ELb1EEEvllPKT_S7_PKT0_SA_PS5_SB_,comdat
	.globl	_ZN2at6native12_GLOBAL__N_135GammaBetaBackwardCUDAKernelTemplateIN3c104HalfEfLj64ELj1ELj32ELb1ELb1ELb1EEEvllPKT_S7_PKT0_SA_PS5_SB_ ; -- Begin function _ZN2at6native12_GLOBAL__N_135GammaBetaBackwardCUDAKernelTemplateIN3c104HalfEfLj64ELj1ELj32ELb1ELb1ELb1EEEvllPKT_S7_PKT0_SA_PS5_SB_
	.p2align	8
	.type	_ZN2at6native12_GLOBAL__N_135GammaBetaBackwardCUDAKernelTemplateIN3c104HalfEfLj64ELj1ELj32ELb1ELb1ELb1EEEvllPKT_S7_PKT0_SA_PS5_SB_,@function
_ZN2at6native12_GLOBAL__N_135GammaBetaBackwardCUDAKernelTemplateIN3c104HalfEfLj64ELj1ELj32ELb1ELb1ELb1EEEvllPKT_S7_PKT0_SA_PS5_SB_: ; @_ZN2at6native12_GLOBAL__N_135GammaBetaBackwardCUDAKernelTemplateIN3c104HalfEfLj64ELj1ELj32ELb1ELb1ELb1EEEvllPKT_S7_PKT0_SA_PS5_SB_
; %bb.0:
	s_clause 0x1
	s_load_dwordx4 s[0:3], s[4:5], 0x0
	s_load_dwordx2 s[12:13], s[4:5], 0x30
	s_lshl_b32 s14, s7, 5
	s_mov_b32 s15, 0
	v_mov_b32_e32 v3, 0
	s_waitcnt lgkmcnt(0)
	v_cmp_le_i64_e64 s8, s[0:1], s[14:15]
	s_and_b32 vcc_lo, exec_lo, s8
	s_cbranch_vccnz .LBB165_6
; %bb.1:
	s_clause 0x3
	s_load_dword s16, s[4:5], 0x4c
	s_load_dword s17, s[4:5], 0x44
	s_load_dwordx4 s[8:11], s[4:5], 0x10
	s_load_dwordx2 s[18:19], s[4:5], 0x28
	v_lshlrev_b32_e32 v4, 5, v1
	v_mov_b32_e32 v3, 0
	v_lshl_or_b32 v2, s6, 6, v0
	v_mov_b32_e32 v8, 4
	v_mov_b32_e32 v9, 8
	v_mov_b32_e32 v10, 12
	v_mov_b32_e32 v11, 16
	v_mov_b32_e32 v12, 20
	v_mov_b32_e32 v13, 24
	v_mov_b32_e32 v14, 28
	v_mov_b32_e32 v15, 32
	v_mov_b32_e32 v16, 36
	v_mov_b32_e32 v17, 40
	v_mov_b32_e32 v18, 44
	v_mov_b32_e32 v19, 48
	v_mov_b32_e32 v20, 52
	s_waitcnt lgkmcnt(0)
	s_and_b32 s16, s16, 0xffff
	v_mov_b32_e32 v21, 56
	v_mad_u32_u24 v5, v1, s16, v0
	v_add_co_u32 v40, s16, v4, s14
	v_add_co_ci_u32_e64 v41, null, 0, 0, s16
	v_and_b32_e32 v39, 31, v5
	v_mul_lo_u32 v6, s3, v40
	v_mad_u64_u32 v[4:5], null, s2, v40, 0
	v_mul_lo_u32 v7, s2, v41
	s_lshl_b32 s16, s17, 5
	v_mov_b32_e32 v22, 60
	s_mul_i32 s20, s3, s16
	s_mul_hi_u32 s21, s2, s16
	v_mov_b32_e32 v23, 64
	v_mov_b32_e32 v24, 0x44
	;; [unrolled: 1-line block ×3, first 2 shown]
	v_add3_u32 v5, v5, v7, v6
	v_mov_b32_e32 v26, 0x4c
	v_mov_b32_e32 v27, 0x50
	;; [unrolled: 1-line block ×4, first 2 shown]
	v_lshlrev_b64 v[6:7], 1, v[4:5]
	v_add_co_u32 v4, vcc_lo, v40, v39
	v_add_co_ci_u32_e64 v5, null, 0, v41, vcc_lo
	v_lshlrev_b64 v[39:40], 1, v[2:3]
	v_mov_b32_e32 v30, 0x5c
	v_mov_b32_e32 v31, 0x60
	v_lshlrev_b64 v[41:42], 2, v[4:5]
	v_mov_b32_e32 v32, 0x64
	v_mov_b32_e32 v33, 0x68
	v_add_co_u32 v2, vcc_lo, v6, v39
	v_add_co_ci_u32_e64 v39, null, v7, v40, vcc_lo
	v_add_co_u32 v6, vcc_lo, s18, v41
	v_mov_b32_e32 v34, 0x6c
	v_mov_b32_e32 v35, 0x70
	;; [unrolled: 1-line block ×5, first 2 shown]
	v_add_co_ci_u32_e64 v7, null, s19, v42, vcc_lo
	v_mov_b32_e32 v40, 0
	s_mov_b32 s17, s15
	s_add_i32 s21, s21, s20
	s_mul_i32 s20, s2, s16
	s_lshl_b64 s[22:23], s[2:3], 1
	s_lshl_b64 s[18:19], s[20:21], 1
	;; [unrolled: 1-line block ×3, first 2 shown]
	s_branch .LBB165_3
.LBB165_2:                              ;   in Loop: Header=BB165_3 Depth=1
	s_or_b32 exec_lo, exec_lo, s17
	v_add_co_u32 v42, vcc_lo, s8, v2
	v_add_co_ci_u32_e64 v43, null, s9, v39, vcc_lo
	v_add_co_u32 v44, vcc_lo, s10, v2
	v_add_co_ci_u32_e64 v45, null, s11, v39, vcc_lo
	global_load_ushort v48, v[42:43], off
	global_load_ushort v49, v[44:45], off
	v_add_co_u32 v42, vcc_lo, v42, s22
	v_add_co_ci_u32_e64 v43, null, s23, v43, vcc_lo
	v_add_co_u32 v44, vcc_lo, v44, s22
	v_add_co_ci_u32_e64 v45, null, s23, v45, vcc_lo
	global_load_ushort v50, v[42:43], off
	global_load_ushort v51, v[44:45], off
	;; [unrolled: 6-line block ×6, first 2 shown]
	v_add_co_u32 v42, vcc_lo, v42, s22
	v_add_co_ci_u32_e64 v43, null, s23, v43, vcc_lo
	v_add_co_u32 v44, vcc_lo, v44, s22
	v_add_co_ci_u32_e64 v45, null, s23, v45, vcc_lo
	global_load_ushort v60, v[42:43], off
	v_add_co_u32 v42, vcc_lo, v42, s22
	global_load_ushort v61, v[44:45], off
	v_add_co_ci_u32_e64 v43, null, s23, v43, vcc_lo
	v_add_co_u32 v46, vcc_lo, v44, s22
	v_add_co_ci_u32_e64 v47, null, s23, v45, vcc_lo
	v_add_co_u32 v44, vcc_lo, v42, s22
	global_load_ushort v62, v[42:43], off
	v_add_co_ci_u32_e64 v45, null, s23, v43, vcc_lo
	s_add_u32 s14, s14, s16
	s_addc_u32 s15, s15, 0
	v_cmp_lt_i64_e64 s17, s[14:15], s[0:1]
	s_waitcnt vmcnt(14)
	v_cvt_f32_f16_e32 v42, v48
	global_load_ushort v48, v[46:47], off
	s_waitcnt vmcnt(14)
	v_cvt_f32_f16_e32 v43, v49
	global_load_ushort v49, v[44:45], off
	v_mul_f32_e32 v42, v42, v43
	ds_bpermute_b32 v43, v3, v41
	s_waitcnt lgkmcnt(0)
	v_fmac_f32_e32 v40, v42, v43
	v_add_co_u32 v42, vcc_lo, v46, s22
	v_add_co_ci_u32_e64 v43, null, s23, v47, vcc_lo
	v_add_co_u32 v46, vcc_lo, v44, s22
	v_add_co_ci_u32_e64 v47, null, s23, v45, vcc_lo
	s_waitcnt vmcnt(14)
	v_cvt_f32_f16_e32 v44, v50
	s_waitcnt vmcnt(13)
	v_cvt_f32_f16_e32 v45, v51
	global_load_ushort v50, v[42:43], off
	global_load_ushort v51, v[46:47], off
	v_mul_f32_e32 v44, v44, v45
	ds_bpermute_b32 v45, v8, v41
	s_waitcnt lgkmcnt(0)
	v_fmac_f32_e32 v40, v44, v45
	v_add_co_u32 v44, vcc_lo, v42, s22
	v_add_co_ci_u32_e64 v45, null, s23, v43, vcc_lo
	v_add_co_u32 v42, vcc_lo, v46, s22
	v_add_co_ci_u32_e64 v43, null, s23, v47, vcc_lo
	s_waitcnt vmcnt(14)
	v_cvt_f32_f16_e32 v46, v52
	s_waitcnt vmcnt(13)
	v_cvt_f32_f16_e32 v47, v53
	global_load_ushort v52, v[44:45], off
	global_load_ushort v53, v[42:43], off
	v_mul_f32_e32 v46, v46, v47
	ds_bpermute_b32 v47, v9, v41
	s_waitcnt lgkmcnt(0)
	v_fmac_f32_e32 v40, v46, v47
	v_add_co_u32 v46, vcc_lo, v44, s22
	v_add_co_ci_u32_e64 v47, null, s23, v45, vcc_lo
	v_add_co_u32 v44, vcc_lo, v42, s22
	v_add_co_ci_u32_e64 v45, null, s23, v43, vcc_lo
	s_waitcnt vmcnt(14)
	v_cvt_f32_f16_e32 v42, v54
	s_waitcnt vmcnt(13)
	v_cvt_f32_f16_e32 v43, v55
	global_load_ushort v54, v[46:47], off
	global_load_ushort v55, v[44:45], off
	v_mul_f32_e32 v42, v42, v43
	ds_bpermute_b32 v43, v10, v41
	s_waitcnt lgkmcnt(0)
	v_fmac_f32_e32 v40, v42, v43
	v_add_co_u32 v42, vcc_lo, v46, s22
	v_add_co_ci_u32_e64 v43, null, s23, v47, vcc_lo
	v_add_co_u32 v46, vcc_lo, v44, s22
	v_add_co_ci_u32_e64 v47, null, s23, v45, vcc_lo
	s_waitcnt vmcnt(14)
	v_cvt_f32_f16_e32 v44, v56
	s_waitcnt vmcnt(13)
	v_cvt_f32_f16_e32 v45, v57
	global_load_ushort v56, v[42:43], off
	global_load_ushort v57, v[46:47], off
	v_mul_f32_e32 v44, v44, v45
	ds_bpermute_b32 v45, v11, v41
	s_waitcnt lgkmcnt(0)
	v_fmac_f32_e32 v40, v44, v45
	v_add_co_u32 v44, vcc_lo, v42, s22
	v_add_co_ci_u32_e64 v45, null, s23, v43, vcc_lo
	v_add_co_u32 v42, vcc_lo, v46, s22
	v_add_co_ci_u32_e64 v43, null, s23, v47, vcc_lo
	s_waitcnt vmcnt(14)
	v_cvt_f32_f16_e32 v46, v58
	s_waitcnt vmcnt(13)
	v_cvt_f32_f16_e32 v47, v59
	global_load_ushort v58, v[44:45], off
	global_load_ushort v59, v[42:43], off
	v_mul_f32_e32 v46, v46, v47
	ds_bpermute_b32 v47, v12, v41
	s_waitcnt lgkmcnt(0)
	v_fmac_f32_e32 v40, v46, v47
	v_add_co_u32 v46, vcc_lo, v44, s22
	v_add_co_ci_u32_e64 v47, null, s23, v45, vcc_lo
	v_add_co_u32 v44, vcc_lo, v42, s22
	v_add_co_ci_u32_e64 v45, null, s23, v43, vcc_lo
	s_waitcnt vmcnt(14)
	v_cvt_f32_f16_e32 v42, v60
	s_waitcnt vmcnt(13)
	v_cvt_f32_f16_e32 v43, v61
	global_load_ushort v60, v[46:47], off
	global_load_ushort v61, v[44:45], off
	v_mul_f32_e32 v42, v42, v43
	ds_bpermute_b32 v43, v13, v41
	s_waitcnt lgkmcnt(0)
	v_fmac_f32_e32 v40, v42, v43
	v_add_co_u32 v42, vcc_lo, v46, s22
	v_add_co_ci_u32_e64 v43, null, s23, v47, vcc_lo
	v_add_co_u32 v46, vcc_lo, v44, s22
	v_add_co_ci_u32_e64 v47, null, s23, v45, vcc_lo
	s_waitcnt vmcnt(14)
	v_cvt_f32_f16_e32 v44, v62
	global_load_ushort v62, v[46:47], off
	s_waitcnt vmcnt(14)
	v_cvt_f32_f16_e32 v45, v48
	global_load_ushort v48, v[42:43], off
	v_mul_f32_e32 v44, v44, v45
	ds_bpermute_b32 v45, v14, v41
	s_waitcnt lgkmcnt(0)
	v_fmac_f32_e32 v40, v44, v45
	v_add_co_u32 v44, vcc_lo, v42, s22
	v_add_co_ci_u32_e64 v45, null, s23, v43, vcc_lo
	v_add_co_u32 v42, vcc_lo, v46, s22
	s_waitcnt vmcnt(14)
	v_cvt_f32_f16_e32 v46, v49
	global_load_ushort v49, v[44:45], off
	v_add_co_ci_u32_e64 v43, null, s23, v47, vcc_lo
	s_waitcnt vmcnt(14)
	v_cvt_f32_f16_e32 v47, v50
	global_load_ushort v50, v[42:43], off
	v_mul_f32_e32 v46, v46, v47
	ds_bpermute_b32 v47, v15, v41
	s_waitcnt lgkmcnt(0)
	v_fmac_f32_e32 v40, v46, v47
	v_add_co_u32 v46, vcc_lo, v44, s22
	v_add_co_ci_u32_e64 v47, null, s23, v45, vcc_lo
	v_add_co_u32 v44, vcc_lo, v42, s22
	v_add_co_ci_u32_e64 v45, null, s23, v43, vcc_lo
	s_waitcnt vmcnt(14)
	v_cvt_f32_f16_e32 v42, v51
	s_waitcnt vmcnt(13)
	v_cvt_f32_f16_e32 v43, v52
	global_load_ushort v51, v[46:47], off
	global_load_ushort v52, v[44:45], off
	v_mul_f32_e32 v42, v42, v43
	ds_bpermute_b32 v43, v16, v41
	s_waitcnt lgkmcnt(0)
	v_fmac_f32_e32 v40, v42, v43
	v_add_co_u32 v42, vcc_lo, v46, s22
	v_add_co_ci_u32_e64 v43, null, s23, v47, vcc_lo
	v_add_co_u32 v46, vcc_lo, v44, s22
	v_add_co_ci_u32_e64 v47, null, s23, v45, vcc_lo
	s_waitcnt vmcnt(14)
	v_cvt_f32_f16_e32 v44, v53
	s_waitcnt vmcnt(13)
	v_cvt_f32_f16_e32 v45, v54
	global_load_ushort v53, v[42:43], off
	;; [unrolled: 14-line block ×5, first 2 shown]
	global_load_ushort v60, v[46:47], off
	v_mul_f32_e32 v44, v44, v45
	ds_bpermute_b32 v45, v20, v41
	s_waitcnt lgkmcnt(0)
	v_fmac_f32_e32 v40, v44, v45
	v_add_co_u32 v44, vcc_lo, v42, s22
	v_add_co_ci_u32_e64 v45, null, s23, v43, vcc_lo
	v_add_co_u32 v42, vcc_lo, v46, s22
	v_add_co_ci_u32_e64 v43, null, s23, v47, vcc_lo
	s_waitcnt vmcnt(14)
	v_cvt_f32_f16_e32 v46, v61
	global_load_ushort v61, v[42:43], off
	s_waitcnt vmcnt(13)
	v_cvt_f32_f16_e32 v47, v48
	global_load_ushort v48, v[44:45], off
	v_mul_f32_e32 v46, v46, v47
	ds_bpermute_b32 v47, v21, v41
	s_waitcnt lgkmcnt(0)
	v_fmac_f32_e32 v40, v46, v47
	v_add_co_u32 v46, vcc_lo, v44, s22
	v_add_co_ci_u32_e64 v47, null, s23, v45, vcc_lo
	v_add_co_u32 v44, vcc_lo, v42, s22
	v_add_co_ci_u32_e64 v45, null, s23, v43, vcc_lo
	s_waitcnt vmcnt(13)
	v_cvt_f32_f16_e32 v43, v49
	global_load_ushort v49, v[46:47], off
	v_cvt_f32_f16_e32 v42, v62
	global_load_ushort v62, v[44:45], off
	v_mul_f32_e32 v42, v42, v43
	ds_bpermute_b32 v43, v22, v41
	s_waitcnt lgkmcnt(0)
	v_fmac_f32_e32 v40, v42, v43
	v_add_co_u32 v42, vcc_lo, v46, s22
	v_add_co_ci_u32_e64 v43, null, s23, v47, vcc_lo
	v_add_co_u32 v46, vcc_lo, v44, s22
	v_add_co_ci_u32_e64 v47, null, s23, v45, vcc_lo
	s_waitcnt vmcnt(14)
	v_cvt_f32_f16_e32 v44, v50
	global_load_ushort v50, v[42:43], off
	s_waitcnt vmcnt(14)
	v_cvt_f32_f16_e32 v45, v51
	global_load_ushort v51, v[46:47], off
	v_mul_f32_e32 v44, v44, v45
	ds_bpermute_b32 v45, v23, v41
	s_waitcnt lgkmcnt(0)
	v_fmac_f32_e32 v40, v44, v45
	v_add_co_u32 v44, vcc_lo, v42, s22
	v_add_co_ci_u32_e64 v45, null, s23, v43, vcc_lo
	v_add_co_u32 v42, vcc_lo, v46, s22
	v_add_co_ci_u32_e64 v43, null, s23, v47, vcc_lo
	s_waitcnt vmcnt(14)
	v_cvt_f32_f16_e32 v46, v52
	s_waitcnt vmcnt(13)
	v_cvt_f32_f16_e32 v47, v53
	global_load_ushort v52, v[44:45], off
	global_load_ushort v53, v[42:43], off
	v_mul_f32_e32 v46, v46, v47
	ds_bpermute_b32 v47, v24, v41
	s_waitcnt lgkmcnt(0)
	v_fmac_f32_e32 v40, v46, v47
	v_add_co_u32 v46, vcc_lo, v44, s22
	v_add_co_ci_u32_e64 v47, null, s23, v45, vcc_lo
	v_add_co_u32 v44, vcc_lo, v42, s22
	v_add_co_ci_u32_e64 v45, null, s23, v43, vcc_lo
	s_waitcnt vmcnt(14)
	v_cvt_f32_f16_e32 v42, v54
	s_waitcnt vmcnt(13)
	v_cvt_f32_f16_e32 v43, v55
	global_load_ushort v54, v[46:47], off
	global_load_ushort v55, v[44:45], off
	v_mul_f32_e32 v42, v42, v43
	ds_bpermute_b32 v43, v25, v41
	s_waitcnt lgkmcnt(0)
	v_fmac_f32_e32 v40, v42, v43
	v_add_co_u32 v42, vcc_lo, v46, s22
	v_add_co_ci_u32_e64 v43, null, s23, v47, vcc_lo
	v_add_co_u32 v46, vcc_lo, v44, s22
	v_add_co_ci_u32_e64 v47, null, s23, v45, vcc_lo
	s_waitcnt vmcnt(14)
	v_cvt_f32_f16_e32 v44, v56
	s_waitcnt vmcnt(13)
	v_cvt_f32_f16_e32 v45, v57
	global_load_ushort v56, v[42:43], off
	global_load_ushort v57, v[46:47], off
	v_mul_f32_e32 v44, v44, v45
	ds_bpermute_b32 v45, v26, v41
	s_waitcnt lgkmcnt(0)
	v_fmac_f32_e32 v40, v44, v45
	v_add_co_u32 v44, vcc_lo, v42, s22
	v_add_co_ci_u32_e64 v45, null, s23, v43, vcc_lo
	v_add_co_u32 v42, vcc_lo, v46, s22
	v_add_co_ci_u32_e64 v43, null, s23, v47, vcc_lo
	s_waitcnt vmcnt(14)
	v_cvt_f32_f16_e32 v46, v58
	s_waitcnt vmcnt(13)
	v_cvt_f32_f16_e32 v47, v59
	global_load_ushort v58, v[44:45], off
	global_load_ushort v59, v[42:43], off
	v_mul_f32_e32 v46, v46, v47
	ds_bpermute_b32 v47, v27, v41
	s_waitcnt lgkmcnt(0)
	v_fmac_f32_e32 v40, v46, v47
	v_add_co_u32 v46, vcc_lo, v44, s22
	v_add_co_ci_u32_e64 v47, null, s23, v45, vcc_lo
	v_add_co_u32 v44, vcc_lo, v42, s22
	v_add_co_ci_u32_e64 v45, null, s23, v43, vcc_lo
	s_waitcnt vmcnt(14)
	v_cvt_f32_f16_e32 v42, v60
	global_load_ushort v60, v[44:45], off
	s_waitcnt vmcnt(13)
	v_cvt_f32_f16_e32 v43, v48
	global_load_ushort v48, v[46:47], off
	v_mul_f32_e32 v42, v42, v43
	ds_bpermute_b32 v43, v28, v41
	s_waitcnt lgkmcnt(0)
	v_fmac_f32_e32 v40, v42, v43
	v_add_co_u32 v42, vcc_lo, v46, s22
	v_add_co_ci_u32_e64 v43, null, s23, v47, vcc_lo
	v_add_co_u32 v46, vcc_lo, v44, s22
	v_add_co_ci_u32_e64 v47, null, s23, v45, vcc_lo
	v_cvt_f32_f16_e32 v44, v61
	s_waitcnt vmcnt(13)
	v_cvt_f32_f16_e32 v45, v49
	global_load_ushort v49, v[42:43], off
	global_load_ushort v61, v[46:47], off
	v_mul_f32_e32 v44, v44, v45
	ds_bpermute_b32 v45, v29, v41
	s_waitcnt lgkmcnt(0)
	v_fmac_f32_e32 v40, v44, v45
	v_add_co_u32 v44, vcc_lo, v42, s22
	v_add_co_ci_u32_e64 v45, null, s23, v43, vcc_lo
	v_add_co_u32 v42, vcc_lo, v46, s22
	v_add_co_ci_u32_e64 v43, null, s23, v47, vcc_lo
	;; [unrolled: 2-line block ×3, first 2 shown]
	global_load_ushort v44, v[44:45], off
	global_load_ushort v42, v[42:43], off
	;; [unrolled: 1-line block ×3, first 2 shown]
	ds_bpermute_b32 v45, v30, v41
	s_waitcnt vmcnt(17)
	v_cvt_f32_f16_e32 v46, v62
	s_waitcnt vmcnt(16)
	v_cvt_f32_f16_e32 v47, v50
	v_add_co_u32 v2, vcc_lo, v2, s18
	v_add_co_ci_u32_e64 v39, null, s19, v39, vcc_lo
	v_mul_f32_e32 v46, v46, v47
	ds_bpermute_b32 v47, v31, v41
	v_add_co_u32 v6, vcc_lo, v6, s20
	v_add_co_ci_u32_e64 v7, null, s21, v7, vcc_lo
	v_add_co_u32 v4, vcc_lo, v4, s16
	v_add_co_ci_u32_e64 v5, null, 0, v5, vcc_lo
	s_and_b32 vcc_lo, exec_lo, s17
	s_waitcnt lgkmcnt(1)
	v_fmac_f32_e32 v40, v46, v45
	ds_bpermute_b32 v45, v32, v41
	s_waitcnt vmcnt(15)
	v_cvt_f32_f16_e32 v46, v51
	ds_bpermute_b32 v51, v33, v41
	s_waitcnt vmcnt(14)
	v_cvt_f32_f16_e32 v50, v52
	s_waitcnt vmcnt(13)
	v_cvt_f32_f16_e32 v52, v53
	ds_bpermute_b32 v53, v34, v41
	v_mul_f32_e32 v46, v46, v50
	s_waitcnt lgkmcnt(3)
	v_fmac_f32_e32 v40, v46, v47
	s_waitcnt vmcnt(12)
	v_cvt_f32_f16_e32 v50, v54
	s_waitcnt vmcnt(11)
	v_cvt_f32_f16_e32 v54, v55
	v_mul_f32_e32 v46, v52, v50
	ds_bpermute_b32 v50, v35, v41
	s_waitcnt lgkmcnt(3)
	v_fmac_f32_e32 v40, v46, v45
	s_waitcnt vmcnt(10)
	v_cvt_f32_f16_e32 v47, v56
	s_waitcnt vmcnt(9)
	v_cvt_f32_f16_e32 v52, v57
	v_mul_f32_e32 v45, v54, v47
	ds_bpermute_b32 v47, v36, v41
	s_waitcnt lgkmcnt(3)
	v_fmac_f32_e32 v40, v45, v51
	s_waitcnt vmcnt(8)
	v_cvt_f32_f16_e32 v46, v58
	s_waitcnt vmcnt(7)
	v_cvt_f32_f16_e32 v54, v59
	v_mul_f32_e32 v45, v52, v46
	s_waitcnt lgkmcnt(2)
	v_fmac_f32_e32 v40, v45, v53
	s_waitcnt vmcnt(6)
	v_cvt_f32_f16_e32 v51, v60
	s_waitcnt vmcnt(5)
	v_cvt_f32_f16_e32 v46, v48
	ds_bpermute_b32 v48, v37, v41
	ds_bpermute_b32 v41, v38, v41
	v_mul_f32_e32 v45, v54, v46
	s_waitcnt lgkmcnt(3)
	v_fmac_f32_e32 v40, v45, v50
	s_waitcnt vmcnt(4)
	v_cvt_f32_f16_e32 v46, v49
	s_waitcnt vmcnt(3)
	v_cvt_f32_f16_e32 v49, v61
	v_mul_f32_e32 v45, v51, v46
	s_waitcnt lgkmcnt(2)
	v_fmac_f32_e32 v40, v45, v47
	s_waitcnt vmcnt(2)
	v_cvt_f32_f16_e32 v44, v44
	s_waitcnt vmcnt(1)
	v_cvt_f32_f16_e32 v42, v42
	;; [unrolled: 2-line block ×3, first 2 shown]
	v_mul_f32_e32 v44, v49, v44
	v_mul_f32_e32 v42, v42, v43
	s_waitcnt lgkmcnt(1)
	v_fmac_f32_e32 v40, v44, v48
	s_waitcnt lgkmcnt(0)
	v_fmac_f32_e32 v40, v42, v41
	s_cbranch_vccz .LBB165_5
.LBB165_3:                              ; =>This Inner Loop Header: Depth=1
	v_mov_b32_e32 v41, 0
	s_mov_b32 s17, exec_lo
	v_cmpx_gt_i64_e64 s[0:1], v[4:5]
	s_cbranch_execz .LBB165_2
; %bb.4:                                ;   in Loop: Header=BB165_3 Depth=1
	global_load_dword v41, v[6:7], off
	s_branch .LBB165_2
.LBB165_5:
	v_cvt_f16_f32_e32 v3, v40
.LBB165_6:
	s_cmp_eq_u64 s[12:13], 0
	s_cbranch_scc1 .LBB165_8
; %bb.7:
	s_load_dword s0, s[4:5], 0x4c
	v_mov_b32_e32 v2, 0
	v_lshlrev_b32_e32 v0, 1, v0
	s_waitcnt lgkmcnt(0)
	s_lshr_b32 s0, s0, 16
	v_mad_u64_u32 v[1:2], null, s0, s7, v[1:2]
	s_mov_b32 s7, 0
	s_lshl_b64 s[0:1], s[6:7], 7
	v_mul_lo_u32 v4, v2, s2
	v_mul_lo_u32 v5, v1, s3
	v_mad_u64_u32 v[1:2], null, v1, s2, 0
	v_add3_u32 v2, v2, v5, v4
	v_lshlrev_b64 v[1:2], 1, v[1:2]
	v_add_co_u32 v1, vcc_lo, s12, v1
	v_add_co_ci_u32_e64 v2, null, s13, v2, vcc_lo
	v_add_co_u32 v1, vcc_lo, v1, s0
	v_add_co_ci_u32_e64 v2, null, s1, v2, vcc_lo
	v_add_co_u32 v0, vcc_lo, v1, v0
	v_add_co_ci_u32_e64 v1, null, 0, v2, vcc_lo
	global_store_short v[0:1], v3, off
.LBB165_8:
	s_endpgm
	.section	.rodata,"a",@progbits
	.p2align	6, 0x0
	.amdhsa_kernel _ZN2at6native12_GLOBAL__N_135GammaBetaBackwardCUDAKernelTemplateIN3c104HalfEfLj64ELj1ELj32ELb1ELb1ELb1EEEvllPKT_S7_PKT0_SA_PS5_SB_
		.amdhsa_group_segment_fixed_size 0
		.amdhsa_private_segment_fixed_size 0
		.amdhsa_kernarg_size 320
		.amdhsa_user_sgpr_count 6
		.amdhsa_user_sgpr_private_segment_buffer 1
		.amdhsa_user_sgpr_dispatch_ptr 0
		.amdhsa_user_sgpr_queue_ptr 0
		.amdhsa_user_sgpr_kernarg_segment_ptr 1
		.amdhsa_user_sgpr_dispatch_id 0
		.amdhsa_user_sgpr_flat_scratch_init 0
		.amdhsa_user_sgpr_private_segment_size 0
		.amdhsa_wavefront_size32 1
		.amdhsa_uses_dynamic_stack 0
		.amdhsa_system_sgpr_private_segment_wavefront_offset 0
		.amdhsa_system_sgpr_workgroup_id_x 1
		.amdhsa_system_sgpr_workgroup_id_y 1
		.amdhsa_system_sgpr_workgroup_id_z 0
		.amdhsa_system_sgpr_workgroup_info 0
		.amdhsa_system_vgpr_workitem_id 1
		.amdhsa_next_free_vgpr 63
		.amdhsa_next_free_sgpr 24
		.amdhsa_reserve_vcc 1
		.amdhsa_reserve_flat_scratch 0
		.amdhsa_float_round_mode_32 0
		.amdhsa_float_round_mode_16_64 0
		.amdhsa_float_denorm_mode_32 3
		.amdhsa_float_denorm_mode_16_64 3
		.amdhsa_dx10_clamp 1
		.amdhsa_ieee_mode 1
		.amdhsa_fp16_overflow 0
		.amdhsa_workgroup_processor_mode 1
		.amdhsa_memory_ordered 1
		.amdhsa_forward_progress 1
		.amdhsa_shared_vgpr_count 0
		.amdhsa_exception_fp_ieee_invalid_op 0
		.amdhsa_exception_fp_denorm_src 0
		.amdhsa_exception_fp_ieee_div_zero 0
		.amdhsa_exception_fp_ieee_overflow 0
		.amdhsa_exception_fp_ieee_underflow 0
		.amdhsa_exception_fp_ieee_inexact 0
		.amdhsa_exception_int_div_zero 0
	.end_amdhsa_kernel
	.section	.text._ZN2at6native12_GLOBAL__N_135GammaBetaBackwardCUDAKernelTemplateIN3c104HalfEfLj64ELj1ELj32ELb1ELb1ELb1EEEvllPKT_S7_PKT0_SA_PS5_SB_,"axG",@progbits,_ZN2at6native12_GLOBAL__N_135GammaBetaBackwardCUDAKernelTemplateIN3c104HalfEfLj64ELj1ELj32ELb1ELb1ELb1EEEvllPKT_S7_PKT0_SA_PS5_SB_,comdat
.Lfunc_end165:
	.size	_ZN2at6native12_GLOBAL__N_135GammaBetaBackwardCUDAKernelTemplateIN3c104HalfEfLj64ELj1ELj32ELb1ELb1ELb1EEEvllPKT_S7_PKT0_SA_PS5_SB_, .Lfunc_end165-_ZN2at6native12_GLOBAL__N_135GammaBetaBackwardCUDAKernelTemplateIN3c104HalfEfLj64ELj1ELj32ELb1ELb1ELb1EEEvllPKT_S7_PKT0_SA_PS5_SB_
                                        ; -- End function
	.set _ZN2at6native12_GLOBAL__N_135GammaBetaBackwardCUDAKernelTemplateIN3c104HalfEfLj64ELj1ELj32ELb1ELb1ELb1EEEvllPKT_S7_PKT0_SA_PS5_SB_.num_vgpr, 63
	.set _ZN2at6native12_GLOBAL__N_135GammaBetaBackwardCUDAKernelTemplateIN3c104HalfEfLj64ELj1ELj32ELb1ELb1ELb1EEEvllPKT_S7_PKT0_SA_PS5_SB_.num_agpr, 0
	.set _ZN2at6native12_GLOBAL__N_135GammaBetaBackwardCUDAKernelTemplateIN3c104HalfEfLj64ELj1ELj32ELb1ELb1ELb1EEEvllPKT_S7_PKT0_SA_PS5_SB_.numbered_sgpr, 24
	.set _ZN2at6native12_GLOBAL__N_135GammaBetaBackwardCUDAKernelTemplateIN3c104HalfEfLj64ELj1ELj32ELb1ELb1ELb1EEEvllPKT_S7_PKT0_SA_PS5_SB_.num_named_barrier, 0
	.set _ZN2at6native12_GLOBAL__N_135GammaBetaBackwardCUDAKernelTemplateIN3c104HalfEfLj64ELj1ELj32ELb1ELb1ELb1EEEvllPKT_S7_PKT0_SA_PS5_SB_.private_seg_size, 0
	.set _ZN2at6native12_GLOBAL__N_135GammaBetaBackwardCUDAKernelTemplateIN3c104HalfEfLj64ELj1ELj32ELb1ELb1ELb1EEEvllPKT_S7_PKT0_SA_PS5_SB_.uses_vcc, 1
	.set _ZN2at6native12_GLOBAL__N_135GammaBetaBackwardCUDAKernelTemplateIN3c104HalfEfLj64ELj1ELj32ELb1ELb1ELb1EEEvllPKT_S7_PKT0_SA_PS5_SB_.uses_flat_scratch, 0
	.set _ZN2at6native12_GLOBAL__N_135GammaBetaBackwardCUDAKernelTemplateIN3c104HalfEfLj64ELj1ELj32ELb1ELb1ELb1EEEvllPKT_S7_PKT0_SA_PS5_SB_.has_dyn_sized_stack, 0
	.set _ZN2at6native12_GLOBAL__N_135GammaBetaBackwardCUDAKernelTemplateIN3c104HalfEfLj64ELj1ELj32ELb1ELb1ELb1EEEvllPKT_S7_PKT0_SA_PS5_SB_.has_recursion, 0
	.set _ZN2at6native12_GLOBAL__N_135GammaBetaBackwardCUDAKernelTemplateIN3c104HalfEfLj64ELj1ELj32ELb1ELb1ELb1EEEvllPKT_S7_PKT0_SA_PS5_SB_.has_indirect_call, 0
	.section	.AMDGPU.csdata,"",@progbits
; Kernel info:
; codeLenInByte = 3416
; TotalNumSgprs: 26
; NumVgprs: 63
; ScratchSize: 0
; MemoryBound: 0
; FloatMode: 240
; IeeeMode: 1
; LDSByteSize: 0 bytes/workgroup (compile time only)
; SGPRBlocks: 0
; VGPRBlocks: 7
; NumSGPRsForWavesPerEU: 26
; NumVGPRsForWavesPerEU: 63
; Occupancy: 16
; WaveLimiterHint : 0
; COMPUTE_PGM_RSRC2:SCRATCH_EN: 0
; COMPUTE_PGM_RSRC2:USER_SGPR: 6
; COMPUTE_PGM_RSRC2:TRAP_HANDLER: 0
; COMPUTE_PGM_RSRC2:TGID_X_EN: 1
; COMPUTE_PGM_RSRC2:TGID_Y_EN: 1
; COMPUTE_PGM_RSRC2:TGID_Z_EN: 0
; COMPUTE_PGM_RSRC2:TIDIG_COMP_CNT: 1
	.section	.text._ZN2at6native12_GLOBAL__N_135GammaBetaBackwardCUDAKernelTemplateIN3c104HalfEfLj64ELj1ELj32ELb1ELb0ELb1EEEvllPKT_S7_PKT0_SA_PS5_SB_,"axG",@progbits,_ZN2at6native12_GLOBAL__N_135GammaBetaBackwardCUDAKernelTemplateIN3c104HalfEfLj64ELj1ELj32ELb1ELb0ELb1EEEvllPKT_S7_PKT0_SA_PS5_SB_,comdat
	.globl	_ZN2at6native12_GLOBAL__N_135GammaBetaBackwardCUDAKernelTemplateIN3c104HalfEfLj64ELj1ELj32ELb1ELb0ELb1EEEvllPKT_S7_PKT0_SA_PS5_SB_ ; -- Begin function _ZN2at6native12_GLOBAL__N_135GammaBetaBackwardCUDAKernelTemplateIN3c104HalfEfLj64ELj1ELj32ELb1ELb0ELb1EEEvllPKT_S7_PKT0_SA_PS5_SB_
	.p2align	8
	.type	_ZN2at6native12_GLOBAL__N_135GammaBetaBackwardCUDAKernelTemplateIN3c104HalfEfLj64ELj1ELj32ELb1ELb0ELb1EEEvllPKT_S7_PKT0_SA_PS5_SB_,@function
_ZN2at6native12_GLOBAL__N_135GammaBetaBackwardCUDAKernelTemplateIN3c104HalfEfLj64ELj1ELj32ELb1ELb0ELb1EEEvllPKT_S7_PKT0_SA_PS5_SB_: ; @_ZN2at6native12_GLOBAL__N_135GammaBetaBackwardCUDAKernelTemplateIN3c104HalfEfLj64ELj1ELj32ELb1ELb0ELb1EEEvllPKT_S7_PKT0_SA_PS5_SB_
; %bb.0:
	s_mov_b64 s[38:39], s[2:3]
	s_mov_b64 s[36:37], s[0:1]
	s_mov_b32 s0, s7
	s_add_u32 s36, s36, s8
	s_clause 0x1
	s_load_dwordx8 s[8:15], s[4:5], 0x0
	s_load_dwordx2 s[16:17], s[4:5], 0x28
	s_addc_u32 s37, s37, 0
	s_lshl_b32 s7, s6, 6
	s_mov_b32 s19, 0
	s_or_b32 s18, s7, 63
	v_mov_b32_e32 v224, v0
	v_mov_b32_e32 v223, v1
	s_waitcnt lgkmcnt(0)
	v_cmp_le_i64_e64 s1, s[10:11], s[18:19]
	s_lshl_b32 s18, s0, 5
	v_cmp_gt_i64_e64 s26, s[8:9], s[18:19]
	s_and_b32 vcc_lo, exec_lo, s1
	v_cndmask_b32_e64 v0, 0, 1, s26
	v_cmp_ne_u32_e64 s1, 1, v0
	s_cbranch_vccz .LBB166_141
; %bb.1:
	v_mov_b32_e32 v202, 0
	s_and_b32 vcc_lo, exec_lo, s1
	s_cbranch_vccnz .LBB166_142
; %bb.2:
	v_lshlrev_b32_e32 v39, 5, v223
	v_mov_b32_e32 v2, 0
	v_add_nc_u32_e32 v0, s7, v224
	s_load_dword s2, s[4:5], 0x44
	s_add_u32 s20, s4, 64
	v_add_co_u32 v5, s1, v39, s18
	v_add_co_ci_u32_e64 v6, null, 0, 0, s1
	v_mov_b32_e32 v1, v2
	v_mul_lo_u32 v7, s11, v5
	v_mad_u64_u32 v[3:4], null, s10, v5, 0
	v_mul_lo_u32 v8, s10, v6
	v_cmp_gt_i64_e64 s1, s[10:11], v[0:1]
	v_lshlrev_b64 v[35:36], 1, v[0:1]
	s_addc_u32 s21, s5, 0
	v_mov_b32_e32 v40, v2
	v_mov_b32_e32 v167, 0
	s_mov_b64 s[24:25], s[18:19]
	v_add3_u32 v4, v4, v8, v7
	v_add_co_u32 v7, vcc_lo, v5, 31
	v_add_co_ci_u32_e64 v8, null, 0, v6, vcc_lo
	v_add_co_u32 v9, vcc_lo, v5, 30
	v_add_co_ci_u32_e64 v10, null, 0, v6, vcc_lo
	v_lshlrev_b64 v[0:1], 1, v[3:4]
	v_mul_lo_u32 v11, s11, v7
	v_mul_lo_u32 v12, s10, v8
	v_mad_u64_u32 v[7:8], null, s10, v7, 0
	v_mul_lo_u32 v13, s11, v9
	v_mul_lo_u32 v14, s10, v10
	v_mad_u64_u32 v[9:10], null, s10, v9, 0
	v_add_co_u32 v41, vcc_lo, s12, v0
	v_add_co_ci_u32_e64 v42, null, s13, v1, vcc_lo
	v_add_co_u32 v43, vcc_lo, s14, v0
	v_add3_u32 v8, v8, v12, v11
	v_add_co_ci_u32_e64 v44, null, s15, v1, vcc_lo
	v_add_co_u32 v11, vcc_lo, v5, 29
	v_add3_u32 v10, v10, v14, v13
	v_add_co_ci_u32_e64 v12, null, 0, v6, vcc_lo
	v_lshlrev_b64 v[0:1], 1, v[7:8]
	v_mul_lo_u32 v13, s11, v11
	v_lshlrev_b64 v[7:8], 1, v[9:10]
	v_mul_lo_u32 v12, s10, v12
	v_mad_u64_u32 v[9:10], null, s10, v11, 0
	v_add_co_u32 v45, vcc_lo, s12, v0
	v_add_co_ci_u32_e64 v46, null, s13, v1, vcc_lo
	v_add_co_u32 v47, vcc_lo, s14, v0
	v_add3_u32 v10, v10, v12, v13
	s_waitcnt lgkmcnt(0)
	s_lshl_b32 s27, s2, 5
	v_add_co_ci_u32_e64 v48, null, s15, v1, vcc_lo
	v_add_co_u32 v49, vcc_lo, s12, v7
	s_mul_i32 s2, s11, s27
	s_mul_hi_u32 s3, s10, s27
	v_add_co_ci_u32_e64 v50, null, s13, v8, vcc_lo
	v_add_co_u32 v11, vcc_lo, v5, 28
	s_add_i32 s23, s3, s2
	v_add_co_u32 v51, s2, s14, v7
	v_lshlrev_b64 v[0:1], 1, v[9:10]
	v_add_co_ci_u32_e64 v7, null, 0, v6, vcc_lo
	v_add_co_u32 v9, vcc_lo, v5, 27
	v_add_co_ci_u32_e64 v10, null, 0, v6, vcc_lo
	v_add_co_ci_u32_e64 v52, null, s15, v8, s2
	v_mul_lo_u32 v12, s11, v11
	v_mul_lo_u32 v13, s10, v7
	v_mad_u64_u32 v[7:8], null, s10, v11, 0
	v_mul_lo_u32 v11, s11, v9
	v_mul_lo_u32 v14, s10, v10
	v_mad_u64_u32 v[9:10], null, s10, v9, 0
	v_add_co_u32 v53, vcc_lo, s12, v0
	v_add_co_ci_u32_e64 v54, null, s13, v1, vcc_lo
	v_add_co_u32 v55, vcc_lo, s14, v0
	v_add_co_ci_u32_e64 v56, null, s15, v1, vcc_lo
	v_add3_u32 v10, v10, v14, v11
	v_add_co_u32 v11, vcc_lo, v5, 26
	v_add3_u32 v8, v8, v13, v12
	v_add_co_ci_u32_e64 v12, null, 0, v6, vcc_lo
	v_mul_lo_u32 v13, s11, v11
	s_mul_i32 s22, s10, s27
	v_lshlrev_b64 v[0:1], 1, v[7:8]
	v_lshlrev_b64 v[7:8], 1, v[9:10]
	v_mul_lo_u32 v12, s10, v12
	v_mad_u64_u32 v[9:10], null, s10, v11, 0
	v_add_co_u32 v57, vcc_lo, s12, v0
	v_add_co_ci_u32_e64 v58, null, s13, v1, vcc_lo
	v_add_co_u32 v59, vcc_lo, s14, v0
	v_add3_u32 v10, v10, v12, v13
	v_add_co_ci_u32_e64 v60, null, s15, v1, vcc_lo
	v_add_co_u32 v61, vcc_lo, s12, v7
	v_add_co_ci_u32_e64 v62, null, s13, v8, vcc_lo
	v_add_co_u32 v11, vcc_lo, v5, 25
	v_add_co_u32 v63, s2, s14, v7
	v_lshlrev_b64 v[0:1], 1, v[9:10]
	v_add_co_ci_u32_e64 v7, null, 0, v6, vcc_lo
	v_add_co_u32 v9, vcc_lo, v5, 24
	v_add_co_ci_u32_e64 v10, null, 0, v6, vcc_lo
	v_add_co_ci_u32_e64 v64, null, s15, v8, s2
	v_mul_lo_u32 v12, s11, v11
	v_mul_lo_u32 v13, s10, v7
	v_mad_u64_u32 v[7:8], null, s10, v11, 0
	v_mul_lo_u32 v11, s11, v9
	v_mul_lo_u32 v14, s10, v10
	v_mad_u64_u32 v[9:10], null, s10, v9, 0
	v_add_co_u32 v65, vcc_lo, s12, v0
	v_add_co_ci_u32_e64 v66, null, s13, v1, vcc_lo
	v_add_co_u32 v67, vcc_lo, s14, v0
	v_add_co_ci_u32_e64 v68, null, s15, v1, vcc_lo
	v_add3_u32 v10, v10, v14, v11
	v_add_co_u32 v11, vcc_lo, v5, 23
	v_add3_u32 v8, v8, v13, v12
	v_add_co_ci_u32_e64 v12, null, 0, v6, vcc_lo
	v_mul_lo_u32 v13, s11, v11
	v_lshlrev_b64 v[0:1], 1, v[7:8]
	v_lshlrev_b64 v[7:8], 1, v[9:10]
	v_mul_lo_u32 v12, s10, v12
	v_mad_u64_u32 v[9:10], null, s10, v11, 0
	v_add_co_u32 v69, vcc_lo, s12, v0
	v_add_co_ci_u32_e64 v70, null, s13, v1, vcc_lo
	v_add_co_u32 v71, vcc_lo, s14, v0
	v_add3_u32 v10, v10, v12, v13
	v_add_co_ci_u32_e64 v72, null, s15, v1, vcc_lo
	v_add_co_u32 v73, vcc_lo, s12, v7
	v_add_co_ci_u32_e64 v74, null, s13, v8, vcc_lo
	v_add_co_u32 v11, vcc_lo, v5, 22
	v_add_co_u32 v75, s2, s14, v7
	v_lshlrev_b64 v[0:1], 1, v[9:10]
	v_add_co_ci_u32_e64 v7, null, 0, v6, vcc_lo
	v_add_co_u32 v9, vcc_lo, v5, 21
	v_add_co_ci_u32_e64 v10, null, 0, v6, vcc_lo
	v_add_co_ci_u32_e64 v76, null, s15, v8, s2
	v_mul_lo_u32 v12, s11, v11
	v_mul_lo_u32 v13, s10, v7
	v_mad_u64_u32 v[7:8], null, s10, v11, 0
	v_mul_lo_u32 v11, s11, v9
	v_mul_lo_u32 v14, s10, v10
	v_mad_u64_u32 v[9:10], null, s10, v9, 0
	v_add_co_u32 v77, vcc_lo, s12, v0
	v_add_co_ci_u32_e64 v78, null, s13, v1, vcc_lo
	v_add_co_u32 v79, vcc_lo, s14, v0
	v_add_co_ci_u32_e64 v80, null, s15, v1, vcc_lo
	v_add3_u32 v10, v10, v14, v11
	v_add_co_u32 v11, vcc_lo, v5, 20
	v_add3_u32 v8, v8, v13, v12
	v_add_co_ci_u32_e64 v12, null, 0, v6, vcc_lo
	v_mul_lo_u32 v13, s11, v11
	;; [unrolled: 33-line block ×3, first 2 shown]
	v_lshlrev_b64 v[0:1], 1, v[7:8]
	v_lshlrev_b64 v[7:8], 1, v[9:10]
	v_mul_lo_u32 v12, s10, v12
	v_mad_u64_u32 v[9:10], null, s10, v11, 0
	v_add_co_u32 v93, vcc_lo, s12, v0
	v_add_co_ci_u32_e64 v94, null, s13, v1, vcc_lo
	v_add_co_u32 v95, vcc_lo, s14, v0
	v_add3_u32 v10, v10, v12, v13
	v_add_co_ci_u32_e64 v96, null, s15, v1, vcc_lo
	v_add_co_u32 v97, vcc_lo, s12, v7
	v_add_co_ci_u32_e64 v98, null, s13, v8, vcc_lo
	v_add_co_u32 v11, vcc_lo, v5, 16
	v_add_co_u32 v99, s2, s14, v7
	v_lshlrev_b64 v[0:1], 1, v[9:10]
	v_add_co_ci_u32_e64 v7, null, 0, v6, vcc_lo
	v_add_co_u32 v9, vcc_lo, v5, 15
	v_add_co_ci_u32_e64 v10, null, 0, v6, vcc_lo
	v_add_co_ci_u32_e64 v100, null, s15, v8, s2
	v_mul_lo_u32 v12, s11, v11
	v_mul_lo_u32 v13, s10, v7
	v_mad_u64_u32 v[7:8], null, s10, v11, 0
	v_mul_lo_u32 v11, s11, v9
	v_mul_lo_u32 v14, s10, v10
	v_mad_u64_u32 v[9:10], null, s10, v9, 0
	v_add_co_u32 v101, vcc_lo, s12, v0
	v_add_co_ci_u32_e64 v102, null, s13, v1, vcc_lo
	v_add3_u32 v8, v8, v13, v12
	v_add_co_u32 v103, vcc_lo, s14, v0
	v_add_co_ci_u32_e64 v104, null, s15, v1, vcc_lo
	v_add3_u32 v10, v10, v14, v11
	v_add_co_u32 v11, vcc_lo, v5, 14
	v_add_co_ci_u32_e64 v12, null, 0, v6, vcc_lo
	v_lshlrev_b64 v[0:1], 1, v[7:8]
	v_lshlrev_b64 v[7:8], 1, v[9:10]
	v_mul_lo_u32 v13, s11, v11
	v_mul_lo_u32 v12, s10, v12
	v_mad_u64_u32 v[9:10], null, s10, v11, 0
	v_add_co_u32 v105, vcc_lo, s12, v0
	v_add_co_ci_u32_e64 v106, null, s13, v1, vcc_lo
	v_add_co_u32 v107, vcc_lo, s14, v0
	v_add_co_ci_u32_e64 v108, null, s15, v1, vcc_lo
	;; [unrolled: 2-line block ×3, first 2 shown]
	v_add3_u32 v10, v10, v12, v13
	v_add_co_u32 v0, vcc_lo, v5, 13
	v_add_co_ci_u32_e64 v1, null, 0, v6, vcc_lo
	v_add_co_u32 v11, vcc_lo, v5, 12
	v_add_co_u32 v111, s2, s14, v7
	v_add_co_ci_u32_e64 v12, null, 0, v6, vcc_lo
	v_add_co_ci_u32_e64 v112, null, s15, v8, s2
	v_lshlrev_b64 v[7:8], 1, v[9:10]
	v_mul_lo_u32 v13, s11, v0
	v_mul_lo_u32 v14, s10, v1
	v_mad_u64_u32 v[9:10], null, s10, v0, 0
	v_mul_lo_u32 v15, s11, v11
	v_mul_lo_u32 v16, s10, v12
	v_mad_u64_u32 v[11:12], null, s10, v11, 0
	v_add_co_u32 v0, vcc_lo, s12, v7
	v_add_co_ci_u32_e64 v1, null, s13, v8, vcc_lo
	v_add_co_u32 v113, vcc_lo, s14, v7
	v_add3_u32 v10, v10, v14, v13
	v_add_co_ci_u32_e64 v114, null, s15, v8, vcc_lo
	v_add_co_u32 v13, vcc_lo, v5, 11
	v_add3_u32 v12, v12, v16, v15
	v_add_co_ci_u32_e64 v14, null, 0, v6, vcc_lo
	v_lshlrev_b64 v[7:8], 1, v[9:10]
	v_mul_lo_u32 v15, s11, v13
	v_lshlrev_b64 v[9:10], 1, v[11:12]
	v_mul_lo_u32 v14, s10, v14
	v_mad_u64_u32 v[11:12], null, s10, v13, 0
	v_add_co_u32 v115, vcc_lo, s12, v7
	v_add_co_ci_u32_e64 v116, null, s13, v8, vcc_lo
	v_add_co_u32 v117, vcc_lo, s14, v7
	v_add3_u32 v12, v12, v14, v15
	v_add_co_ci_u32_e64 v118, null, s15, v8, vcc_lo
	v_add_co_u32 v119, vcc_lo, s12, v9
	v_add_co_ci_u32_e64 v120, null, s13, v10, vcc_lo
	v_add_co_u32 v13, vcc_lo, v5, 10
	v_add_co_u32 v121, s2, s14, v9
	v_lshlrev_b64 v[7:8], 1, v[11:12]
	v_add_co_ci_u32_e64 v9, null, 0, v6, vcc_lo
	v_add_co_u32 v11, vcc_lo, v5, 9
	v_add_co_ci_u32_e64 v12, null, 0, v6, vcc_lo
	v_add_co_ci_u32_e64 v122, null, s15, v10, s2
	v_mul_lo_u32 v14, s11, v13
	v_mul_lo_u32 v15, s10, v9
	v_mad_u64_u32 v[9:10], null, s10, v13, 0
	v_mul_lo_u32 v13, s11, v11
	v_mul_lo_u32 v16, s10, v12
	v_mad_u64_u32 v[11:12], null, s10, v11, 0
	v_add_co_u32 v123, vcc_lo, s12, v7
	v_add_co_ci_u32_e64 v124, null, s13, v8, vcc_lo
	v_add_co_u32 v125, vcc_lo, s14, v7
	v_add3_u32 v10, v10, v15, v14
	v_add_co_ci_u32_e64 v126, null, s15, v8, vcc_lo
	v_add3_u32 v12, v12, v16, v13
	v_add_co_u32 v13, vcc_lo, v5, 8
	v_add_co_ci_u32_e64 v14, null, 0, v6, vcc_lo
	v_lshlrev_b64 v[7:8], 1, v[9:10]
	v_lshlrev_b64 v[9:10], 1, v[11:12]
	v_mul_lo_u32 v15, s11, v13
	v_mul_lo_u32 v14, s10, v14
	v_mad_u64_u32 v[11:12], null, s10, v13, 0
	v_add_co_u32 v127, vcc_lo, s12, v7
	v_add_co_ci_u32_e64 v128, null, s13, v8, vcc_lo
	v_add_co_u32 v129, vcc_lo, s14, v7
	v_add_co_ci_u32_e64 v130, null, s15, v8, vcc_lo
	v_add_co_u32 v131, vcc_lo, s12, v9
	v_add3_u32 v12, v12, v14, v15
	v_add_co_ci_u32_e64 v132, null, s13, v10, vcc_lo
	v_add_co_u32 v13, vcc_lo, v5, 7
	v_add_co_u32 v133, s2, s14, v9
	v_add_co_ci_u32_e64 v9, null, 0, v6, vcc_lo
	v_lshlrev_b64 v[7:8], 1, v[11:12]
	v_add_co_u32 v11, vcc_lo, v5, 6
	v_add_co_ci_u32_e64 v12, null, 0, v6, vcc_lo
	v_add_co_ci_u32_e64 v134, null, s15, v10, s2
	v_mul_lo_u32 v14, s11, v13
	v_mul_lo_u32 v15, s10, v9
	v_mad_u64_u32 v[9:10], null, s10, v13, 0
	v_mul_lo_u32 v13, s11, v11
	v_mul_lo_u32 v16, s10, v12
	v_mad_u64_u32 v[11:12], null, s10, v11, 0
	v_add_co_u32 v135, vcc_lo, s12, v7
	v_add3_u32 v10, v10, v15, v14
	v_add_co_ci_u32_e64 v136, null, s13, v8, vcc_lo
	v_add_co_u32 v137, vcc_lo, s14, v7
	v_add_co_ci_u32_e64 v138, null, s15, v8, vcc_lo
	v_add3_u32 v12, v12, v16, v13
	v_add_co_u32 v13, vcc_lo, v5, 5
	v_lshlrev_b64 v[7:8], 1, v[9:10]
	v_add_co_ci_u32_e64 v14, null, 0, v6, vcc_lo
	v_lshlrev_b64 v[9:10], 1, v[11:12]
	v_mul_lo_u32 v15, s11, v13
	v_mad_u64_u32 v[11:12], null, s10, v13, 0
	v_add_co_u32 v139, vcc_lo, s12, v7
	v_mul_lo_u32 v14, s10, v14
	v_add_co_ci_u32_e64 v140, null, s13, v8, vcc_lo
	v_add_co_u32 v141, vcc_lo, s14, v7
	v_add_co_ci_u32_e64 v142, null, s15, v8, vcc_lo
	v_add_co_u32 v143, vcc_lo, s12, v9
	;; [unrolled: 2-line block ×3, first 2 shown]
	v_add3_u32 v12, v12, v14, v15
	v_add_co_u32 v145, s2, s14, v9
	v_add_co_ci_u32_e64 v9, null, 0, v6, vcc_lo
	v_add_co_ci_u32_e64 v146, null, s15, v10, s2
	v_lshlrev_b64 v[7:8], 1, v[11:12]
	v_mul_lo_u32 v14, s11, v13
	v_add_co_u32 v11, vcc_lo, v5, 3
	v_mul_lo_u32 v15, s10, v9
	v_mad_u64_u32 v[9:10], null, s10, v13, 0
	v_add_co_ci_u32_e64 v12, null, 0, v6, vcc_lo
	v_mul_lo_u32 v13, s11, v11
	v_add_co_u32 v147, vcc_lo, s12, v7
	v_mul_lo_u32 v16, s10, v12
	v_mad_u64_u32 v[11:12], null, s10, v11, 0
	v_add3_u32 v10, v10, v15, v14
	v_add_co_ci_u32_e64 v148, null, s13, v8, vcc_lo
	v_add_co_u32 v149, vcc_lo, s14, v7
	v_add_co_ci_u32_e64 v150, null, s15, v8, vcc_lo
	v_lshlrev_b64 v[7:8], 1, v[9:10]
	v_add_co_u32 v9, vcc_lo, v5, 2
	v_add3_u32 v12, v12, v16, v13
	v_add_co_ci_u32_e64 v10, null, 0, v6, vcc_lo
	v_add_co_u32 v151, vcc_lo, s12, v7
	v_lshlrev_b64 v[5:6], 1, v[11:12]
	v_mul_lo_u32 v11, s11, v9
	v_mul_lo_u32 v12, s10, v10
	v_mad_u64_u32 v[9:10], null, s10, v9, 0
	v_add_co_ci_u32_e64 v152, null, s13, v8, vcc_lo
	v_add_co_u32 v153, vcc_lo, s14, v7
	v_add_co_ci_u32_e64 v154, null, s15, v8, vcc_lo
	v_add_co_u32 v155, vcc_lo, s12, v5
	v_add_co_ci_u32_e64 v156, null, s13, v6, vcc_lo
	v_add3_u32 v10, v10, v12, v11
	v_add_co_u32 v157, vcc_lo, s14, v5
	v_add_co_ci_u32_e64 v158, null, s15, v6, vcc_lo
	v_add_co_u32 v3, vcc_lo, v3, s10
	v_add_co_ci_u32_e64 v4, null, s11, v4, vcc_lo
	v_lshlrev_b64 v[5:6], 1, v[9:10]
	s_lshl_b64 s[2:3], s[22:23], 1
	s_mov_b64 s[22:23], 31
	v_lshlrev_b64 v[3:4], 1, v[3:4]
	v_add_co_u32 v159, vcc_lo, s12, v5
	v_add_co_ci_u32_e64 v160, null, s13, v6, vcc_lo
	v_add_co_u32 v161, vcc_lo, s14, v5
	v_add_co_ci_u32_e64 v162, null, s15, v6, vcc_lo
	v_add_co_u32 v163, vcc_lo, s12, v3
	v_add_co_ci_u32_e64 v164, null, s13, v4, vcc_lo
	v_add_co_u32 v165, vcc_lo, s14, v3
	v_add_co_ci_u32_e64 v166, null, s15, v4, vcc_lo
.LBB166_3:                              ; =>This Inner Loop Header: Depth=1
	s_add_u32 s28, s18, s22
	s_addc_u32 s29, 0, s23
	v_add_co_u32 v37, vcc_lo, s18, v39
	v_cmp_ge_i64_e64 s28, s[28:29], s[8:9]
	v_add_co_ci_u32_e64 v38, null, 0, v40, vcc_lo
                                        ; implicit-def: $vgpr3_vgpr4_vgpr5_vgpr6_vgpr7_vgpr8_vgpr9_vgpr10_vgpr11_vgpr12_vgpr13_vgpr14_vgpr15_vgpr16_vgpr17_vgpr18_vgpr19_vgpr20_vgpr21_vgpr22_vgpr23_vgpr24_vgpr25_vgpr26_vgpr27_vgpr28_vgpr29_vgpr30_vgpr31_vgpr32_vgpr33_vgpr34
                                        ; implicit-def: $vgpr202
                                        ; implicit-def: $vgpr194
                                        ; implicit-def: $vgpr3
	s_and_b32 vcc_lo, exec_lo, s28
	s_mov_b32 s28, -1
	s_cbranch_vccz .LBB166_71
; %bb.4:                                ;   in Loop: Header=BB166_3 Depth=1
	s_load_dword s28, s[20:21], 0xc
	v_mov_b32_e32 v169, 0
	v_mov_b32_e32 v168, 0
	s_waitcnt lgkmcnt(0)
	s_and_b32 s28, s28, 0xffff
	v_mad_u32_u24 v3, v223, s28, v224
	s_mov_b32 s28, exec_lo
	v_and_b32_e32 v3, 31, v3
	v_add_co_u32 v3, vcc_lo, v37, v3
	v_add_co_ci_u32_e64 v4, null, 0, v38, vcc_lo
	v_cmpx_gt_i64_e64 s[8:9], v[3:4]
	s_cbranch_execz .LBB166_6
; %bb.5:                                ;   in Loop: Header=BB166_3 Depth=1
	v_lshlrev_b64 v[3:4], 2, v[3:4]
	v_add_co_u32 v3, vcc_lo, s16, v3
	v_add_co_ci_u32_e64 v4, null, s17, v4, vcc_lo
	global_load_dword v168, v[3:4], off
.LBB166_6:                              ;   in Loop: Header=BB166_3 Depth=1
	s_or_b32 exec_lo, exec_lo, s28
	v_mov_b32_e32 v33, v2
	v_cmp_gt_i64_e32 vcc_lo, s[8:9], v[37:38]
	v_mov_b32_e32 v3, v2
	v_mov_b32_e32 v4, v2
	;; [unrolled: 1-line block ×62, first 2 shown]
	s_and_b32 s29, s1, vcc_lo
	s_and_saveexec_b32 s28, s29
	s_cbranch_execz .LBB166_8
; %bb.7:                                ;   in Loop: Header=BB166_3 Depth=1
	v_add_co_u32 v3, vcc_lo, v41, v35
	v_add_co_ci_u32_e64 v4, null, v42, v36, vcc_lo
	v_add_co_u32 v5, vcc_lo, v43, v35
	v_add_co_ci_u32_e64 v6, null, v44, v36, vcc_lo
	global_load_ushort v3, v[3:4], off
	global_load_ushort v169, v[5:6], off
	v_mov_b32_e32 v4, v2
	v_mov_b32_e32 v5, v2
	;; [unrolled: 1-line block ×31, first 2 shown]
	s_waitcnt vmcnt(1)
	v_cvt_f32_f16_e32 v3, v3
	s_waitcnt vmcnt(0)
	v_cvt_f32_f16_e32 v169, v169
.LBB166_8:                              ;   in Loop: Header=BB166_3 Depth=1
	s_or_b32 exec_lo, exec_lo, s28
	v_add_co_u32 v170, vcc_lo, v37, 1
	v_add_co_ci_u32_e64 v171, null, 0, v38, vcc_lo
	v_cmp_gt_i64_e32 vcc_lo, s[8:9], v[170:171]
	v_mov_b32_e32 v170, 0
	v_mov_b32_e32 v171, 0
	s_and_b32 s29, s1, vcc_lo
	s_and_saveexec_b32 s28, s29
	s_cbranch_execz .LBB166_10
; %bb.9:                                ;   in Loop: Header=BB166_3 Depth=1
	v_add_co_u32 v171, vcc_lo, v163, v35
	v_add_co_ci_u32_e64 v172, null, v164, v36, vcc_lo
	v_add_co_u32 v173, vcc_lo, v165, v35
	v_add_co_ci_u32_e64 v174, null, v166, v36, vcc_lo
	global_load_ushort v4, v[171:172], off
	global_load_ushort v171, v[173:174], off
	s_waitcnt vmcnt(1)
	v_cvt_f32_f16_e32 v4, v4
	s_waitcnt vmcnt(0)
	v_cvt_f32_f16_e32 v171, v171
.LBB166_10:                             ;   in Loop: Header=BB166_3 Depth=1
	s_or_b32 exec_lo, exec_lo, s28
	v_add_co_u32 v172, vcc_lo, v37, 2
	v_add_co_ci_u32_e64 v173, null, 0, v38, vcc_lo
	v_cmp_gt_i64_e32 vcc_lo, s[8:9], v[172:173]
	s_and_b32 s29, s1, vcc_lo
	s_and_saveexec_b32 s28, s29
	s_cbranch_execz .LBB166_12
; %bb.11:                               ;   in Loop: Header=BB166_3 Depth=1
	v_add_co_u32 v172, vcc_lo, v159, v35
	v_add_co_ci_u32_e64 v173, null, v160, v36, vcc_lo
	v_add_co_u32 v174, vcc_lo, v161, v35
	v_add_co_ci_u32_e64 v175, null, v162, v36, vcc_lo
	global_load_ushort v5, v[172:173], off
	global_load_ushort v170, v[174:175], off
	s_waitcnt vmcnt(1)
	v_cvt_f32_f16_e32 v5, v5
	s_waitcnt vmcnt(0)
	v_cvt_f32_f16_e32 v170, v170
.LBB166_12:                             ;   in Loop: Header=BB166_3 Depth=1
	s_or_b32 exec_lo, exec_lo, s28
	v_add_co_u32 v172, vcc_lo, v37, 3
	v_add_co_ci_u32_e64 v173, null, 0, v38, vcc_lo
	v_cmp_gt_i64_e32 vcc_lo, s[8:9], v[172:173]
	v_mov_b32_e32 v172, 0
	v_mov_b32_e32 v173, 0
	s_and_b32 s29, s1, vcc_lo
	s_and_saveexec_b32 s28, s29
	s_cbranch_execz .LBB166_14
; %bb.13:                               ;   in Loop: Header=BB166_3 Depth=1
	v_add_co_u32 v173, vcc_lo, v155, v35
	v_add_co_ci_u32_e64 v174, null, v156, v36, vcc_lo
	v_add_co_u32 v175, vcc_lo, v157, v35
	v_add_co_ci_u32_e64 v176, null, v158, v36, vcc_lo
	global_load_ushort v6, v[173:174], off
	global_load_ushort v173, v[175:176], off
	s_waitcnt vmcnt(1)
	v_cvt_f32_f16_e32 v6, v6
	s_waitcnt vmcnt(0)
	v_cvt_f32_f16_e32 v173, v173
.LBB166_14:                             ;   in Loop: Header=BB166_3 Depth=1
	s_or_b32 exec_lo, exec_lo, s28
	v_add_co_u32 v174, vcc_lo, v37, 4
	v_add_co_ci_u32_e64 v175, null, 0, v38, vcc_lo
	v_cmp_gt_i64_e32 vcc_lo, s[8:9], v[174:175]
	s_and_b32 s29, s1, vcc_lo
	s_and_saveexec_b32 s28, s29
	s_cbranch_execz .LBB166_16
; %bb.15:                               ;   in Loop: Header=BB166_3 Depth=1
	v_add_co_u32 v174, vcc_lo, v151, v35
	v_add_co_ci_u32_e64 v175, null, v152, v36, vcc_lo
	v_add_co_u32 v176, vcc_lo, v153, v35
	v_add_co_ci_u32_e64 v177, null, v154, v36, vcc_lo
	global_load_ushort v7, v[174:175], off
	global_load_ushort v172, v[176:177], off
	s_waitcnt vmcnt(1)
	v_cvt_f32_f16_e32 v7, v7
	s_waitcnt vmcnt(0)
	v_cvt_f32_f16_e32 v172, v172
.LBB166_16:                             ;   in Loop: Header=BB166_3 Depth=1
	s_or_b32 exec_lo, exec_lo, s28
	v_add_co_u32 v174, vcc_lo, v37, 5
	v_add_co_ci_u32_e64 v175, null, 0, v38, vcc_lo
	v_cmp_gt_i64_e32 vcc_lo, s[8:9], v[174:175]
	v_mov_b32_e32 v174, 0
	v_mov_b32_e32 v175, 0
	s_and_b32 s29, s1, vcc_lo
	s_and_saveexec_b32 s28, s29
	s_cbranch_execz .LBB166_18
; %bb.17:                               ;   in Loop: Header=BB166_3 Depth=1
	v_add_co_u32 v175, vcc_lo, v147, v35
	v_add_co_ci_u32_e64 v176, null, v148, v36, vcc_lo
	v_add_co_u32 v177, vcc_lo, v149, v35
	v_add_co_ci_u32_e64 v178, null, v150, v36, vcc_lo
	global_load_ushort v8, v[175:176], off
	global_load_ushort v175, v[177:178], off
	s_waitcnt vmcnt(1)
	v_cvt_f32_f16_e32 v8, v8
	s_waitcnt vmcnt(0)
	v_cvt_f32_f16_e32 v175, v175
.LBB166_18:                             ;   in Loop: Header=BB166_3 Depth=1
	;; [unrolled: 40-line block ×11, first 2 shown]
	s_or_b32 exec_lo, exec_lo, s28
	v_add_co_u32 v194, vcc_lo, v37, 24
	v_add_co_ci_u32_e64 v195, null, 0, v38, vcc_lo
	v_cmp_gt_i64_e32 vcc_lo, s[8:9], v[194:195]
	s_and_b32 s29, s1, vcc_lo
	s_and_saveexec_b32 s28, s29
	s_cbranch_execz .LBB166_56
; %bb.55:                               ;   in Loop: Header=BB166_3 Depth=1
	v_add_co_u32 v194, vcc_lo, v73, v35
	v_add_co_ci_u32_e64 v195, null, v74, v36, vcc_lo
	v_add_co_u32 v196, vcc_lo, v75, v35
	v_add_co_ci_u32_e64 v197, null, v76, v36, vcc_lo
	global_load_ushort v27, v[194:195], off
	global_load_ushort v192, v[196:197], off
	s_waitcnt vmcnt(1)
	v_cvt_f32_f16_e32 v27, v27
	s_waitcnt vmcnt(0)
	v_cvt_f32_f16_e32 v192, v192
.LBB166_56:                             ;   in Loop: Header=BB166_3 Depth=1
	s_or_b32 exec_lo, exec_lo, s28
	v_add_co_u32 v194, vcc_lo, v37, 25
	v_add_co_ci_u32_e64 v195, null, 0, v38, vcc_lo
	v_mov_b32_e32 v196, 0
	v_cmp_gt_i64_e32 vcc_lo, s[8:9], v[194:195]
	v_mov_b32_e32 v195, 0
	s_and_b32 s29, s1, vcc_lo
	s_and_saveexec_b32 s28, s29
	s_cbranch_execz .LBB166_58
; %bb.57:                               ;   in Loop: Header=BB166_3 Depth=1
	v_add_co_u32 v196, vcc_lo, v69, v35
	v_add_co_ci_u32_e64 v197, null, v70, v36, vcc_lo
	v_add_co_u32 v198, vcc_lo, v71, v35
	v_add_co_ci_u32_e64 v199, null, v72, v36, vcc_lo
	global_load_ushort v28, v[196:197], off
	global_load_ushort v194, v[198:199], off
	s_waitcnt vmcnt(1)
	v_cvt_f32_f16_e32 v28, v28
	s_waitcnt vmcnt(0)
	v_cvt_f32_f16_e32 v196, v194
.LBB166_58:                             ;   in Loop: Header=BB166_3 Depth=1
	s_or_b32 exec_lo, exec_lo, s28
	v_add_co_u32 v197, vcc_lo, v37, 26
	v_add_co_ci_u32_e64 v198, null, 0, v38, vcc_lo
	v_cmp_gt_i64_e32 vcc_lo, s[8:9], v[197:198]
	s_and_b32 s29, s1, vcc_lo
	s_and_saveexec_b32 s28, s29
	s_cbranch_execz .LBB166_60
; %bb.59:                               ;   in Loop: Header=BB166_3 Depth=1
	v_add_co_u32 v194, vcc_lo, v65, v35
	v_add_co_ci_u32_e64 v195, null, v66, v36, vcc_lo
	v_add_co_u32 v197, vcc_lo, v67, v35
	v_add_co_ci_u32_e64 v198, null, v68, v36, vcc_lo
	global_load_ushort v29, v[194:195], off
	global_load_ushort v194, v[197:198], off
	s_waitcnt vmcnt(1)
	v_cvt_f32_f16_e32 v29, v29
	s_waitcnt vmcnt(0)
	v_cvt_f32_f16_e32 v195, v194
.LBB166_60:                             ;   in Loop: Header=BB166_3 Depth=1
	s_or_b32 exec_lo, exec_lo, s28
	v_add_co_u32 v197, vcc_lo, v37, 27
	v_add_co_ci_u32_e64 v198, null, 0, v38, vcc_lo
	v_cmp_gt_i64_e32 vcc_lo, s[8:9], v[197:198]
	v_mov_b32_e32 v197, 0
	v_mov_b32_e32 v198, 0
	s_and_b32 s29, s1, vcc_lo
	s_and_saveexec_b32 s28, s29
	s_cbranch_execz .LBB166_62
; %bb.61:                               ;   in Loop: Header=BB166_3 Depth=1
	v_add_co_u32 v198, vcc_lo, v61, v35
	v_add_co_ci_u32_e64 v199, null, v62, v36, vcc_lo
	v_add_co_u32 v200, vcc_lo, v63, v35
	v_add_co_ci_u32_e64 v201, null, v64, v36, vcc_lo
	global_load_ushort v30, v[198:199], off
	global_load_ushort v194, v[200:201], off
	s_waitcnt vmcnt(1)
	v_cvt_f32_f16_e32 v30, v30
	s_waitcnt vmcnt(0)
	v_cvt_f32_f16_e32 v198, v194
.LBB166_62:                             ;   in Loop: Header=BB166_3 Depth=1
	s_or_b32 exec_lo, exec_lo, s28
	v_add_co_u32 v199, vcc_lo, v37, 28
	v_add_co_ci_u32_e64 v200, null, 0, v38, vcc_lo
	v_cmp_gt_i64_e32 vcc_lo, s[8:9], v[199:200]
	s_and_b32 s29, s1, vcc_lo
	s_and_saveexec_b32 s28, s29
	s_cbranch_execz .LBB166_64
; %bb.63:                               ;   in Loop: Header=BB166_3 Depth=1
	v_add_co_u32 v199, vcc_lo, v57, v35
	v_add_co_ci_u32_e64 v200, null, v58, v36, vcc_lo
	v_add_co_u32 v201, vcc_lo, v59, v35
	v_add_co_ci_u32_e64 v202, null, v60, v36, vcc_lo
	global_load_ushort v31, v[199:200], off
	global_load_ushort v194, v[201:202], off
	s_waitcnt vmcnt(1)
	v_cvt_f32_f16_e32 v31, v31
	s_waitcnt vmcnt(0)
	v_cvt_f32_f16_e32 v197, v194
.LBB166_64:                             ;   in Loop: Header=BB166_3 Depth=1
	s_or_b32 exec_lo, exec_lo, s28
	v_add_co_u32 v199, vcc_lo, v37, 29
	v_add_co_ci_u32_e64 v200, null, 0, v38, vcc_lo
	v_cmp_gt_i64_e32 vcc_lo, s[8:9], v[199:200]
	v_mov_b32_e32 v199, 0
	v_mov_b32_e32 v200, 0
	s_and_b32 s29, s1, vcc_lo
	s_and_saveexec_b32 s28, s29
	s_cbranch_execz .LBB166_66
; %bb.65:                               ;   in Loop: Header=BB166_3 Depth=1
	v_add_co_u32 v200, vcc_lo, v53, v35
	v_add_co_ci_u32_e64 v201, null, v54, v36, vcc_lo
	v_add_co_u32 v202, vcc_lo, v55, v35
	v_add_co_ci_u32_e64 v203, null, v56, v36, vcc_lo
	global_load_ushort v32, v[200:201], off
	global_load_ushort v194, v[202:203], off
	s_waitcnt vmcnt(1)
	v_cvt_f32_f16_e32 v32, v32
	s_waitcnt vmcnt(0)
	v_cvt_f32_f16_e32 v200, v194
.LBB166_66:                             ;   in Loop: Header=BB166_3 Depth=1
	s_or_b32 exec_lo, exec_lo, s28
	v_add_co_u32 v201, vcc_lo, v37, 30
	v_add_co_ci_u32_e64 v202, null, 0, v38, vcc_lo
	v_cmp_gt_i64_e32 vcc_lo, s[8:9], v[201:202]
	s_and_b32 s29, s1, vcc_lo
	s_and_saveexec_b32 s28, s29
	s_cbranch_execz .LBB166_68
; %bb.67:                               ;   in Loop: Header=BB166_3 Depth=1
	v_add_co_u32 v201, vcc_lo, v49, v35
	v_add_co_ci_u32_e64 v202, null, v50, v36, vcc_lo
	v_add_co_u32 v203, vcc_lo, v51, v35
	v_add_co_ci_u32_e64 v204, null, v52, v36, vcc_lo
	global_load_ushort v33, v[201:202], off
	global_load_ushort v194, v[203:204], off
	s_waitcnt vmcnt(1)
	v_cvt_f32_f16_e32 v33, v33
	s_waitcnt vmcnt(0)
	v_cvt_f32_f16_e32 v199, v194
.LBB166_68:                             ;   in Loop: Header=BB166_3 Depth=1
	s_or_b32 exec_lo, exec_lo, s28
	v_add_co_u32 v201, vcc_lo, v37, 31
	v_add_co_ci_u32_e64 v202, null, 0, v38, vcc_lo
	v_mov_b32_e32 v194, 0
	v_cmp_gt_i64_e32 vcc_lo, s[8:9], v[201:202]
	s_and_b32 s29, s1, vcc_lo
	s_and_saveexec_b32 s28, s29
	s_cbranch_execz .LBB166_70
; %bb.69:                               ;   in Loop: Header=BB166_3 Depth=1
	v_add_co_u32 v201, vcc_lo, v45, v35
	v_add_co_ci_u32_e64 v202, null, v46, v36, vcc_lo
	v_add_co_u32 v203, vcc_lo, v47, v35
	v_add_co_ci_u32_e64 v204, null, v48, v36, vcc_lo
	global_load_ushort v34, v[201:202], off
	global_load_ushort v194, v[203:204], off
	s_waitcnt vmcnt(1)
	v_cvt_f32_f16_e32 v34, v34
	s_waitcnt vmcnt(0)
	v_cvt_f32_f16_e32 v194, v194
.LBB166_70:                             ;   in Loop: Header=BB166_3 Depth=1
	s_or_b32 exec_lo, exec_lo, s28
	s_waitcnt vmcnt(0)
	ds_bpermute_b32 v201, v2, v168
	ds_bpermute_b32 v203, v2, v168 offset:4
	ds_bpermute_b32 v204, v2, v168 offset:8
	v_mul_f32_e32 v3, v169, v3
	ds_bpermute_b32 v169, v2, v168 offset:12
	v_mul_f32_e32 v4, v171, v4
	ds_bpermute_b32 v171, v2, v168 offset:16
	s_mov_b32 s28, 0
	s_waitcnt lgkmcnt(4)
	v_fma_f32 v202, v3, v201, v167
	v_mul_f32_e32 v3, v170, v5
	ds_bpermute_b32 v5, v2, v168 offset:20
	s_waitcnt lgkmcnt(4)
	v_fmac_f32_e32 v202, v4, v203
	v_mul_f32_e32 v4, v173, v6
	ds_bpermute_b32 v6, v2, v168 offset:24
	s_waitcnt lgkmcnt(4)
	v_fmac_f32_e32 v202, v3, v204
	;; [unrolled: 4-line block ×27, first 2 shown]
	v_mul_f32_e32 v4, v200, v32
	s_waitcnt lgkmcnt(3)
	v_fmac_f32_e32 v202, v6, v8
	s_waitcnt lgkmcnt(2)
	v_fmac_f32_e32 v202, v4, v9
	v_mul_f32_e32 v4, v199, v33
	s_waitcnt lgkmcnt(1)
	v_fmac_f32_e32 v202, v4, v5
.LBB166_71:                             ;   in Loop: Header=BB166_3 Depth=1
	s_and_b32 vcc_lo, exec_lo, s28
	s_cbranch_vccz .LBB166_137
; %bb.72:                               ;   in Loop: Header=BB166_3 Depth=1
	s_load_dword s28, s[20:21], 0x0
	s_waitcnt lgkmcnt(0)
	s_cmp_lt_u32 s6, s28
	s_cselect_b32 s28, 12, 18
	s_add_u32 s28, s20, s28
	s_addc_u32 s29, s21, 0
	global_load_ushort v3, v2, s[28:29]
	s_mov_b32 s28, exec_lo
	s_waitcnt vmcnt(0)
	v_mad_u32_u24 v3, v223, v3, v224
	v_and_b32_e32 v3, 31, v3
	v_add_co_u32 v3, vcc_lo, v37, v3
	v_add_co_ci_u32_e64 v4, null, 0, v38, vcc_lo
	v_mov_b32_e32 v38, 0
	v_mov_b32_e32 v37, 0
	v_cmpx_gt_i64_e64 s[8:9], v[3:4]
	s_cbranch_execz .LBB166_74
; %bb.73:                               ;   in Loop: Header=BB166_3 Depth=1
	v_lshlrev_b64 v[3:4], 2, v[3:4]
	v_add_co_u32 v3, vcc_lo, s16, v3
	v_add_co_ci_u32_e64 v4, null, s17, v4, vcc_lo
	global_load_dword v37, v[3:4], off
.LBB166_74:                             ;   in Loop: Header=BB166_3 Depth=1
	s_or_b32 exec_lo, exec_lo, s28
	v_mov_b32_e32 v33, v2
	v_mov_b32_e32 v3, v2
	;; [unrolled: 1-line block ×63, first 2 shown]
	s_and_saveexec_b32 s28, s1
	s_cbranch_execz .LBB166_76
; %bb.75:                               ;   in Loop: Header=BB166_3 Depth=1
	v_add_co_u32 v3, vcc_lo, v41, v35
	v_add_co_ci_u32_e64 v4, null, v42, v36, vcc_lo
	v_add_co_u32 v5, vcc_lo, v43, v35
	v_add_co_ci_u32_e64 v6, null, v44, v36, vcc_lo
	global_load_ushort v3, v[3:4], off
	global_load_ushort v38, v[5:6], off
	v_mov_b32_e32 v4, v2
	v_mov_b32_e32 v5, v2
	;; [unrolled: 1-line block ×31, first 2 shown]
	s_waitcnt vmcnt(1)
	v_cvt_f32_f16_e32 v3, v3
	s_waitcnt vmcnt(0)
	v_cvt_f32_f16_e32 v38, v38
.LBB166_76:                             ;   in Loop: Header=BB166_3 Depth=1
	s_or_b32 exec_lo, exec_lo, s28
	v_mov_b32_e32 v168, 0
	v_mov_b32_e32 v169, 0
	s_and_saveexec_b32 s28, s1
	s_cbranch_execz .LBB166_78
; %bb.77:                               ;   in Loop: Header=BB166_3 Depth=1
	v_add_co_u32 v169, vcc_lo, v163, v35
	v_add_co_ci_u32_e64 v170, null, v164, v36, vcc_lo
	v_add_co_u32 v171, vcc_lo, v165, v35
	v_add_co_ci_u32_e64 v172, null, v166, v36, vcc_lo
	global_load_ushort v4, v[169:170], off
	global_load_ushort v169, v[171:172], off
	s_waitcnt vmcnt(1)
	v_cvt_f32_f16_e32 v4, v4
	s_waitcnt vmcnt(0)
	v_cvt_f32_f16_e32 v169, v169
.LBB166_78:                             ;   in Loop: Header=BB166_3 Depth=1
	s_or_b32 exec_lo, exec_lo, s28
	s_and_saveexec_b32 s28, s1
	s_cbranch_execz .LBB166_80
; %bb.79:                               ;   in Loop: Header=BB166_3 Depth=1
	v_add_co_u32 v170, vcc_lo, v159, v35
	v_add_co_ci_u32_e64 v171, null, v160, v36, vcc_lo
	v_add_co_u32 v172, vcc_lo, v161, v35
	v_add_co_ci_u32_e64 v173, null, v162, v36, vcc_lo
	global_load_ushort v5, v[170:171], off
	global_load_ushort v168, v[172:173], off
	s_waitcnt vmcnt(1)
	v_cvt_f32_f16_e32 v5, v5
	s_waitcnt vmcnt(0)
	v_cvt_f32_f16_e32 v168, v168
.LBB166_80:                             ;   in Loop: Header=BB166_3 Depth=1
	s_or_b32 exec_lo, exec_lo, s28
	v_mov_b32_e32 v170, 0
	v_mov_b32_e32 v171, 0
	s_and_saveexec_b32 s28, s1
	s_cbranch_execz .LBB166_82
; %bb.81:                               ;   in Loop: Header=BB166_3 Depth=1
	v_add_co_u32 v171, vcc_lo, v155, v35
	v_add_co_ci_u32_e64 v172, null, v156, v36, vcc_lo
	v_add_co_u32 v173, vcc_lo, v157, v35
	v_add_co_ci_u32_e64 v174, null, v158, v36, vcc_lo
	global_load_ushort v6, v[171:172], off
	global_load_ushort v171, v[173:174], off
	s_waitcnt vmcnt(1)
	v_cvt_f32_f16_e32 v6, v6
	s_waitcnt vmcnt(0)
	v_cvt_f32_f16_e32 v171, v171
.LBB166_82:                             ;   in Loop: Header=BB166_3 Depth=1
	s_or_b32 exec_lo, exec_lo, s28
	s_and_saveexec_b32 s28, s1
	s_cbranch_execz .LBB166_84
; %bb.83:                               ;   in Loop: Header=BB166_3 Depth=1
	v_add_co_u32 v172, vcc_lo, v151, v35
	v_add_co_ci_u32_e64 v173, null, v152, v36, vcc_lo
	v_add_co_u32 v174, vcc_lo, v153, v35
	v_add_co_ci_u32_e64 v175, null, v154, v36, vcc_lo
	global_load_ushort v7, v[172:173], off
	global_load_ushort v170, v[174:175], off
	s_waitcnt vmcnt(1)
	v_cvt_f32_f16_e32 v7, v7
	s_waitcnt vmcnt(0)
	v_cvt_f32_f16_e32 v170, v170
.LBB166_84:                             ;   in Loop: Header=BB166_3 Depth=1
	;; [unrolled: 32-line block ×5, first 2 shown]
	s_or_b32 exec_lo, exec_lo, s28
	v_mov_b32_e32 v178, 0
	v_mov_b32_e32 v179, 0
	s_and_saveexec_b32 s28, s1
	s_cbranch_execz .LBB166_98
; %bb.97:                               ;   in Loop: Header=BB166_3 Depth=1
	v_add_co_u32 v179, vcc_lo, v123, v35
	v_add_co_ci_u32_e64 v180, null, v124, v36, vcc_lo
	v_add_co_u32 v181, vcc_lo, v125, v35
	v_add_co_ci_u32_e64 v182, null, v126, v36, vcc_lo
	global_load_ushort v14, v[179:180], off
	global_load_ushort v179, v[181:182], off
	s_waitcnt vmcnt(1)
	v_cvt_f32_f16_e32 v14, v14
	s_waitcnt vmcnt(0)
	v_cvt_f32_f16_e32 v179, v179
.LBB166_98:                             ;   in Loop: Header=BB166_3 Depth=1
	s_or_b32 exec_lo, exec_lo, s28
	s_and_saveexec_b32 s28, s1
	s_cbranch_execz .LBB166_100
; %bb.99:                               ;   in Loop: Header=BB166_3 Depth=1
	v_add_co_u32 v180, vcc_lo, v119, v35
	v_add_co_ci_u32_e64 v181, null, v120, v36, vcc_lo
	v_add_co_u32 v182, vcc_lo, v121, v35
	v_add_co_ci_u32_e64 v183, null, v122, v36, vcc_lo
	global_load_ushort v15, v[180:181], off
	global_load_ushort v178, v[182:183], off
	s_waitcnt vmcnt(1)
	v_cvt_f32_f16_e32 v15, v15
	s_waitcnt vmcnt(0)
	v_cvt_f32_f16_e32 v178, v178
.LBB166_100:                            ;   in Loop: Header=BB166_3 Depth=1
	s_or_b32 exec_lo, exec_lo, s28
	v_mov_b32_e32 v180, 0
	v_mov_b32_e32 v181, 0
	s_and_saveexec_b32 s28, s1
	s_cbranch_execz .LBB166_102
; %bb.101:                              ;   in Loop: Header=BB166_3 Depth=1
	v_add_co_u32 v181, vcc_lo, v115, v35
	v_add_co_ci_u32_e64 v182, null, v116, v36, vcc_lo
	v_add_co_u32 v183, vcc_lo, v117, v35
	v_add_co_ci_u32_e64 v184, null, v118, v36, vcc_lo
	global_load_ushort v16, v[181:182], off
	global_load_ushort v181, v[183:184], off
	s_waitcnt vmcnt(1)
	v_cvt_f32_f16_e32 v16, v16
	s_waitcnt vmcnt(0)
	v_cvt_f32_f16_e32 v181, v181
.LBB166_102:                            ;   in Loop: Header=BB166_3 Depth=1
	s_or_b32 exec_lo, exec_lo, s28
	s_and_saveexec_b32 s28, s1
	s_cbranch_execz .LBB166_104
; %bb.103:                              ;   in Loop: Header=BB166_3 Depth=1
	v_add_co_u32 v182, vcc_lo, v0, v35
	v_add_co_ci_u32_e64 v183, null, v1, v36, vcc_lo
	v_add_co_u32 v184, vcc_lo, v113, v35
	v_add_co_ci_u32_e64 v185, null, v114, v36, vcc_lo
	global_load_ushort v17, v[182:183], off
	global_load_ushort v180, v[184:185], off
	s_waitcnt vmcnt(1)
	v_cvt_f32_f16_e32 v17, v17
	s_waitcnt vmcnt(0)
	v_cvt_f32_f16_e32 v180, v180
.LBB166_104:                            ;   in Loop: Header=BB166_3 Depth=1
	s_or_b32 exec_lo, exec_lo, s28
	v_mov_b32_e32 v182, 0
	v_mov_b32_e32 v183, 0
	s_and_saveexec_b32 s28, s1
	s_cbranch_execz .LBB166_106
; %bb.105:                              ;   in Loop: Header=BB166_3 Depth=1
	v_add_co_u32 v183, vcc_lo, v109, v35
	v_add_co_ci_u32_e64 v184, null, v110, v36, vcc_lo
	v_add_co_u32 v185, vcc_lo, v111, v35
	v_add_co_ci_u32_e64 v186, null, v112, v36, vcc_lo
	global_load_ushort v18, v[183:184], off
	global_load_ushort v183, v[185:186], off
	s_waitcnt vmcnt(1)
	v_cvt_f32_f16_e32 v18, v18
	s_waitcnt vmcnt(0)
	v_cvt_f32_f16_e32 v183, v183
.LBB166_106:                            ;   in Loop: Header=BB166_3 Depth=1
	s_or_b32 exec_lo, exec_lo, s28
	s_and_saveexec_b32 s28, s1
	s_cbranch_execz .LBB166_108
; %bb.107:                              ;   in Loop: Header=BB166_3 Depth=1
	v_add_co_u32 v184, vcc_lo, v105, v35
	v_add_co_ci_u32_e64 v185, null, v106, v36, vcc_lo
	v_add_co_u32 v186, vcc_lo, v107, v35
	v_add_co_ci_u32_e64 v187, null, v108, v36, vcc_lo
	global_load_ushort v19, v[184:185], off
	global_load_ushort v182, v[186:187], off
	s_waitcnt vmcnt(1)
	v_cvt_f32_f16_e32 v19, v19
	s_waitcnt vmcnt(0)
	v_cvt_f32_f16_e32 v182, v182
.LBB166_108:                            ;   in Loop: Header=BB166_3 Depth=1
	;; [unrolled: 32-line block ×8, first 2 shown]
	s_or_b32 exec_lo, exec_lo, s28
	v_mov_b32_e32 v197, 0
	v_mov_b32_e32 v198, 0
	s_and_saveexec_b32 s28, s1
	s_cbranch_execnz .LBB166_139
; %bb.133:                              ;   in Loop: Header=BB166_3 Depth=1
	s_or_b32 exec_lo, exec_lo, s28
	s_and_saveexec_b32 s28, s1
	s_cbranch_execnz .LBB166_140
.LBB166_134:                            ;   in Loop: Header=BB166_3 Depth=1
	s_or_b32 exec_lo, exec_lo, s28
	v_mov_b32_e32 v194, 0
	s_and_saveexec_b32 s28, s1
	s_cbranch_execz .LBB166_136
.LBB166_135:                            ;   in Loop: Header=BB166_3 Depth=1
	v_add_co_u32 v199, vcc_lo, v45, v35
	v_add_co_ci_u32_e64 v200, null, v46, v36, vcc_lo
	v_add_co_u32 v201, vcc_lo, v47, v35
	v_add_co_ci_u32_e64 v202, null, v48, v36, vcc_lo
	global_load_ushort v34, v[199:200], off
	global_load_ushort v194, v[201:202], off
	s_waitcnt vmcnt(1)
	v_cvt_f32_f16_e32 v34, v34
	s_waitcnt vmcnt(0)
	v_cvt_f32_f16_e32 v194, v194
.LBB166_136:                            ;   in Loop: Header=BB166_3 Depth=1
	s_or_b32 exec_lo, exec_lo, s28
	s_waitcnt vmcnt(0)
	ds_bpermute_b32 v199, v2, v37
	ds_bpermute_b32 v200, v2, v37 offset:4
	ds_bpermute_b32 v201, v2, v37 offset:8
	v_mul_f32_e32 v3, v38, v3
	ds_bpermute_b32 v38, v2, v37 offset:12
	v_mul_f32_e32 v4, v169, v4
	ds_bpermute_b32 v169, v2, v37 offset:16
	s_waitcnt lgkmcnt(4)
	v_fmac_f32_e32 v167, v3, v199
	v_mul_f32_e32 v3, v168, v5
	ds_bpermute_b32 v5, v2, v37 offset:20
	s_waitcnt lgkmcnt(4)
	v_fmac_f32_e32 v167, v4, v200
	;; [unrolled: 4-line block ×27, first 2 shown]
	v_mul_f32_e32 v3, v195, v31
	s_waitcnt lgkmcnt(3)
	v_fmac_f32_e32 v167, v4, v7
	v_mul_f32_e32 v4, v198, v32
	s_waitcnt lgkmcnt(2)
	v_fmac_f32_e32 v167, v3, v8
	ds_bpermute_b32 v3, v2, v37 offset:124
	s_waitcnt lgkmcnt(2)
	v_fmac_f32_e32 v167, v4, v9
	v_mul_f32_e32 v4, v197, v33
	s_waitcnt lgkmcnt(1)
	v_fmac_f32_e32 v167, v4, v5
	v_mov_b32_e32 v202, v167
.LBB166_137:                            ;   in Loop: Header=BB166_3 Depth=1
	v_add_co_u32 v41, vcc_lo, v41, s2
	v_add_co_ci_u32_e64 v42, null, s3, v42, vcc_lo
	v_add_co_u32 v43, vcc_lo, v43, s2
	v_add_co_ci_u32_e64 v44, null, s3, v44, vcc_lo
	;; [unrolled: 2-line block ×61, first 2 shown]
	v_add_co_u32 v161, vcc_lo, v161, s2
	s_add_u32 s24, s24, s27
	v_add_co_ci_u32_e64 v162, null, s3, v162, vcc_lo
	v_add_co_u32 v163, vcc_lo, v163, s2
	v_mul_f32_e32 v4, v194, v34
	s_addc_u32 s25, s25, 0
	v_add_co_ci_u32_e64 v164, null, s3, v164, vcc_lo
	v_add_co_u32 v165, vcc_lo, v165, s2
	v_cmp_lt_i64_e64 s28, s[24:25], s[8:9]
	v_add_co_ci_u32_e64 v166, null, s3, v166, vcc_lo
	v_add_co_u32 v39, vcc_lo, v39, s27
	s_waitcnt lgkmcnt(0)
	v_fmac_f32_e32 v202, v4, v3
	v_add_co_ci_u32_e64 v40, null, 0, v40, vcc_lo
	s_add_u32 s22, s22, s27
	s_addc_u32 s23, 0, s23
	s_and_b32 vcc_lo, exec_lo, s28
	s_cbranch_vccz .LBB166_142
; %bb.138:                              ;   in Loop: Header=BB166_3 Depth=1
	v_mov_b32_e32 v167, v202
	s_branch .LBB166_3
.LBB166_139:                            ;   in Loop: Header=BB166_3 Depth=1
	v_add_co_u32 v198, vcc_lo, v53, v35
	v_add_co_ci_u32_e64 v199, null, v54, v36, vcc_lo
	v_add_co_u32 v200, vcc_lo, v55, v35
	v_add_co_ci_u32_e64 v201, null, v56, v36, vcc_lo
	global_load_ushort v32, v[198:199], off
	global_load_ushort v194, v[200:201], off
	s_waitcnt vmcnt(1)
	v_cvt_f32_f16_e32 v32, v32
	s_waitcnt vmcnt(0)
	v_cvt_f32_f16_e32 v198, v194
	s_or_b32 exec_lo, exec_lo, s28
	s_and_saveexec_b32 s28, s1
	s_cbranch_execz .LBB166_134
.LBB166_140:                            ;   in Loop: Header=BB166_3 Depth=1
	v_add_co_u32 v199, vcc_lo, v49, v35
	v_add_co_ci_u32_e64 v200, null, v50, v36, vcc_lo
	v_add_co_u32 v201, vcc_lo, v51, v35
	v_add_co_ci_u32_e64 v202, null, v52, v36, vcc_lo
	global_load_ushort v33, v[199:200], off
	global_load_ushort v194, v[201:202], off
	s_waitcnt vmcnt(1)
	v_cvt_f32_f16_e32 v33, v33
	s_waitcnt vmcnt(0)
	v_cvt_f32_f16_e32 v197, v194
	s_or_b32 exec_lo, exec_lo, s28
	v_mov_b32_e32 v194, 0
	s_and_saveexec_b32 s28, s1
	s_cbranch_execnz .LBB166_135
	s_branch .LBB166_136
.LBB166_141:
                                        ; implicit-def: $vgpr202
	s_load_dwordx2 s[2:3], s[4:5], 0x30
	s_branch .LBB166_143
.LBB166_142:
	s_load_dwordx2 s[2:3], s[4:5], 0x30
	s_cbranch_execnz .LBB166_219
.LBB166_143:
	v_mov_b32_e32 v202, 0
	s_andn2_b32 vcc_lo, exec_lo, s26
	s_cbranch_vccnz .LBB166_219
; %bb.144:
	v_lshlrev_b32_e32 v192, 5, v223
	v_lshlrev_b32_e32 v2, 6, v223
	s_add_u32 s20, s4, 64
	s_addc_u32 s21, s5, 0
	s_lshl_b64 s[22:23], s[18:19], 1
	v_add_co_u32 v0, s1, v192, s18
	v_add_co_ci_u32_e64 v1, null, 0, 0, s1
	v_add_co_u32 v4, s1, v2, s22
	v_add_co_ci_u32_e64 v5, null, 0, s23, s1
	v_mul_lo_u32 v6, s11, v0
	v_add_co_u32 v8, vcc_lo, v4, 2
	v_mul_lo_u32 v7, s10, v1
	v_add_co_ci_u32_e64 v9, null, 0, v5, vcc_lo
	v_mad_u64_u32 v[2:3], null, s10, v0, 0
	v_add_co_u32 v10, vcc_lo, v4, 4
	v_add_co_ci_u32_e64 v12, null, 0, v5, vcc_lo
	v_add_co_u32 v13, vcc_lo, v4, 6
	v_add_co_ci_u32_e64 v14, null, 0, v5, vcc_lo
	;; [unrolled: 2-line block ×4, first 2 shown]
	v_add3_u32 v3, v3, v7, v6
	v_add_co_u32 v6, vcc_lo, v4, 12
	v_mad_u64_u32 v[35:36], null, s10, v8, s[12:13]
	v_mul_lo_u32 v9, s10, v9
	v_mul_lo_u32 v11, s11, v8
	v_mad_u64_u32 v[49:50], null, s10, v8, s[14:15]
	v_add_co_ci_u32_e64 v7, null, 0, v5, vcc_lo
	v_add_co_u32 v23, vcc_lo, v4, 14
	v_mad_u64_u32 v[37:38], null, s10, v10, s[12:13]
	v_mul_lo_u32 v12, s10, v12
	v_mul_lo_u32 v15, s11, v10
	v_mad_u64_u32 v[53:54], null, s10, v10, s[14:15]
	v_add_co_ci_u32_e64 v24, null, 0, v5, vcc_lo
	v_add_co_u32 v26, vcc_lo, v4, 16
	v_add_co_ci_u32_e64 v27, null, 0, v5, vcc_lo
	v_mad_u64_u32 v[45:46], null, s10, v6, s[12:13]
	v_mul_lo_u32 v7, s10, v7
	v_mul_lo_u32 v25, s11, v6
	v_mad_u64_u32 v[63:64], null, s10, v6, s[14:15]
	v_add3_u32 v36, v11, v36, v9
	v_mad_u64_u32 v[47:48], null, s10, v23, s[12:13]
	v_mul_lo_u32 v24, s10, v24
	v_mul_lo_u32 v8, s11, v23
	v_add3_u32 v50, v11, v50, v9
	v_add_co_u32 v9, vcc_lo, v4, 18
	v_mad_u64_u32 v[65:66], null, s10, v23, s[14:15]
	v_add3_u32 v38, v15, v38, v12
	v_mad_u64_u32 v[51:52], null, s10, v26, s[12:13]
	v_add_co_ci_u32_e64 v10, null, 0, v5, vcc_lo
	v_mul_lo_u32 v11, s10, v27
	v_add3_u32 v54, v15, v54, v12
	v_mul_lo_u32 v12, s11, v26
	v_mad_u64_u32 v[67:68], null, s10, v26, s[14:15]
	v_add3_u32 v46, v25, v46, v7
	v_add3_u32 v64, v25, v64, v7
	v_add_co_u32 v7, vcc_lo, v4, 20
	v_mad_u64_u32 v[59:60], null, s10, v9, s[12:13]
	v_mul_lo_u32 v10, s10, v10
	v_mul_lo_u32 v6, s11, v9
	v_mad_u64_u32 v[69:70], null, s10, v9, s[14:15]
	v_add3_u32 v48, v8, v48, v24
	v_add3_u32 v66, v8, v66, v24
	v_add_co_ci_u32_e64 v8, null, 0, v5, vcc_lo
	v_add_co_u32 v9, vcc_lo, v4, 22
	v_add3_u32 v52, v12, v52, v11
	v_add3_u32 v68, v12, v68, v11
	v_add_co_ci_u32_e64 v11, null, 0, v5, vcc_lo
	v_mad_u64_u32 v[71:72], null, s10, v7, s[12:13]
	v_mul_lo_u32 v8, s10, v8
	v_mul_lo_u32 v12, s11, v7
	v_mad_u64_u32 v[73:74], null, s10, v7, s[14:15]
	v_add3_u32 v60, v6, v60, v10
	v_add3_u32 v70, v6, v70, v10
	v_mul_lo_u32 v6, s10, v11
	v_mul_lo_u32 v7, s11, v9
	v_mad_u64_u32 v[75:76], null, s10, v9, s[12:13]
	v_mad_u64_u32 v[77:78], null, s10, v9, s[14:15]
	v_add_co_u32 v9, vcc_lo, v4, 24
	v_add_co_ci_u32_e64 v10, null, 0, v5, vcc_lo
	v_add3_u32 v72, v12, v72, v8
	v_add3_u32 v74, v12, v74, v8
	v_add_co_u32 v8, vcc_lo, v4, 26
	v_add3_u32 v76, v7, v76, v6
	v_add3_u32 v78, v7, v78, v6
	v_mul_lo_u32 v6, s10, v10
	v_add_co_ci_u32_e64 v10, null, 0, v5, vcc_lo
	v_mul_lo_u32 v7, s11, v9
	v_mad_u64_u32 v[79:80], null, s10, v9, s[12:13]
	v_mad_u64_u32 v[81:82], null, s10, v9, s[14:15]
	v_mul_lo_u32 v9, s10, v10
	v_mul_lo_u32 v10, s11, v8
	v_mad_u64_u32 v[83:84], null, s10, v8, s[12:13]
	v_mad_u64_u32 v[85:86], null, s10, v8, s[14:15]
	v_add_co_u32 v8, vcc_lo, v4, 28
	v_add_co_ci_u32_e64 v11, null, 0, v5, vcc_lo
	v_add3_u32 v84, v10, v84, v9
	v_add3_u32 v80, v7, v80, v6
	v_add3_u32 v86, v10, v86, v9
	v_add_co_u32 v9, vcc_lo, v4, 30
	v_add_co_ci_u32_e64 v10, null, 0, v5, vcc_lo
	v_add3_u32 v82, v7, v82, v6
	v_mul_lo_u32 v6, s10, v11
	v_mul_lo_u32 v7, s11, v8
	v_mad_u64_u32 v[87:88], null, s10, v8, s[12:13]
	v_mad_u64_u32 v[89:90], null, s10, v8, s[14:15]
	v_mul_lo_u32 v8, s10, v10
	v_mul_lo_u32 v10, s11, v9
	v_mad_u64_u32 v[91:92], null, s10, v9, s[12:13]
	v_mad_u64_u32 v[93:94], null, s10, v9, s[14:15]
	v_add_co_u32 v9, vcc_lo, v4, 32
	v_add_co_ci_u32_e64 v11, null, 0, v5, vcc_lo
	v_add3_u32 v88, v7, v88, v6
	v_add3_u32 v90, v7, v90, v6
	v_mul_lo_u32 v7, s11, v9
	v_mul_lo_u32 v6, s10, v11
	v_mad_u64_u32 v[95:96], null, s10, v9, s[12:13]
	v_mad_u64_u32 v[97:98], null, s10, v9, s[14:15]
	v_add3_u32 v92, v10, v92, v8
	v_add3_u32 v94, v10, v94, v8
	v_mad_u64_u32 v[39:40], null, s10, v13, s[12:13]
	v_add3_u32 v96, v7, v96, v6
	v_mul_lo_u32 v17, s11, v13
	v_add3_u32 v98, v7, v98, v6
	v_add_co_u32 v6, vcc_lo, v4, 34
	v_add_co_ci_u32_e64 v7, null, 0, v5, vcc_lo
	v_mad_u64_u32 v[55:56], null, s10, v13, s[14:15]
	v_mul_lo_u32 v8, s11, v6
	v_mul_lo_u32 v7, s10, v7
	v_mad_u64_u32 v[99:100], null, s10, v6, s[12:13]
	v_mad_u64_u32 v[101:102], null, s10, v6, s[14:15]
	v_add_co_u32 v6, vcc_lo, v4, 36
	v_mul_lo_u32 v14, s10, v14
	v_mad_u64_u32 v[41:42], null, s10, v16, s[12:13]
	v_add3_u32 v100, v8, v100, v7
	v_add3_u32 v102, v8, v102, v7
	v_add_co_ci_u32_e64 v7, null, 0, v5, vcc_lo
	v_mul_lo_u32 v8, s11, v6
	v_mad_u64_u32 v[103:104], null, s10, v6, s[12:13]
	v_mul_lo_u32 v7, s10, v7
	v_mad_u64_u32 v[105:106], null, s10, v6, s[14:15]
	v_add_co_u32 v6, vcc_lo, v4, 38
	v_add3_u32 v40, v17, v40, v14
	v_add3_u32 v56, v17, v56, v14
	v_mul_lo_u32 v21, s11, v16
	v_add3_u32 v104, v8, v104, v7
	v_add3_u32 v106, v8, v106, v7
	v_add_co_ci_u32_e64 v7, null, 0, v5, vcc_lo
	v_mul_lo_u32 v8, s11, v6
	v_mad_u64_u32 v[107:108], null, s10, v6, s[12:13]
	v_mul_lo_u32 v7, s10, v7
	v_mad_u64_u32 v[109:110], null, s10, v6, s[14:15]
	v_add_co_u32 v6, vcc_lo, v4, 40
	v_mad_u64_u32 v[57:58], null, s10, v16, s[14:15]
	v_mul_lo_u32 v18, s10, v18
	v_add3_u32 v108, v8, v108, v7
	v_add3_u32 v110, v8, v110, v7
	v_add_co_ci_u32_e64 v7, null, 0, v5, vcc_lo
	v_mul_lo_u32 v8, s11, v6
	v_mad_u64_u32 v[111:112], null, s10, v6, s[12:13]
	v_mul_lo_u32 v7, s10, v7
	v_mad_u64_u32 v[113:114], null, s10, v6, s[14:15]
	v_add_co_u32 v6, vcc_lo, v4, 42
	v_mad_u64_u32 v[43:44], null, s10, v19, s[12:13]
	v_mul_lo_u32 v22, s11, v19
	v_add3_u32 v112, v8, v112, v7
	v_add3_u32 v114, v8, v114, v7
	v_add_co_ci_u32_e64 v7, null, 0, v5, vcc_lo
	v_mul_lo_u32 v8, s11, v6
	v_mad_u64_u32 v[115:116], null, s10, v6, s[12:13]
	v_mul_lo_u32 v7, s10, v7
	v_mad_u64_u32 v[117:118], null, s10, v6, s[14:15]
	v_add_co_u32 v6, vcc_lo, v4, 44
	v_add3_u32 v42, v21, v42, v18
	v_mad_u64_u32 v[61:62], null, s10, v19, s[14:15]
	v_add3_u32 v116, v8, v116, v7
	v_add3_u32 v118, v8, v118, v7
	v_add_co_ci_u32_e64 v7, null, 0, v5, vcc_lo
	v_mul_lo_u32 v8, s11, v6
	v_mad_u64_u32 v[119:120], null, s10, v6, s[12:13]
	v_mul_lo_u32 v7, s10, v7
	v_mad_u64_u32 v[121:122], null, s10, v6, s[14:15]
	v_add_co_u32 v6, vcc_lo, v4, 46
	v_add3_u32 v58, v21, v58, v18
	v_mul_lo_u32 v20, s10, v20
	s_load_dword s1, s[4:5], 0x44
	v_add3_u32 v120, v8, v120, v7
	v_add3_u32 v122, v8, v122, v7
	v_add_co_ci_u32_e64 v7, null, 0, v5, vcc_lo
	v_mul_lo_u32 v8, s11, v6
	v_mad_u64_u32 v[123:124], null, s10, v6, s[12:13]
	v_mul_lo_u32 v7, s10, v7
	v_mad_u64_u32 v[125:126], null, s10, v6, s[14:15]
	v_add_co_u32 v6, vcc_lo, v4, 48
	v_add3_u32 v44, v22, v44, v20
	v_add3_u32 v62, v22, v62, v20
	v_mov_b32_e32 v203, 0
	v_add3_u32 v124, v8, v124, v7
	v_add3_u32 v126, v8, v126, v7
	v_add_co_ci_u32_e64 v7, null, 0, v5, vcc_lo
	v_mul_lo_u32 v8, s11, v6
	v_mad_u64_u32 v[127:128], null, s10, v6, s[12:13]
	v_mul_lo_u32 v7, s10, v7
	v_mad_u64_u32 v[129:130], null, s10, v6, s[14:15]
	v_add_co_u32 v6, vcc_lo, v4, 50
	s_waitcnt lgkmcnt(0)
	s_lshl_b32 s1, s1, 5
	s_mov_b64 s[22:23], s[18:19]
	v_add3_u32 v128, v8, v128, v7
	v_add3_u32 v130, v8, v130, v7
	v_add_co_ci_u32_e64 v7, null, 0, v5, vcc_lo
	v_mul_lo_u32 v8, s11, v6
	v_mad_u64_u32 v[131:132], null, s10, v6, s[12:13]
	v_mul_lo_u32 v7, s10, v7
	v_mad_u64_u32 v[133:134], null, s10, v6, s[14:15]
	v_add_co_u32 v6, vcc_lo, v4, 52
	v_add3_u32 v132, v8, v132, v7
	v_add3_u32 v134, v8, v134, v7
	v_add_co_ci_u32_e64 v7, null, 0, v5, vcc_lo
	v_mul_lo_u32 v8, s11, v6
	v_mad_u64_u32 v[135:136], null, s10, v6, s[12:13]
	v_mul_lo_u32 v7, s10, v7
	v_mad_u64_u32 v[137:138], null, s10, v6, s[14:15]
	v_add_co_u32 v6, vcc_lo, v4, 54
	;; [unrolled: 8-line block ×5, first 2 shown]
	v_add3_u32 v148, v8, v148, v7
	v_add3_u32 v150, v8, v150, v7
	v_add_co_ci_u32_e64 v7, null, 0, v5, vcc_lo
	v_add_co_u32 v4, vcc_lo, v4, 62
	v_add_co_ci_u32_e64 v5, null, 0, v5, vcc_lo
	v_mul_lo_u32 v8, s11, v6
	v_mad_u64_u32 v[151:152], null, s10, v6, s[12:13]
	v_mad_u64_u32 v[153:154], null, s10, v6, s[14:15]
	v_mul_lo_u32 v5, s10, v5
	v_mul_lo_u32 v6, s11, v4
	v_mad_u64_u32 v[155:156], null, s10, v4, s[12:13]
	v_mad_u64_u32 v[157:158], null, s10, v4, s[14:15]
	v_mul_lo_u32 v7, s10, v7
	v_add_co_u32 v4, vcc_lo, v0, 31
	v_add3_u32 v156, v6, v156, v5
	v_add3_u32 v158, v6, v158, v5
	v_add_co_ci_u32_e64 v5, null, 0, v1, vcc_lo
	v_add3_u32 v152, v8, v152, v7
	v_add3_u32 v154, v8, v154, v7
	v_mul_lo_u32 v7, s11, v4
	v_mul_lo_u32 v6, s10, v5
	v_mad_u64_u32 v[4:5], null, s10, v4, 0
	v_add3_u32 v5, v5, v6, v7
	v_add_co_u32 v6, vcc_lo, v0, 30
	v_add_co_ci_u32_e64 v7, null, 0, v1, vcc_lo
	v_mul_lo_u32 v9, s11, v6
	v_mul_lo_u32 v8, s10, v7
	v_mad_u64_u32 v[6:7], null, s10, v6, 0
	v_add3_u32 v7, v7, v8, v9
	v_add_co_u32 v8, vcc_lo, v0, 29
	v_add_co_ci_u32_e64 v9, null, 0, v1, vcc_lo
	;; [unrolled: 6-line block ×15, first 2 shown]
	v_mul_lo_u32 v162, s11, v34
	v_mul_lo_u32 v161, s10, v159
	v_mad_u64_u32 v[159:160], null, s10, v34, 0
	v_add_co_u32 v34, vcc_lo, v0, 15
	v_mul_lo_u32 v164, s11, v34
	v_add3_u32 v160, v160, v161, v162
	v_add_co_ci_u32_e64 v161, null, 0, v1, vcc_lo
	v_mul_lo_u32 v163, s10, v161
	v_mad_u64_u32 v[161:162], null, s10, v34, 0
	v_add_co_u32 v34, vcc_lo, v0, 14
	v_mad_u64_u32 v[168:169], null, s10, v34, 0
	v_add3_u32 v162, v162, v163, v164
	v_add_co_ci_u32_e64 v163, null, 0, v1, vcc_lo
	v_mul_lo_u32 v164, s11, v34
	v_add_co_u32 v34, vcc_lo, v0, 13
	v_mul_lo_u32 v163, s10, v163
	v_mad_u64_u32 v[170:171], null, s10, v34, 0
	v_add3_u32 v169, v169, v163, v164
	v_add_co_ci_u32_e64 v163, null, 0, v1, vcc_lo
	v_mul_lo_u32 v164, s11, v34
	v_add_co_u32 v34, vcc_lo, v0, 12
	v_mul_lo_u32 v163, s10, v163
	;; [unrolled: 6-line block ×11, first 2 shown]
	v_mad_u64_u32 v[190:191], null, s10, v34, 0
	v_add3_u32 v189, v189, v163, v164
	v_add_co_ci_u32_e64 v163, null, 0, v1, vcc_lo
	v_add_co_u32 v0, vcc_lo, v0, 2
	v_add_co_ci_u32_e64 v1, null, 0, v1, vcc_lo
	v_mul_lo_u32 v164, s11, v34
	v_mul_lo_u32 v34, s11, v0
	v_mad_u64_u32 v[193:194], null, s10, v0, 0
	v_mul_lo_u32 v1, s10, v1
	v_mul_lo_u32 v163, s10, v163
	v_add_co_u32 v197, vcc_lo, v2, s10
	v_add_co_ci_u32_e64 v198, null, s11, v3, vcc_lo
	v_add3_u32 v194, v194, v1, v34
	v_lshlrev_b64 v[0:1], 1, v[2:3]
	v_add3_u32 v191, v191, v163, v164
	v_add_co_u32 v164, vcc_lo, s12, v0
	v_add_co_ci_u32_e64 v165, null, s13, v1, vcc_lo
	v_add_co_u32 v166, vcc_lo, s14, v0
	v_add_co_ci_u32_e64 v167, null, s15, v1, vcc_lo
	v_lshlrev_b64 v[0:1], 1, v[4:5]
	v_mov_b32_e32 v5, v192
	v_add_co_u32 v2, vcc_lo, s12, v0
	buffer_store_dword v2, off, s[36:39], 0 ; 4-byte Folded Spill
	v_add_co_ci_u32_e64 v2, null, s13, v1, vcc_lo
	v_add_co_u32 v0, vcc_lo, s14, v0
	buffer_store_dword v2, off, s[36:39], 0 offset:4 ; 4-byte Folded Spill
	buffer_store_dword v0, off, s[36:39], 0 offset:8 ; 4-byte Folded Spill
	v_add_co_ci_u32_e64 v0, null, s15, v1, vcc_lo
	buffer_store_dword v0, off, s[36:39], 0 offset:12 ; 4-byte Folded Spill
	v_lshlrev_b64 v[0:1], 1, v[6:7]
	v_add_co_u32 v2, vcc_lo, s12, v0
	buffer_store_dword v2, off, s[36:39], 0 offset:16 ; 4-byte Folded Spill
	v_add_co_ci_u32_e64 v2, null, s13, v1, vcc_lo
	v_add_co_u32 v0, vcc_lo, s14, v0
	buffer_store_dword v2, off, s[36:39], 0 offset:20 ; 4-byte Folded Spill
	buffer_store_dword v0, off, s[36:39], 0 offset:24 ; 4-byte Folded Spill
	v_add_co_ci_u32_e64 v0, null, s15, v1, vcc_lo
	buffer_store_dword v0, off, s[36:39], 0 offset:28 ; 4-byte Folded Spill
	v_lshlrev_b64 v[0:1], 1, v[8:9]
	v_add_co_u32 v2, vcc_lo, s12, v0
	buffer_store_dword v2, off, s[36:39], 0 offset:32 ; 4-byte Folded Spill
	;; [unrolled: 9-line block ×13, first 2 shown]
	v_add_co_ci_u32_e64 v2, null, s13, v1, vcc_lo
	v_add_co_u32 v0, vcc_lo, s14, v0
	buffer_store_dword v2, off, s[36:39], 0 offset:212 ; 4-byte Folded Spill
	buffer_store_dword v0, off, s[36:39], 0 offset:216 ; 4-byte Folded Spill
	v_add_co_ci_u32_e64 v0, null, s15, v1, vcc_lo
	buffer_store_dword v0, off, s[36:39], 0 offset:220 ; 4-byte Folded Spill
	v_lshlrev_b64 v[0:1], 1, v[32:33]
	v_add_co_u32 v2, vcc_lo, s12, v0
	v_add_co_ci_u32_e64 v225, null, s13, v1, vcc_lo
	v_add_co_u32 v226, vcc_lo, s14, v0
	v_add_co_ci_u32_e64 v227, null, s15, v1, vcc_lo
	v_lshlrev_b64 v[0:1], 1, v[159:160]
	buffer_store_dword v2, off, s[36:39], 0 offset:224 ; 4-byte Folded Spill
	v_add_co_u32 v228, vcc_lo, s12, v0
	v_add_co_ci_u32_e64 v229, null, s13, v1, vcc_lo
	v_add_co_u32 v230, vcc_lo, s14, v0
	v_add_co_ci_u32_e64 v231, null, s15, v1, vcc_lo
	v_lshlrev_b64 v[0:1], 1, v[161:162]
	v_add_co_u32 v232, vcc_lo, s12, v0
	v_add_co_ci_u32_e64 v233, null, s13, v1, vcc_lo
	v_add_co_u32 v234, vcc_lo, s14, v0
	v_add_co_ci_u32_e64 v235, null, s15, v1, vcc_lo
	v_lshlrev_b64 v[0:1], 1, v[168:169]
	;; [unrolled: 5-line block ×15, first 2 shown]
	v_add_co_u32 v197, vcc_lo, s12, v2
	v_add_co_ci_u32_e64 v198, null, s13, v3, vcc_lo
	v_add_co_u32 v199, vcc_lo, s14, v2
	v_mov_b32_e32 v2, 0
	v_add_co_ci_u32_e64 v200, null, s15, v3, vcc_lo
	v_add_nc_u32_e32 v3, s7, v224
	s_mul_i32 s7, s11, s1
	v_mov_b32_e32 v4, v2
	s_mul_hi_u32 s12, s10, s1
	v_mov_b32_e32 v201, v2
	s_add_i32 s13, s12, s7
	s_mul_i32 s12, s10, s1
	v_lshlrev_b64 v[159:160], 1, v[3:4]
	s_lshl_b64 s[12:13], s[12:13], 1
	s_mov_b64 s[14:15], 31
.LBB166_145:                            ; =>This Inner Loop Header: Depth=1
	s_add_u32 s24, s18, s14
	s_addc_u32 s25, 0, s15
	v_add_co_u32 v161, vcc_lo, s18, v5
	v_cmp_ge_i64_e64 s7, s[24:25], s[8:9]
	v_add_co_ci_u32_e64 v162, null, 0, v201, vcc_lo
	buffer_store_dword v5, off, s[36:39], 0 offset:228 ; 4-byte Folded Spill
                                        ; implicit-def: $vgpr202
	s_and_b32 vcc_lo, exec_lo, s7
	s_mov_b32 s7, -1
	s_cbranch_vccz .LBB166_213
; %bb.146:                              ;   in Loop: Header=BB166_145 Depth=1
	s_load_dword s7, s[20:21], 0xc
	v_mov_b32_e32 v202, 0
	v_mov_b32_e32 v204, 0
	s_waitcnt lgkmcnt(0)
	s_and_b32 s7, s7, 0xffff
	v_mad_u32_u24 v3, v223, s7, v224
	s_mov_b32 s7, exec_lo
	v_and_b32_e32 v3, 31, v3
	v_add_co_u32 v3, vcc_lo, v161, v3
	v_add_co_ci_u32_e64 v4, null, 0, v162, vcc_lo
	v_cmpx_gt_i64_e64 s[8:9], v[3:4]
	s_cbranch_execz .LBB166_148
; %bb.147:                              ;   in Loop: Header=BB166_145 Depth=1
	v_lshlrev_b64 v[3:4], 2, v[3:4]
	v_add_co_u32 v3, vcc_lo, s16, v3
	v_add_co_ci_u32_e64 v4, null, s17, v4, vcc_lo
	global_load_dword v204, v[3:4], off
.LBB166_148:                            ;   in Loop: Header=BB166_145 Depth=1
	s_or_b32 exec_lo, exec_lo, s7
	v_mov_b32_e32 v33, v2
	v_mov_b32_e32 v3, v2
	;; [unrolled: 1-line block ×63, first 2 shown]
	s_mov_b32 s7, exec_lo
	v_cmpx_gt_i64_e64 s[8:9], v[161:162]
	s_cbranch_execz .LBB166_150
; %bb.149:                              ;   in Loop: Header=BB166_145 Depth=1
	v_add_co_u32 v3, vcc_lo, v164, v159
	v_add_co_ci_u32_e64 v4, null, v165, v160, vcc_lo
	v_add_co_u32 v5, vcc_lo, v166, v159
	v_add_co_ci_u32_e64 v6, null, v167, v160, vcc_lo
	global_load_ushort v3, v[3:4], off
	global_load_ushort v202, v[5:6], off
	v_mov_b32_e32 v4, v2
	v_mov_b32_e32 v5, v2
	;; [unrolled: 1-line block ×31, first 2 shown]
	s_waitcnt vmcnt(1)
	v_cvt_f32_f16_e32 v3, v3
	s_waitcnt vmcnt(0)
	v_cvt_f32_f16_e32 v202, v202
.LBB166_150:                            ;   in Loop: Header=BB166_145 Depth=1
	s_or_b32 exec_lo, exec_lo, s7
	v_add_co_u32 v205, vcc_lo, v161, 1
	v_add_co_ci_u32_e64 v206, null, 0, v162, vcc_lo
	v_cmp_gt_i64_e32 vcc_lo, s[8:9], v[205:206]
	v_mov_b32_e32 v205, 0
	buffer_store_dword v205, off, s[36:39], 0 offset:232 ; 4-byte Folded Spill
	v_mov_b32_e32 v205, 0
	buffer_store_dword v205, off, s[36:39], 0 offset:236 ; 4-byte Folded Spill
	s_and_saveexec_b32 s7, vcc_lo
	s_cbranch_execz .LBB166_152
; %bb.151:                              ;   in Loop: Header=BB166_145 Depth=1
	v_add_co_u32 v205, vcc_lo, v197, v159
	v_add_co_ci_u32_e64 v206, null, v198, v160, vcc_lo
	v_add_co_u32 v207, vcc_lo, v199, v159
	v_add_co_ci_u32_e64 v208, null, v200, v160, vcc_lo
	global_load_ushort v4, v[205:206], off
	global_load_ushort v205, v[207:208], off
	s_waitcnt vmcnt(1)
	v_cvt_f32_f16_e32 v4, v4
	s_waitcnt vmcnt(0)
	v_cvt_f32_f16_e32 v205, v205
	buffer_store_dword v205, off, s[36:39], 0 offset:236 ; 4-byte Folded Spill
.LBB166_152:                            ;   in Loop: Header=BB166_145 Depth=1
	s_or_b32 exec_lo, exec_lo, s7
	v_add_co_u32 v205, vcc_lo, v161, 2
	v_add_co_ci_u32_e64 v206, null, 0, v162, vcc_lo
	s_mov_b32 s7, exec_lo
	v_cmpx_gt_i64_e64 s[8:9], v[205:206]
	s_cbranch_execz .LBB166_154
; %bb.153:                              ;   in Loop: Header=BB166_145 Depth=1
	v_add_co_u32 v205, vcc_lo, v193, v159
	v_add_co_ci_u32_e64 v206, null, v194, v160, vcc_lo
	v_add_co_u32 v207, vcc_lo, v195, v159
	v_add_co_ci_u32_e64 v208, null, v196, v160, vcc_lo
	global_load_ushort v5, v[205:206], off
	global_load_ushort v205, v[207:208], off
	s_waitcnt vmcnt(1)
	v_cvt_f32_f16_e32 v5, v5
	s_waitcnt vmcnt(0)
	v_cvt_f32_f16_e32 v205, v205
	buffer_store_dword v205, off, s[36:39], 0 offset:232 ; 4-byte Folded Spill
.LBB166_154:                            ;   in Loop: Header=BB166_145 Depth=1
	s_or_b32 exec_lo, exec_lo, s7
	v_add_co_u32 v205, vcc_lo, v161, 3
	v_add_co_ci_u32_e64 v206, null, 0, v162, vcc_lo
	v_cmp_gt_i64_e32 vcc_lo, s[8:9], v[205:206]
	v_mov_b32_e32 v205, 0
	buffer_store_dword v205, off, s[36:39], 0 offset:240 ; 4-byte Folded Spill
	v_mov_b32_e32 v205, 0
	buffer_store_dword v205, off, s[36:39], 0 offset:244 ; 4-byte Folded Spill
	s_and_saveexec_b32 s7, vcc_lo
	s_cbranch_execz .LBB166_156
; %bb.155:                              ;   in Loop: Header=BB166_145 Depth=1
	v_add_co_u32 v205, vcc_lo, v189, v159
	v_add_co_ci_u32_e64 v206, null, v190, v160, vcc_lo
	v_add_co_u32 v207, vcc_lo, v191, v159
	v_add_co_ci_u32_e64 v208, null, v192, v160, vcc_lo
	global_load_ushort v6, v[205:206], off
	global_load_ushort v205, v[207:208], off
	s_waitcnt vmcnt(1)
	v_cvt_f32_f16_e32 v6, v6
	s_waitcnt vmcnt(0)
	v_cvt_f32_f16_e32 v205, v205
	buffer_store_dword v205, off, s[36:39], 0 offset:244 ; 4-byte Folded Spill
.LBB166_156:                            ;   in Loop: Header=BB166_145 Depth=1
	s_or_b32 exec_lo, exec_lo, s7
	v_add_co_u32 v205, vcc_lo, v161, 4
	v_add_co_ci_u32_e64 v206, null, 0, v162, vcc_lo
	s_mov_b32 s7, exec_lo
	v_cmpx_gt_i64_e64 s[8:9], v[205:206]
	s_cbranch_execz .LBB166_158
; %bb.157:                              ;   in Loop: Header=BB166_145 Depth=1
	v_add_co_u32 v205, vcc_lo, v185, v159
	v_add_co_ci_u32_e64 v206, null, v186, v160, vcc_lo
	v_add_co_u32 v207, vcc_lo, v187, v159
	v_add_co_ci_u32_e64 v208, null, v188, v160, vcc_lo
	global_load_ushort v7, v[205:206], off
	global_load_ushort v205, v[207:208], off
	s_waitcnt vmcnt(1)
	v_cvt_f32_f16_e32 v7, v7
	s_waitcnt vmcnt(0)
	v_cvt_f32_f16_e32 v205, v205
	buffer_store_dword v205, off, s[36:39], 0 offset:240 ; 4-byte Folded Spill
.LBB166_158:                            ;   in Loop: Header=BB166_145 Depth=1
	;; [unrolled: 42-line block ×8, first 2 shown]
	s_or_b32 exec_lo, exec_lo, s7
	v_add_co_u32 v205, vcc_lo, v161, 17
	v_add_co_ci_u32_e64 v206, null, 0, v162, vcc_lo
	v_cmp_gt_i64_e32 vcc_lo, s[8:9], v[205:206]
	v_mov_b32_e32 v205, 0
	v_mov_b32_e32 v206, 0
	s_and_saveexec_b32 s7, vcc_lo
	s_cbranch_execz .LBB166_184
; %bb.183:                              ;   in Loop: Header=BB166_145 Depth=1
	buffer_load_dword v20, off, s[36:39], 0 offset:224 ; 4-byte Folded Reload
	s_waitcnt vmcnt(0)
	v_add_co_u32 v206, vcc_lo, v20, v159
	v_add_co_ci_u32_e64 v207, null, v225, v160, vcc_lo
	v_add_co_u32 v208, vcc_lo, v226, v159
	v_add_co_ci_u32_e64 v209, null, v227, v160, vcc_lo
	global_load_ushort v20, v[206:207], off
	global_load_ushort v206, v[208:209], off
	s_waitcnt vmcnt(1)
	v_cvt_f32_f16_e32 v20, v20
	s_waitcnt vmcnt(0)
	v_cvt_f32_f16_e32 v206, v206
.LBB166_184:                            ;   in Loop: Header=BB166_145 Depth=1
	s_or_b32 exec_lo, exec_lo, s7
	v_add_co_u32 v207, vcc_lo, v161, 18
	v_add_co_ci_u32_e64 v208, null, 0, v162, vcc_lo
	s_mov_b32 s7, exec_lo
	v_cmpx_gt_i64_e64 s[8:9], v[207:208]
	s_cbranch_execz .LBB166_186
; %bb.185:                              ;   in Loop: Header=BB166_145 Depth=1
	buffer_load_dword v21, off, s[36:39], 0 offset:208 ; 4-byte Folded Reload
	s_waitcnt vmcnt(0)
	v_add_co_u32 v207, vcc_lo, v21, v159
	buffer_load_dword v21, off, s[36:39], 0 offset:212 ; 4-byte Folded Reload
	s_waitcnt vmcnt(0)
	v_add_co_ci_u32_e64 v208, null, v21, v160, vcc_lo
	buffer_load_dword v21, off, s[36:39], 0 offset:216 ; 4-byte Folded Reload
	s_waitcnt vmcnt(0)
	v_add_co_u32 v209, vcc_lo, v21, v159
	buffer_load_dword v21, off, s[36:39], 0 offset:220 ; 4-byte Folded Reload
	s_waitcnt vmcnt(0)
	v_add_co_ci_u32_e64 v210, null, v21, v160, vcc_lo
	global_load_ushort v21, v[207:208], off
	global_load_ushort v205, v[209:210], off
	s_waitcnt vmcnt(1)
	v_cvt_f32_f16_e32 v21, v21
	s_waitcnt vmcnt(0)
	v_cvt_f32_f16_e32 v205, v205
.LBB166_186:                            ;   in Loop: Header=BB166_145 Depth=1
	s_or_b32 exec_lo, exec_lo, s7
	v_add_co_u32 v207, vcc_lo, v161, 19
	v_add_co_ci_u32_e64 v208, null, 0, v162, vcc_lo
	v_cmp_gt_i64_e32 vcc_lo, s[8:9], v[207:208]
	v_mov_b32_e32 v207, 0
	v_mov_b32_e32 v208, 0
	s_and_saveexec_b32 s7, vcc_lo
	s_cbranch_execz .LBB166_188
; %bb.187:                              ;   in Loop: Header=BB166_145 Depth=1
	buffer_load_dword v22, off, s[36:39], 0 offset:192 ; 4-byte Folded Reload
	s_waitcnt vmcnt(0)
	v_add_co_u32 v208, vcc_lo, v22, v159
	buffer_load_dword v22, off, s[36:39], 0 offset:196 ; 4-byte Folded Reload
	s_waitcnt vmcnt(0)
	v_add_co_ci_u32_e64 v209, null, v22, v160, vcc_lo
	buffer_load_dword v22, off, s[36:39], 0 offset:200 ; 4-byte Folded Reload
	s_waitcnt vmcnt(0)
	v_add_co_u32 v210, vcc_lo, v22, v159
	buffer_load_dword v22, off, s[36:39], 0 offset:204 ; 4-byte Folded Reload
	s_waitcnt vmcnt(0)
	v_add_co_ci_u32_e64 v211, null, v22, v160, vcc_lo
	global_load_ushort v22, v[208:209], off
	global_load_ushort v208, v[210:211], off
	s_waitcnt vmcnt(1)
	v_cvt_f32_f16_e32 v22, v22
	s_waitcnt vmcnt(0)
	v_cvt_f32_f16_e32 v208, v208
.LBB166_188:                            ;   in Loop: Header=BB166_145 Depth=1
	s_or_b32 exec_lo, exec_lo, s7
	v_add_co_u32 v209, vcc_lo, v161, 20
	v_add_co_ci_u32_e64 v210, null, 0, v162, vcc_lo
	s_mov_b32 s7, exec_lo
	v_cmpx_gt_i64_e64 s[8:9], v[209:210]
	s_cbranch_execz .LBB166_190
; %bb.189:                              ;   in Loop: Header=BB166_145 Depth=1
	buffer_load_dword v23, off, s[36:39], 0 offset:176 ; 4-byte Folded Reload
	s_waitcnt vmcnt(0)
	v_add_co_u32 v209, vcc_lo, v23, v159
	buffer_load_dword v23, off, s[36:39], 0 offset:180 ; 4-byte Folded Reload
	s_waitcnt vmcnt(0)
	v_add_co_ci_u32_e64 v210, null, v23, v160, vcc_lo
	buffer_load_dword v23, off, s[36:39], 0 offset:184 ; 4-byte Folded Reload
	s_waitcnt vmcnt(0)
	v_add_co_u32 v211, vcc_lo, v23, v159
	buffer_load_dword v23, off, s[36:39], 0 offset:188 ; 4-byte Folded Reload
	s_waitcnt vmcnt(0)
	v_add_co_ci_u32_e64 v212, null, v23, v160, vcc_lo
	global_load_ushort v23, v[209:210], off
	global_load_ushort v207, v[211:212], off
	s_waitcnt vmcnt(1)
	v_cvt_f32_f16_e32 v23, v23
	s_waitcnt vmcnt(0)
	v_cvt_f32_f16_e32 v207, v207
.LBB166_190:                            ;   in Loop: Header=BB166_145 Depth=1
	s_or_b32 exec_lo, exec_lo, s7
	v_add_co_u32 v209, vcc_lo, v161, 21
	v_add_co_ci_u32_e64 v210, null, 0, v162, vcc_lo
	v_cmp_gt_i64_e32 vcc_lo, s[8:9], v[209:210]
	v_mov_b32_e32 v209, 0
	v_mov_b32_e32 v210, 0
	s_and_saveexec_b32 s7, vcc_lo
	s_cbranch_execz .LBB166_192
; %bb.191:                              ;   in Loop: Header=BB166_145 Depth=1
	buffer_load_dword v24, off, s[36:39], 0 offset:160 ; 4-byte Folded Reload
	s_waitcnt vmcnt(0)
	v_add_co_u32 v210, vcc_lo, v24, v159
	buffer_load_dword v24, off, s[36:39], 0 offset:164 ; 4-byte Folded Reload
	s_waitcnt vmcnt(0)
	v_add_co_ci_u32_e64 v211, null, v24, v160, vcc_lo
	buffer_load_dword v24, off, s[36:39], 0 offset:168 ; 4-byte Folded Reload
	s_waitcnt vmcnt(0)
	v_add_co_u32 v212, vcc_lo, v24, v159
	buffer_load_dword v24, off, s[36:39], 0 offset:172 ; 4-byte Folded Reload
	s_waitcnt vmcnt(0)
	v_add_co_ci_u32_e64 v213, null, v24, v160, vcc_lo
	global_load_ushort v24, v[210:211], off
	global_load_ushort v210, v[212:213], off
	s_waitcnt vmcnt(1)
	v_cvt_f32_f16_e32 v24, v24
	s_waitcnt vmcnt(0)
	v_cvt_f32_f16_e32 v210, v210
.LBB166_192:                            ;   in Loop: Header=BB166_145 Depth=1
	;; [unrolled: 54-line block ×6, first 2 shown]
	s_or_b32 exec_lo, exec_lo, s7
	v_add_co_u32 v219, vcc_lo, v161, 30
	v_add_co_ci_u32_e64 v220, null, 0, v162, vcc_lo
	s_mov_b32 s7, exec_lo
	v_cmpx_gt_i64_e64 s[8:9], v[219:220]
	s_cbranch_execz .LBB166_210
; %bb.209:                              ;   in Loop: Header=BB166_145 Depth=1
	buffer_load_dword v33, off, s[36:39], 0 offset:16 ; 4-byte Folded Reload
	s_waitcnt vmcnt(0)
	v_add_co_u32 v219, vcc_lo, v33, v159
	buffer_load_dword v33, off, s[36:39], 0 offset:20 ; 4-byte Folded Reload
	s_waitcnt vmcnt(0)
	v_add_co_ci_u32_e64 v220, null, v33, v160, vcc_lo
	buffer_load_dword v33, off, s[36:39], 0 offset:24 ; 4-byte Folded Reload
	s_waitcnt vmcnt(0)
	v_add_co_u32 v221, vcc_lo, v33, v159
	buffer_load_dword v33, off, s[36:39], 0 offset:28 ; 4-byte Folded Reload
	s_waitcnt vmcnt(0)
	v_add_co_ci_u32_e64 v222, null, v33, v160, vcc_lo
	global_load_ushort v33, v[219:220], off
	global_load_ushort v217, v[221:222], off
	s_waitcnt vmcnt(1)
	v_cvt_f32_f16_e32 v33, v33
	s_waitcnt vmcnt(0)
	v_cvt_f32_f16_e32 v217, v217
.LBB166_210:                            ;   in Loop: Header=BB166_145 Depth=1
	s_or_b32 exec_lo, exec_lo, s7
	v_add_co_u32 v219, vcc_lo, v161, 31
	v_add_co_ci_u32_e64 v220, null, 0, v162, vcc_lo
	v_cmp_gt_i64_e32 vcc_lo, s[8:9], v[219:220]
	v_mov_b32_e32 v219, 0
	s_and_saveexec_b32 s7, vcc_lo
	s_cbranch_execz .LBB166_212
; %bb.211:                              ;   in Loop: Header=BB166_145 Depth=1
	buffer_load_dword v34, off, s[36:39], 0 ; 4-byte Folded Reload
	s_waitcnt vmcnt(0)
	v_add_co_u32 v219, vcc_lo, v34, v159
	buffer_load_dword v34, off, s[36:39], 0 offset:4 ; 4-byte Folded Reload
	s_waitcnt vmcnt(0)
	v_add_co_ci_u32_e64 v220, null, v34, v160, vcc_lo
	buffer_load_dword v34, off, s[36:39], 0 offset:8 ; 4-byte Folded Reload
	s_waitcnt vmcnt(0)
	v_add_co_u32 v221, vcc_lo, v34, v159
	buffer_load_dword v34, off, s[36:39], 0 offset:12 ; 4-byte Folded Reload
	s_waitcnt vmcnt(0)
	v_add_co_ci_u32_e64 v222, null, v34, v160, vcc_lo
	global_load_ushort v34, v[219:220], off
	global_load_ushort v219, v[221:222], off
	s_waitcnt vmcnt(1)
	v_cvt_f32_f16_e32 v34, v34
	s_waitcnt vmcnt(0)
	v_cvt_f32_f16_e32 v219, v219
.LBB166_212:                            ;   in Loop: Header=BB166_145 Depth=1
	s_or_b32 exec_lo, exec_lo, s7
	v_mul_f32_e32 v3, v202, v3
	s_waitcnt vmcnt(0)
	ds_bpermute_b32 v202, v2, v204
	s_mov_b32 s7, 0
	s_waitcnt lgkmcnt(0)
	v_fma_f32 v202, v3, v202, v203
	buffer_load_dword v3, off, s[36:39], 0 offset:236 ; 4-byte Folded Reload
	s_waitcnt vmcnt(0)
	v_mul_f32_e32 v3, v3, v4
	ds_bpermute_b32 v4, v2, v204 offset:4
	s_waitcnt lgkmcnt(0)
	v_fmac_f32_e32 v202, v3, v4
	buffer_load_dword v3, off, s[36:39], 0 offset:232 ; 4-byte Folded Reload
	ds_bpermute_b32 v4, v2, v204 offset:8
	s_waitcnt vmcnt(0)
	v_mul_f32_e32 v3, v3, v5
	v_mul_f32_e32 v5, v214, v28
	s_waitcnt lgkmcnt(0)
	v_fmac_f32_e32 v202, v3, v4
	buffer_load_dword v3, off, s[36:39], 0 offset:244 ; 4-byte Folded Reload
	ds_bpermute_b32 v4, v2, v204 offset:12
	s_waitcnt vmcnt(0)
	v_mul_f32_e32 v3, v3, v6
	ds_bpermute_b32 v6, v2, v204 offset:112
	s_waitcnt lgkmcnt(1)
	v_fmac_f32_e32 v202, v3, v4
	buffer_load_dword v3, off, s[36:39], 0 offset:240 ; 4-byte Folded Reload
	ds_bpermute_b32 v4, v2, v204 offset:16
	s_waitcnt vmcnt(0)
	v_mul_f32_e32 v3, v3, v7
	ds_bpermute_b32 v7, v2, v204 offset:120
	s_waitcnt lgkmcnt(1)
	v_fmac_f32_e32 v202, v3, v4
	buffer_load_dword v3, off, s[36:39], 0 offset:252 ; 4-byte Folded Reload
	ds_bpermute_b32 v4, v2, v204 offset:20
	s_waitcnt vmcnt(0)
	v_mul_f32_e32 v3, v3, v8
	v_mul_f32_e32 v8, v215, v31
	s_waitcnt lgkmcnt(0)
	v_fmac_f32_e32 v202, v3, v4
	buffer_load_dword v3, off, s[36:39], 0 offset:248 ; 4-byte Folded Reload
	ds_bpermute_b32 v4, v2, v204 offset:24
	s_waitcnt vmcnt(0)
	v_mul_f32_e32 v3, v3, v9
	s_waitcnt lgkmcnt(0)
	v_fmac_f32_e32 v202, v3, v4
	buffer_load_dword v3, off, s[36:39], 0 offset:260 ; 4-byte Folded Reload
	ds_bpermute_b32 v4, v2, v204 offset:28
	s_waitcnt vmcnt(0)
	;; [unrolled: 6-line block ×11, first 2 shown]
	v_mul_f32_e32 v3, v3, v19
	s_waitcnt lgkmcnt(0)
	v_fmac_f32_e32 v202, v3, v4
	ds_bpermute_b32 v4, v2, v204 offset:68
	v_mul_f32_e32 v3, v206, v20
	s_waitcnt lgkmcnt(0)
	v_fmac_f32_e32 v202, v3, v4
	ds_bpermute_b32 v4, v2, v204 offset:72
	;; [unrolled: 4-line block ×9, first 2 shown]
	ds_bpermute_b32 v4, v2, v204 offset:104
	s_waitcnt lgkmcnt(1)
	v_fmac_f32_e32 v202, v5, v3
	ds_bpermute_b32 v3, v2, v204 offset:108
	v_mul_f32_e32 v5, v213, v29
	s_waitcnt lgkmcnt(1)
	v_fmac_f32_e32 v202, v5, v4
	ds_bpermute_b32 v4, v2, v204 offset:116
	v_mul_f32_e32 v5, v216, v30
	;; [unrolled: 4-line block ×3, first 2 shown]
	v_fmac_f32_e32 v202, v8, v6
	v_mul_f32_e32 v6, v217, v33
	s_waitcnt lgkmcnt(1)
	v_fmac_f32_e32 v202, v5, v4
	v_mul_f32_e32 v4, v219, v34
	v_fmac_f32_e32 v202, v6, v7
	s_waitcnt lgkmcnt(0)
	v_fmac_f32_e32 v202, v4, v3
.LBB166_213:                            ;   in Loop: Header=BB166_145 Depth=1
	s_and_b32 vcc_lo, exec_lo, s7
	s_cbranch_vccz .LBB166_217
; %bb.214:                              ;   in Loop: Header=BB166_145 Depth=1
	s_load_dword s7, s[20:21], 0x0
	v_mov_b32_e32 v5, 0
	s_waitcnt lgkmcnt(0)
	s_cmp_lt_u32 s6, s7
	s_cselect_b32 s7, 12, 18
	s_add_u32 s24, s20, s7
	s_addc_u32 s25, s21, 0
	s_mov_b32 s7, exec_lo
	global_load_ushort v3, v2, s[24:25]
	s_waitcnt vmcnt(0)
	v_mad_u32_u24 v3, v223, v3, v224
	v_and_b32_e32 v3, 31, v3
	v_add_co_u32 v3, vcc_lo, v161, v3
	v_add_co_ci_u32_e64 v4, null, 0, v162, vcc_lo
	v_cmpx_gt_i64_e64 s[8:9], v[3:4]
	s_cbranch_execz .LBB166_216
; %bb.215:                              ;   in Loop: Header=BB166_145 Depth=1
	v_lshlrev_b64 v[3:4], 2, v[3:4]
	v_add_co_u32 v3, vcc_lo, s16, v3
	v_add_co_ci_u32_e64 v4, null, s17, v4, vcc_lo
	global_load_dword v5, v[3:4], off
.LBB166_216:                            ;   in Loop: Header=BB166_145 Depth=1
	s_or_b32 exec_lo, exec_lo, s7
	v_add_co_u32 v3, vcc_lo, v164, v159
	v_add_co_ci_u32_e64 v4, null, v165, v160, vcc_lo
	global_load_ushort v6, v[3:4], off
	v_add_co_u32 v3, vcc_lo, v166, v159
	v_add_co_ci_u32_e64 v4, null, v167, v160, vcc_lo
	global_load_ushort v3, v[3:4], off
	s_waitcnt vmcnt(1)
	v_cvt_f32_f16_e32 v4, v6
	s_waitcnt vmcnt(0)
	v_cvt_f32_f16_e32 v3, v3
	v_mul_f32_e32 v3, v4, v3
	ds_bpermute_b32 v4, v2, v5
	s_waitcnt lgkmcnt(0)
	v_fmac_f32_e32 v203, v3, v4
	v_add_co_u32 v3, vcc_lo, v35, v159
	v_add_co_ci_u32_e64 v4, null, v36, v160, vcc_lo
	global_load_ushort v6, v[3:4], off
	v_add_co_u32 v3, vcc_lo, v49, v159
	v_add_co_ci_u32_e64 v4, null, v50, v160, vcc_lo
	global_load_ushort v3, v[3:4], off
	s_waitcnt vmcnt(1)
	v_cvt_f32_f16_e32 v4, v6
	s_waitcnt vmcnt(0)
	v_cvt_f32_f16_e32 v3, v3
	v_mul_f32_e32 v3, v4, v3
	ds_bpermute_b32 v4, v2, v5 offset:4
	s_waitcnt lgkmcnt(0)
	v_fmac_f32_e32 v203, v3, v4
	v_add_co_u32 v3, vcc_lo, v37, v159
	v_add_co_ci_u32_e64 v4, null, v38, v160, vcc_lo
	global_load_ushort v6, v[3:4], off
	v_add_co_u32 v3, vcc_lo, v53, v159
	v_add_co_ci_u32_e64 v4, null, v54, v160, vcc_lo
	global_load_ushort v3, v[3:4], off
	s_waitcnt vmcnt(1)
	v_cvt_f32_f16_e32 v4, v6
	s_waitcnt vmcnt(0)
	v_cvt_f32_f16_e32 v3, v3
	v_mul_f32_e32 v3, v4, v3
	ds_bpermute_b32 v4, v2, v5 offset:8
	s_waitcnt lgkmcnt(0)
	v_fmac_f32_e32 v203, v3, v4
	v_add_co_u32 v3, vcc_lo, v39, v159
	v_add_co_ci_u32_e64 v4, null, v40, v160, vcc_lo
	global_load_ushort v6, v[3:4], off
	v_add_co_u32 v3, vcc_lo, v55, v159
	v_add_co_ci_u32_e64 v4, null, v56, v160, vcc_lo
	global_load_ushort v3, v[3:4], off
	s_waitcnt vmcnt(1)
	v_cvt_f32_f16_e32 v4, v6
	s_waitcnt vmcnt(0)
	v_cvt_f32_f16_e32 v3, v3
	v_mul_f32_e32 v3, v4, v3
	ds_bpermute_b32 v4, v2, v5 offset:12
	s_waitcnt lgkmcnt(0)
	v_fmac_f32_e32 v203, v3, v4
	v_add_co_u32 v3, vcc_lo, v41, v159
	v_add_co_ci_u32_e64 v4, null, v42, v160, vcc_lo
	global_load_ushort v6, v[3:4], off
	v_add_co_u32 v3, vcc_lo, v57, v159
	v_add_co_ci_u32_e64 v4, null, v58, v160, vcc_lo
	global_load_ushort v3, v[3:4], off
	s_waitcnt vmcnt(1)
	v_cvt_f32_f16_e32 v4, v6
	s_waitcnt vmcnt(0)
	v_cvt_f32_f16_e32 v3, v3
	v_mul_f32_e32 v3, v4, v3
	ds_bpermute_b32 v4, v2, v5 offset:16
	s_waitcnt lgkmcnt(0)
	v_fmac_f32_e32 v203, v3, v4
	v_add_co_u32 v3, vcc_lo, v43, v159
	v_add_co_ci_u32_e64 v4, null, v44, v160, vcc_lo
	global_load_ushort v6, v[3:4], off
	v_add_co_u32 v3, vcc_lo, v61, v159
	v_add_co_ci_u32_e64 v4, null, v62, v160, vcc_lo
	global_load_ushort v3, v[3:4], off
	s_waitcnt vmcnt(1)
	v_cvt_f32_f16_e32 v4, v6
	s_waitcnt vmcnt(0)
	v_cvt_f32_f16_e32 v3, v3
	v_mul_f32_e32 v3, v4, v3
	ds_bpermute_b32 v4, v2, v5 offset:20
	s_waitcnt lgkmcnt(0)
	v_fmac_f32_e32 v203, v3, v4
	v_add_co_u32 v3, vcc_lo, v45, v159
	v_add_co_ci_u32_e64 v4, null, v46, v160, vcc_lo
	global_load_ushort v6, v[3:4], off
	v_add_co_u32 v3, vcc_lo, v63, v159
	v_add_co_ci_u32_e64 v4, null, v64, v160, vcc_lo
	global_load_ushort v3, v[3:4], off
	s_waitcnt vmcnt(1)
	v_cvt_f32_f16_e32 v4, v6
	s_waitcnt vmcnt(0)
	v_cvt_f32_f16_e32 v3, v3
	v_mul_f32_e32 v3, v4, v3
	ds_bpermute_b32 v4, v2, v5 offset:24
	s_waitcnt lgkmcnt(0)
	v_fmac_f32_e32 v203, v3, v4
	v_add_co_u32 v3, vcc_lo, v47, v159
	v_add_co_ci_u32_e64 v4, null, v48, v160, vcc_lo
	global_load_ushort v6, v[3:4], off
	v_add_co_u32 v3, vcc_lo, v65, v159
	v_add_co_ci_u32_e64 v4, null, v66, v160, vcc_lo
	global_load_ushort v3, v[3:4], off
	s_waitcnt vmcnt(1)
	v_cvt_f32_f16_e32 v4, v6
	s_waitcnt vmcnt(0)
	v_cvt_f32_f16_e32 v3, v3
	v_mul_f32_e32 v3, v4, v3
	ds_bpermute_b32 v4, v2, v5 offset:28
	s_waitcnt lgkmcnt(0)
	v_fmac_f32_e32 v203, v3, v4
	v_add_co_u32 v3, vcc_lo, v51, v159
	v_add_co_ci_u32_e64 v4, null, v52, v160, vcc_lo
	global_load_ushort v6, v[3:4], off
	v_add_co_u32 v3, vcc_lo, v67, v159
	v_add_co_ci_u32_e64 v4, null, v68, v160, vcc_lo
	global_load_ushort v3, v[3:4], off
	s_waitcnt vmcnt(1)
	v_cvt_f32_f16_e32 v4, v6
	s_waitcnt vmcnt(0)
	v_cvt_f32_f16_e32 v3, v3
	v_mul_f32_e32 v3, v4, v3
	ds_bpermute_b32 v4, v2, v5 offset:32
	s_waitcnt lgkmcnt(0)
	v_fmac_f32_e32 v203, v3, v4
	v_add_co_u32 v3, vcc_lo, v59, v159
	v_add_co_ci_u32_e64 v4, null, v60, v160, vcc_lo
	global_load_ushort v6, v[3:4], off
	v_add_co_u32 v3, vcc_lo, v69, v159
	v_add_co_ci_u32_e64 v4, null, v70, v160, vcc_lo
	global_load_ushort v3, v[3:4], off
	s_waitcnt vmcnt(1)
	v_cvt_f32_f16_e32 v4, v6
	s_waitcnt vmcnt(0)
	v_cvt_f32_f16_e32 v3, v3
	v_mul_f32_e32 v3, v4, v3
	ds_bpermute_b32 v4, v2, v5 offset:36
	s_waitcnt lgkmcnt(0)
	v_fmac_f32_e32 v203, v3, v4
	v_add_co_u32 v3, vcc_lo, v71, v159
	v_add_co_ci_u32_e64 v4, null, v72, v160, vcc_lo
	global_load_ushort v6, v[3:4], off
	v_add_co_u32 v3, vcc_lo, v73, v159
	v_add_co_ci_u32_e64 v4, null, v74, v160, vcc_lo
	global_load_ushort v3, v[3:4], off
	s_waitcnt vmcnt(1)
	v_cvt_f32_f16_e32 v4, v6
	s_waitcnt vmcnt(0)
	v_cvt_f32_f16_e32 v3, v3
	v_mul_f32_e32 v3, v4, v3
	ds_bpermute_b32 v4, v2, v5 offset:40
	s_waitcnt lgkmcnt(0)
	v_fmac_f32_e32 v203, v3, v4
	v_add_co_u32 v3, vcc_lo, v75, v159
	v_add_co_ci_u32_e64 v4, null, v76, v160, vcc_lo
	global_load_ushort v6, v[3:4], off
	v_add_co_u32 v3, vcc_lo, v77, v159
	v_add_co_ci_u32_e64 v4, null, v78, v160, vcc_lo
	global_load_ushort v3, v[3:4], off
	s_waitcnt vmcnt(1)
	v_cvt_f32_f16_e32 v4, v6
	s_waitcnt vmcnt(0)
	v_cvt_f32_f16_e32 v3, v3
	v_mul_f32_e32 v3, v4, v3
	ds_bpermute_b32 v4, v2, v5 offset:44
	s_waitcnt lgkmcnt(0)
	v_fmac_f32_e32 v203, v3, v4
	v_add_co_u32 v3, vcc_lo, v79, v159
	v_add_co_ci_u32_e64 v4, null, v80, v160, vcc_lo
	global_load_ushort v6, v[3:4], off
	v_add_co_u32 v3, vcc_lo, v81, v159
	v_add_co_ci_u32_e64 v4, null, v82, v160, vcc_lo
	global_load_ushort v3, v[3:4], off
	s_waitcnt vmcnt(1)
	v_cvt_f32_f16_e32 v4, v6
	s_waitcnt vmcnt(0)
	v_cvt_f32_f16_e32 v3, v3
	v_mul_f32_e32 v3, v4, v3
	ds_bpermute_b32 v4, v2, v5 offset:48
	s_waitcnt lgkmcnt(0)
	v_fmac_f32_e32 v203, v3, v4
	v_add_co_u32 v3, vcc_lo, v83, v159
	v_add_co_ci_u32_e64 v4, null, v84, v160, vcc_lo
	global_load_ushort v6, v[3:4], off
	v_add_co_u32 v3, vcc_lo, v85, v159
	v_add_co_ci_u32_e64 v4, null, v86, v160, vcc_lo
	global_load_ushort v3, v[3:4], off
	s_waitcnt vmcnt(1)
	v_cvt_f32_f16_e32 v4, v6
	s_waitcnt vmcnt(0)
	v_cvt_f32_f16_e32 v3, v3
	v_mul_f32_e32 v3, v4, v3
	ds_bpermute_b32 v4, v2, v5 offset:52
	s_waitcnt lgkmcnt(0)
	v_fmac_f32_e32 v203, v3, v4
	v_add_co_u32 v3, vcc_lo, v87, v159
	v_add_co_ci_u32_e64 v4, null, v88, v160, vcc_lo
	global_load_ushort v6, v[3:4], off
	v_add_co_u32 v3, vcc_lo, v89, v159
	v_add_co_ci_u32_e64 v4, null, v90, v160, vcc_lo
	global_load_ushort v3, v[3:4], off
	s_waitcnt vmcnt(1)
	v_cvt_f32_f16_e32 v4, v6
	s_waitcnt vmcnt(0)
	v_cvt_f32_f16_e32 v3, v3
	v_mul_f32_e32 v3, v4, v3
	ds_bpermute_b32 v4, v2, v5 offset:56
	s_waitcnt lgkmcnt(0)
	v_fmac_f32_e32 v203, v3, v4
	v_add_co_u32 v3, vcc_lo, v91, v159
	v_add_co_ci_u32_e64 v4, null, v92, v160, vcc_lo
	global_load_ushort v6, v[3:4], off
	v_add_co_u32 v3, vcc_lo, v93, v159
	v_add_co_ci_u32_e64 v4, null, v94, v160, vcc_lo
	global_load_ushort v3, v[3:4], off
	s_waitcnt vmcnt(1)
	v_cvt_f32_f16_e32 v4, v6
	s_waitcnt vmcnt(0)
	v_cvt_f32_f16_e32 v3, v3
	v_mul_f32_e32 v3, v4, v3
	ds_bpermute_b32 v4, v2, v5 offset:60
	s_waitcnt lgkmcnt(0)
	v_fmac_f32_e32 v203, v3, v4
	v_add_co_u32 v3, vcc_lo, v95, v159
	v_add_co_ci_u32_e64 v4, null, v96, v160, vcc_lo
	global_load_ushort v6, v[3:4], off
	v_add_co_u32 v3, vcc_lo, v97, v159
	v_add_co_ci_u32_e64 v4, null, v98, v160, vcc_lo
	global_load_ushort v3, v[3:4], off
	s_waitcnt vmcnt(1)
	v_cvt_f32_f16_e32 v4, v6
	s_waitcnt vmcnt(0)
	v_cvt_f32_f16_e32 v3, v3
	v_mul_f32_e32 v3, v4, v3
	ds_bpermute_b32 v4, v2, v5 offset:64
	s_waitcnt lgkmcnt(0)
	v_fmac_f32_e32 v203, v3, v4
	v_add_co_u32 v3, vcc_lo, v99, v159
	v_add_co_ci_u32_e64 v4, null, v100, v160, vcc_lo
	global_load_ushort v6, v[3:4], off
	v_add_co_u32 v3, vcc_lo, v101, v159
	v_add_co_ci_u32_e64 v4, null, v102, v160, vcc_lo
	global_load_ushort v3, v[3:4], off
	s_waitcnt vmcnt(1)
	v_cvt_f32_f16_e32 v4, v6
	s_waitcnt vmcnt(0)
	v_cvt_f32_f16_e32 v3, v3
	v_mul_f32_e32 v3, v4, v3
	ds_bpermute_b32 v4, v2, v5 offset:68
	s_waitcnt lgkmcnt(0)
	v_fmac_f32_e32 v203, v3, v4
	v_add_co_u32 v3, vcc_lo, v103, v159
	v_add_co_ci_u32_e64 v4, null, v104, v160, vcc_lo
	global_load_ushort v6, v[3:4], off
	v_add_co_u32 v3, vcc_lo, v105, v159
	v_add_co_ci_u32_e64 v4, null, v106, v160, vcc_lo
	global_load_ushort v3, v[3:4], off
	s_waitcnt vmcnt(1)
	v_cvt_f32_f16_e32 v4, v6
	s_waitcnt vmcnt(0)
	v_cvt_f32_f16_e32 v3, v3
	v_mul_f32_e32 v3, v4, v3
	ds_bpermute_b32 v4, v2, v5 offset:72
	s_waitcnt lgkmcnt(0)
	v_fmac_f32_e32 v203, v3, v4
	v_add_co_u32 v3, vcc_lo, v107, v159
	v_add_co_ci_u32_e64 v4, null, v108, v160, vcc_lo
	global_load_ushort v6, v[3:4], off
	v_add_co_u32 v3, vcc_lo, v109, v159
	v_add_co_ci_u32_e64 v4, null, v110, v160, vcc_lo
	global_load_ushort v3, v[3:4], off
	s_waitcnt vmcnt(1)
	v_cvt_f32_f16_e32 v4, v6
	s_waitcnt vmcnt(0)
	v_cvt_f32_f16_e32 v3, v3
	v_mul_f32_e32 v3, v4, v3
	ds_bpermute_b32 v4, v2, v5 offset:76
	s_waitcnt lgkmcnt(0)
	v_fmac_f32_e32 v203, v3, v4
	v_add_co_u32 v3, vcc_lo, v111, v159
	v_add_co_ci_u32_e64 v4, null, v112, v160, vcc_lo
	global_load_ushort v6, v[3:4], off
	v_add_co_u32 v3, vcc_lo, v113, v159
	v_add_co_ci_u32_e64 v4, null, v114, v160, vcc_lo
	global_load_ushort v3, v[3:4], off
	s_waitcnt vmcnt(1)
	v_cvt_f32_f16_e32 v4, v6
	s_waitcnt vmcnt(0)
	v_cvt_f32_f16_e32 v3, v3
	v_mul_f32_e32 v3, v4, v3
	ds_bpermute_b32 v4, v2, v5 offset:80
	s_waitcnt lgkmcnt(0)
	v_fmac_f32_e32 v203, v3, v4
	v_add_co_u32 v3, vcc_lo, v115, v159
	v_add_co_ci_u32_e64 v4, null, v116, v160, vcc_lo
	global_load_ushort v6, v[3:4], off
	v_add_co_u32 v3, vcc_lo, v117, v159
	v_add_co_ci_u32_e64 v4, null, v118, v160, vcc_lo
	global_load_ushort v3, v[3:4], off
	s_waitcnt vmcnt(1)
	v_cvt_f32_f16_e32 v4, v6
	s_waitcnt vmcnt(0)
	v_cvt_f32_f16_e32 v3, v3
	v_mul_f32_e32 v3, v4, v3
	ds_bpermute_b32 v4, v2, v5 offset:84
	s_waitcnt lgkmcnt(0)
	v_fmac_f32_e32 v203, v3, v4
	v_add_co_u32 v3, vcc_lo, v119, v159
	v_add_co_ci_u32_e64 v4, null, v120, v160, vcc_lo
	global_load_ushort v6, v[3:4], off
	v_add_co_u32 v3, vcc_lo, v121, v159
	v_add_co_ci_u32_e64 v4, null, v122, v160, vcc_lo
	global_load_ushort v3, v[3:4], off
	s_waitcnt vmcnt(1)
	v_cvt_f32_f16_e32 v4, v6
	s_waitcnt vmcnt(0)
	v_cvt_f32_f16_e32 v3, v3
	v_mul_f32_e32 v3, v4, v3
	ds_bpermute_b32 v4, v2, v5 offset:88
	s_waitcnt lgkmcnt(0)
	v_fmac_f32_e32 v203, v3, v4
	v_add_co_u32 v3, vcc_lo, v123, v159
	v_add_co_ci_u32_e64 v4, null, v124, v160, vcc_lo
	global_load_ushort v6, v[3:4], off
	v_add_co_u32 v3, vcc_lo, v125, v159
	v_add_co_ci_u32_e64 v4, null, v126, v160, vcc_lo
	global_load_ushort v3, v[3:4], off
	s_waitcnt vmcnt(1)
	v_cvt_f32_f16_e32 v4, v6
	s_waitcnt vmcnt(0)
	v_cvt_f32_f16_e32 v3, v3
	v_mul_f32_e32 v3, v4, v3
	ds_bpermute_b32 v4, v2, v5 offset:92
	s_waitcnt lgkmcnt(0)
	v_fmac_f32_e32 v203, v3, v4
	v_add_co_u32 v3, vcc_lo, v127, v159
	v_add_co_ci_u32_e64 v4, null, v128, v160, vcc_lo
	global_load_ushort v6, v[3:4], off
	v_add_co_u32 v3, vcc_lo, v129, v159
	v_add_co_ci_u32_e64 v4, null, v130, v160, vcc_lo
	global_load_ushort v3, v[3:4], off
	s_waitcnt vmcnt(1)
	v_cvt_f32_f16_e32 v4, v6
	s_waitcnt vmcnt(0)
	v_cvt_f32_f16_e32 v3, v3
	v_mul_f32_e32 v3, v4, v3
	ds_bpermute_b32 v4, v2, v5 offset:96
	s_waitcnt lgkmcnt(0)
	v_fmac_f32_e32 v203, v3, v4
	v_add_co_u32 v3, vcc_lo, v131, v159
	v_add_co_ci_u32_e64 v4, null, v132, v160, vcc_lo
	global_load_ushort v6, v[3:4], off
	v_add_co_u32 v3, vcc_lo, v133, v159
	v_add_co_ci_u32_e64 v4, null, v134, v160, vcc_lo
	global_load_ushort v3, v[3:4], off
	s_waitcnt vmcnt(1)
	v_cvt_f32_f16_e32 v4, v6
	s_waitcnt vmcnt(0)
	v_cvt_f32_f16_e32 v3, v3
	v_mul_f32_e32 v3, v4, v3
	ds_bpermute_b32 v4, v2, v5 offset:100
	s_waitcnt lgkmcnt(0)
	v_fmac_f32_e32 v203, v3, v4
	v_add_co_u32 v3, vcc_lo, v135, v159
	v_add_co_ci_u32_e64 v4, null, v136, v160, vcc_lo
	global_load_ushort v6, v[3:4], off
	v_add_co_u32 v3, vcc_lo, v137, v159
	v_add_co_ci_u32_e64 v4, null, v138, v160, vcc_lo
	global_load_ushort v3, v[3:4], off
	s_waitcnt vmcnt(1)
	v_cvt_f32_f16_e32 v4, v6
	s_waitcnt vmcnt(0)
	v_cvt_f32_f16_e32 v3, v3
	v_mul_f32_e32 v3, v4, v3
	ds_bpermute_b32 v4, v2, v5 offset:104
	s_waitcnt lgkmcnt(0)
	v_fmac_f32_e32 v203, v3, v4
	v_add_co_u32 v3, vcc_lo, v139, v159
	v_add_co_ci_u32_e64 v4, null, v140, v160, vcc_lo
	global_load_ushort v6, v[3:4], off
	v_add_co_u32 v3, vcc_lo, v141, v159
	v_add_co_ci_u32_e64 v4, null, v142, v160, vcc_lo
	global_load_ushort v3, v[3:4], off
	s_waitcnt vmcnt(1)
	v_cvt_f32_f16_e32 v4, v6
	s_waitcnt vmcnt(0)
	v_cvt_f32_f16_e32 v3, v3
	v_mul_f32_e32 v3, v4, v3
	ds_bpermute_b32 v4, v2, v5 offset:108
	s_waitcnt lgkmcnt(0)
	v_fmac_f32_e32 v203, v3, v4
	v_add_co_u32 v3, vcc_lo, v143, v159
	v_add_co_ci_u32_e64 v4, null, v144, v160, vcc_lo
	global_load_ushort v6, v[3:4], off
	v_add_co_u32 v3, vcc_lo, v145, v159
	v_add_co_ci_u32_e64 v4, null, v146, v160, vcc_lo
	global_load_ushort v3, v[3:4], off
	s_waitcnt vmcnt(1)
	v_cvt_f32_f16_e32 v4, v6
	s_waitcnt vmcnt(0)
	v_cvt_f32_f16_e32 v3, v3
	v_mul_f32_e32 v3, v4, v3
	ds_bpermute_b32 v4, v2, v5 offset:112
	s_waitcnt lgkmcnt(0)
	v_fmac_f32_e32 v203, v3, v4
	v_add_co_u32 v3, vcc_lo, v147, v159
	v_add_co_ci_u32_e64 v4, null, v148, v160, vcc_lo
	global_load_ushort v6, v[3:4], off
	v_add_co_u32 v3, vcc_lo, v149, v159
	v_add_co_ci_u32_e64 v4, null, v150, v160, vcc_lo
	global_load_ushort v3, v[3:4], off
	s_waitcnt vmcnt(1)
	v_cvt_f32_f16_e32 v4, v6
	s_waitcnt vmcnt(0)
	v_cvt_f32_f16_e32 v3, v3
	v_mul_f32_e32 v3, v4, v3
	ds_bpermute_b32 v4, v2, v5 offset:116
	s_waitcnt lgkmcnt(0)
	v_fmac_f32_e32 v203, v3, v4
	v_add_co_u32 v3, vcc_lo, v151, v159
	v_add_co_ci_u32_e64 v4, null, v152, v160, vcc_lo
	global_load_ushort v6, v[3:4], off
	v_add_co_u32 v3, vcc_lo, v153, v159
	v_add_co_ci_u32_e64 v4, null, v154, v160, vcc_lo
	global_load_ushort v3, v[3:4], off
	s_waitcnt vmcnt(1)
	v_cvt_f32_f16_e32 v4, v6
	s_waitcnt vmcnt(0)
	v_cvt_f32_f16_e32 v3, v3
	v_mul_f32_e32 v3, v4, v3
	ds_bpermute_b32 v4, v2, v5 offset:120
	s_waitcnt lgkmcnt(0)
	v_fmac_f32_e32 v203, v3, v4
	v_add_co_u32 v3, vcc_lo, v155, v159
	v_add_co_ci_u32_e64 v4, null, v156, v160, vcc_lo
	global_load_ushort v6, v[3:4], off
	v_add_co_u32 v3, vcc_lo, v157, v159
	v_add_co_ci_u32_e64 v4, null, v158, v160, vcc_lo
	global_load_ushort v3, v[3:4], off
	s_waitcnt vmcnt(1)
	v_cvt_f32_f16_e32 v4, v6
	s_waitcnt vmcnt(0)
	v_cvt_f32_f16_e32 v3, v3
	v_mul_f32_e32 v3, v4, v3
	ds_bpermute_b32 v4, v2, v5 offset:124
	s_waitcnt lgkmcnt(0)
	v_fmac_f32_e32 v203, v3, v4
	v_mov_b32_e32 v202, v203
.LBB166_217:                            ;   in Loop: Header=BB166_145 Depth=1
	s_clause 0x1
	buffer_load_dword v5, off, s[36:39], 0 offset:228
	buffer_load_dword v3, off, s[36:39], 0
	v_add_co_u32 v164, vcc_lo, v164, s12
	v_add_co_ci_u32_e64 v165, null, s13, v165, vcc_lo
	v_add_co_u32 v166, vcc_lo, v166, s12
	v_add_co_ci_u32_e64 v167, null, s13, v167, vcc_lo
	;; [unrolled: 2-line block ×64, first 2 shown]
	s_add_u32 s22, s22, s1
	s_addc_u32 s23, s23, 0
	s_add_u32 s14, s14, s1
	v_cmp_ge_i64_e64 s7, s[22:23], s[8:9]
	s_addc_u32 s15, 0, s15
	s_waitcnt vmcnt(1)
	v_add_co_u32 v5, vcc_lo, v5, s1
	v_add_co_ci_u32_e64 v201, null, 0, v201, vcc_lo
	s_waitcnt vmcnt(0)
	v_add_co_u32 v3, vcc_lo, v3, s12
	buffer_store_dword v3, off, s[36:39], 0 ; 4-byte Folded Spill
	buffer_load_dword v3, off, s[36:39], 0 offset:4 ; 4-byte Folded Reload
	s_waitcnt vmcnt(0)
	v_add_co_ci_u32_e64 v3, null, s13, v3, vcc_lo
	buffer_store_dword v3, off, s[36:39], 0 offset:4 ; 4-byte Folded Spill
	buffer_load_dword v3, off, s[36:39], 0 offset:8 ; 4-byte Folded Reload
	s_waitcnt vmcnt(0)
	v_add_co_u32 v3, vcc_lo, v3, s12
	buffer_store_dword v3, off, s[36:39], 0 offset:8 ; 4-byte Folded Spill
	buffer_load_dword v3, off, s[36:39], 0 offset:12 ; 4-byte Folded Reload
	s_waitcnt vmcnt(0)
	v_add_co_ci_u32_e64 v3, null, s13, v3, vcc_lo
	buffer_store_dword v3, off, s[36:39], 0 offset:12 ; 4-byte Folded Spill
	buffer_load_dword v3, off, s[36:39], 0 offset:16 ; 4-byte Folded Reload
	s_waitcnt vmcnt(0)
	v_add_co_u32 v3, vcc_lo, v3, s12
	buffer_store_dword v3, off, s[36:39], 0 offset:16 ; 4-byte Folded Spill
	;; [unrolled: 8-line block ×27, first 2 shown]
	buffer_load_dword v3, off, s[36:39], 0 offset:220 ; 4-byte Folded Reload
	s_waitcnt vmcnt(0)
	v_add_co_ci_u32_e64 v3, null, s13, v3, vcc_lo
	buffer_store_dword v3, off, s[36:39], 0 offset:220 ; 4-byte Folded Spill
	buffer_load_dword v3, off, s[36:39], 0 offset:224 ; 4-byte Folded Reload
	s_waitcnt vmcnt(0)
	v_add_co_u32 v3, vcc_lo, v3, s12
	v_add_co_ci_u32_e64 v225, null, s13, v225, vcc_lo
	v_add_co_u32 v226, vcc_lo, v226, s12
	v_add_co_ci_u32_e64 v227, null, s13, v227, vcc_lo
	;; [unrolled: 2-line block ×34, first 2 shown]
	s_and_b32 vcc_lo, exec_lo, s7
	buffer_store_dword v3, off, s[36:39], 0 offset:224 ; 4-byte Folded Spill
	s_cbranch_vccnz .LBB166_219
; %bb.218:                              ;   in Loop: Header=BB166_145 Depth=1
	v_mov_b32_e32 v203, v202
	s_branch .LBB166_145
.LBB166_219:
	s_mov_b32 s7, 0
	s_lshl_b64 s[6:7], s[6:7], 6
	s_waitcnt lgkmcnt(0)
	s_cmp_lg_u64 s[2:3], 0
	v_or_b32_e32 v3, s6, v224
	v_mov_b32_e32 v4, s7
	s_cselect_b32 s1, -1, 0
	v_cmp_gt_i64_e32 vcc_lo, s[10:11], v[3:4]
	s_and_b32 s1, vcc_lo, s1
	s_and_saveexec_b32 s6, s1
	s_cbranch_execz .LBB166_221
; %bb.220:
	s_load_dword s1, s[4:5], 0x4c
	v_mov_b32_e32 v224, 0
	s_waitcnt lgkmcnt(0)
	s_lshr_b32 s1, s1, 16
	v_mad_u64_u32 v[0:1], null, s1, s0, v[223:224]
	v_mul_lo_u32 v2, v1, s10
	v_mul_lo_u32 v5, v0, s11
	v_mad_u64_u32 v[0:1], null, v0, s10, 0
	v_add3_u32 v1, v1, v5, v2
	v_lshlrev_b64 v[2:3], 1, v[3:4]
	v_cvt_f16_f32_e32 v4, v202
	v_lshlrev_b64 v[0:1], 1, v[0:1]
	v_add_co_u32 v0, vcc_lo, s2, v0
	v_add_co_ci_u32_e64 v1, null, s3, v1, vcc_lo
	v_add_co_u32 v0, vcc_lo, v0, v2
	v_add_co_ci_u32_e64 v1, null, v1, v3, vcc_lo
	global_store_short v[0:1], v4, off
.LBB166_221:
	s_endpgm
	.section	.rodata,"a",@progbits
	.p2align	6, 0x0
	.amdhsa_kernel _ZN2at6native12_GLOBAL__N_135GammaBetaBackwardCUDAKernelTemplateIN3c104HalfEfLj64ELj1ELj32ELb1ELb0ELb1EEEvllPKT_S7_PKT0_SA_PS5_SB_
		.amdhsa_group_segment_fixed_size 0
		.amdhsa_private_segment_fixed_size 300
		.amdhsa_kernarg_size 320
		.amdhsa_user_sgpr_count 6
		.amdhsa_user_sgpr_private_segment_buffer 1
		.amdhsa_user_sgpr_dispatch_ptr 0
		.amdhsa_user_sgpr_queue_ptr 0
		.amdhsa_user_sgpr_kernarg_segment_ptr 1
		.amdhsa_user_sgpr_dispatch_id 0
		.amdhsa_user_sgpr_flat_scratch_init 0
		.amdhsa_user_sgpr_private_segment_size 0
		.amdhsa_wavefront_size32 1
		.amdhsa_uses_dynamic_stack 0
		.amdhsa_system_sgpr_private_segment_wavefront_offset 1
		.amdhsa_system_sgpr_workgroup_id_x 1
		.amdhsa_system_sgpr_workgroup_id_y 1
		.amdhsa_system_sgpr_workgroup_id_z 0
		.amdhsa_system_sgpr_workgroup_info 0
		.amdhsa_system_vgpr_workitem_id 1
		.amdhsa_next_free_vgpr 256
		.amdhsa_next_free_sgpr 40
		.amdhsa_reserve_vcc 1
		.amdhsa_reserve_flat_scratch 0
		.amdhsa_float_round_mode_32 0
		.amdhsa_float_round_mode_16_64 0
		.amdhsa_float_denorm_mode_32 3
		.amdhsa_float_denorm_mode_16_64 3
		.amdhsa_dx10_clamp 1
		.amdhsa_ieee_mode 1
		.amdhsa_fp16_overflow 0
		.amdhsa_workgroup_processor_mode 1
		.amdhsa_memory_ordered 1
		.amdhsa_forward_progress 1
		.amdhsa_shared_vgpr_count 0
		.amdhsa_exception_fp_ieee_invalid_op 0
		.amdhsa_exception_fp_denorm_src 0
		.amdhsa_exception_fp_ieee_div_zero 0
		.amdhsa_exception_fp_ieee_overflow 0
		.amdhsa_exception_fp_ieee_underflow 0
		.amdhsa_exception_fp_ieee_inexact 0
		.amdhsa_exception_int_div_zero 0
	.end_amdhsa_kernel
	.section	.text._ZN2at6native12_GLOBAL__N_135GammaBetaBackwardCUDAKernelTemplateIN3c104HalfEfLj64ELj1ELj32ELb1ELb0ELb1EEEvllPKT_S7_PKT0_SA_PS5_SB_,"axG",@progbits,_ZN2at6native12_GLOBAL__N_135GammaBetaBackwardCUDAKernelTemplateIN3c104HalfEfLj64ELj1ELj32ELb1ELb0ELb1EEEvllPKT_S7_PKT0_SA_PS5_SB_,comdat
.Lfunc_end166:
	.size	_ZN2at6native12_GLOBAL__N_135GammaBetaBackwardCUDAKernelTemplateIN3c104HalfEfLj64ELj1ELj32ELb1ELb0ELb1EEEvllPKT_S7_PKT0_SA_PS5_SB_, .Lfunc_end166-_ZN2at6native12_GLOBAL__N_135GammaBetaBackwardCUDAKernelTemplateIN3c104HalfEfLj64ELj1ELj32ELb1ELb0ELb1EEEvllPKT_S7_PKT0_SA_PS5_SB_
                                        ; -- End function
	.set _ZN2at6native12_GLOBAL__N_135GammaBetaBackwardCUDAKernelTemplateIN3c104HalfEfLj64ELj1ELj32ELb1ELb0ELb1EEEvllPKT_S7_PKT0_SA_PS5_SB_.num_vgpr, 256
	.set _ZN2at6native12_GLOBAL__N_135GammaBetaBackwardCUDAKernelTemplateIN3c104HalfEfLj64ELj1ELj32ELb1ELb0ELb1EEEvllPKT_S7_PKT0_SA_PS5_SB_.num_agpr, 0
	.set _ZN2at6native12_GLOBAL__N_135GammaBetaBackwardCUDAKernelTemplateIN3c104HalfEfLj64ELj1ELj32ELb1ELb0ELb1EEEvllPKT_S7_PKT0_SA_PS5_SB_.numbered_sgpr, 40
	.set _ZN2at6native12_GLOBAL__N_135GammaBetaBackwardCUDAKernelTemplateIN3c104HalfEfLj64ELj1ELj32ELb1ELb0ELb1EEEvllPKT_S7_PKT0_SA_PS5_SB_.num_named_barrier, 0
	.set _ZN2at6native12_GLOBAL__N_135GammaBetaBackwardCUDAKernelTemplateIN3c104HalfEfLj64ELj1ELj32ELb1ELb0ELb1EEEvllPKT_S7_PKT0_SA_PS5_SB_.private_seg_size, 300
	.set _ZN2at6native12_GLOBAL__N_135GammaBetaBackwardCUDAKernelTemplateIN3c104HalfEfLj64ELj1ELj32ELb1ELb0ELb1EEEvllPKT_S7_PKT0_SA_PS5_SB_.uses_vcc, 1
	.set _ZN2at6native12_GLOBAL__N_135GammaBetaBackwardCUDAKernelTemplateIN3c104HalfEfLj64ELj1ELj32ELb1ELb0ELb1EEEvllPKT_S7_PKT0_SA_PS5_SB_.uses_flat_scratch, 0
	.set _ZN2at6native12_GLOBAL__N_135GammaBetaBackwardCUDAKernelTemplateIN3c104HalfEfLj64ELj1ELj32ELb1ELb0ELb1EEEvllPKT_S7_PKT0_SA_PS5_SB_.has_dyn_sized_stack, 0
	.set _ZN2at6native12_GLOBAL__N_135GammaBetaBackwardCUDAKernelTemplateIN3c104HalfEfLj64ELj1ELj32ELb1ELb0ELb1EEEvllPKT_S7_PKT0_SA_PS5_SB_.has_recursion, 0
	.set _ZN2at6native12_GLOBAL__N_135GammaBetaBackwardCUDAKernelTemplateIN3c104HalfEfLj64ELj1ELj32ELb1ELb0ELb1EEEvllPKT_S7_PKT0_SA_PS5_SB_.has_indirect_call, 0
	.section	.AMDGPU.csdata,"",@progbits
; Kernel info:
; codeLenInByte = 29448
; TotalNumSgprs: 42
; NumVgprs: 256
; ScratchSize: 300
; MemoryBound: 0
; FloatMode: 240
; IeeeMode: 1
; LDSByteSize: 0 bytes/workgroup (compile time only)
; SGPRBlocks: 0
; VGPRBlocks: 31
; NumSGPRsForWavesPerEU: 42
; NumVGPRsForWavesPerEU: 256
; Occupancy: 4
; WaveLimiterHint : 0
; COMPUTE_PGM_RSRC2:SCRATCH_EN: 1
; COMPUTE_PGM_RSRC2:USER_SGPR: 6
; COMPUTE_PGM_RSRC2:TRAP_HANDLER: 0
; COMPUTE_PGM_RSRC2:TGID_X_EN: 1
; COMPUTE_PGM_RSRC2:TGID_Y_EN: 1
; COMPUTE_PGM_RSRC2:TGID_Z_EN: 0
; COMPUTE_PGM_RSRC2:TIDIG_COMP_CNT: 1
	.section	.text._ZN2at6native12_GLOBAL__N_135GammaBetaBackwardCUDAKernelTemplateIN3c104HalfEfLj64ELj1ELj8ELb1ELb1ELb1EEEvllPKT_S7_PKT0_SA_PS5_SB_,"axG",@progbits,_ZN2at6native12_GLOBAL__N_135GammaBetaBackwardCUDAKernelTemplateIN3c104HalfEfLj64ELj1ELj8ELb1ELb1ELb1EEEvllPKT_S7_PKT0_SA_PS5_SB_,comdat
	.globl	_ZN2at6native12_GLOBAL__N_135GammaBetaBackwardCUDAKernelTemplateIN3c104HalfEfLj64ELj1ELj8ELb1ELb1ELb1EEEvllPKT_S7_PKT0_SA_PS5_SB_ ; -- Begin function _ZN2at6native12_GLOBAL__N_135GammaBetaBackwardCUDAKernelTemplateIN3c104HalfEfLj64ELj1ELj8ELb1ELb1ELb1EEEvllPKT_S7_PKT0_SA_PS5_SB_
	.p2align	8
	.type	_ZN2at6native12_GLOBAL__N_135GammaBetaBackwardCUDAKernelTemplateIN3c104HalfEfLj64ELj1ELj8ELb1ELb1ELb1EEEvllPKT_S7_PKT0_SA_PS5_SB_,@function
_ZN2at6native12_GLOBAL__N_135GammaBetaBackwardCUDAKernelTemplateIN3c104HalfEfLj64ELj1ELj8ELb1ELb1ELb1EEEvllPKT_S7_PKT0_SA_PS5_SB_: ; @_ZN2at6native12_GLOBAL__N_135GammaBetaBackwardCUDAKernelTemplateIN3c104HalfEfLj64ELj1ELj8ELb1ELb1ELb1EEEvllPKT_S7_PKT0_SA_PS5_SB_
; %bb.0:
	s_clause 0x1
	s_load_dwordx4 s[8:11], s[4:5], 0x0
	s_load_dwordx2 s[2:3], s[4:5], 0x30
	s_lshl_b32 s16, s7, 3
	s_mov_b32 s17, 0
	v_mov_b32_e32 v3, 0
	s_waitcnt lgkmcnt(0)
	v_cmp_le_i64_e64 s0, s[8:9], s[16:17]
	s_and_b32 vcc_lo, exec_lo, s0
	s_cbranch_vccnz .LBB167_8
; %bb.1:
	s_clause 0x3
	s_load_dword s0, s[4:5], 0x4c
	s_load_dword s1, s[4:5], 0x44
	s_load_dwordx4 s[12:15], s[4:5], 0x10
	s_load_dwordx2 s[20:21], s[4:5], 0x28
	v_lshlrev_b32_e32 v4, 3, v1
	v_mov_b32_e32 v3, 0
	v_lshl_or_b32 v2, s6, 6, v0
	v_mov_b32_e32 v8, 8
	v_mov_b32_e32 v9, 4
	v_add_co_u32 v4, s18, v4, s16
	v_add_co_ci_u32_e64 v5, null, 0, 0, s18
	v_lshlrev_b64 v[15:16], 1, v[2:3]
	v_mul_lo_u32 v17, s11, v4
	v_mov_b32_e32 v10, 12
	v_mul_lo_u32 v18, s10, v5
	v_mov_b32_e32 v11, 16
	v_mov_b32_e32 v12, 20
	;; [unrolled: 1-line block ×3, first 2 shown]
	s_waitcnt lgkmcnt(0)
	s_and_b32 s0, s0, 0xffff
	s_lshl_b32 s18, s1, 3
	v_mad_u32_u24 v6, v1, s0, v0
	s_mul_i32 s1, s11, s18
	s_mul_hi_u32 s22, s10, s18
	v_mov_b32_e32 v14, 28
	s_mov_b32 s19, s17
	v_and_b32_e32 v21, 31, v6
	v_mad_u64_u32 v[6:7], null, s10, v4, 0
	s_add_i32 s23, s22, s1
	s_mul_i32 s22, s10, s18
	v_add_co_u32 v4, vcc_lo, v4, v21
	v_add_co_ci_u32_e64 v5, null, 0, v5, vcc_lo
	v_add3_u32 v7, v7, v18, v17
	v_cmp_gt_u32_e64 s0, 8, v21
	s_lshl_b64 s[22:23], s[22:23], 1
	v_lshlrev_b64 v[17:18], 2, v[4:5]
	s_lshl_b64 s[24:25], s[10:11], 1
	v_lshlrev_b64 v[19:20], 1, v[6:7]
	v_add_co_u32 v6, vcc_lo, s20, v17
	v_add_co_ci_u32_e64 v7, null, s21, v18, vcc_lo
	v_add_co_u32 v2, vcc_lo, v19, v15
	v_add_co_ci_u32_e64 v15, null, v20, v16, vcc_lo
	v_mov_b32_e32 v16, 0
	s_lshl_b64 s[20:21], s[18:19], 2
	s_branch .LBB167_4
.LBB167_2:                              ;   in Loop: Header=BB167_4 Depth=1
	s_or_b32 exec_lo, exec_lo, s19
.LBB167_3:                              ;   in Loop: Header=BB167_4 Depth=1
	s_or_b32 exec_lo, exec_lo, s1
	v_add_co_u32 v18, vcc_lo, s12, v2
	v_add_co_ci_u32_e64 v19, null, s13, v15, vcc_lo
	v_add_co_u32 v20, vcc_lo, s14, v2
	v_add_co_ci_u32_e64 v21, null, s15, v15, vcc_lo
	;; [unrolled: 2-line block ×3, first 2 shown]
	global_load_ushort v28, v[18:19], off
	global_load_ushort v29, v[20:21], off
	;; [unrolled: 1-line block ×3, first 2 shown]
	v_add_co_u32 v18, vcc_lo, v20, s24
	v_add_co_ci_u32_e64 v19, null, s25, v21, vcc_lo
	v_add_co_u32 v20, vcc_lo, v22, s24
	v_add_co_ci_u32_e64 v21, null, s25, v23, vcc_lo
	;; [unrolled: 2-line block ×5, first 2 shown]
	global_load_ushort v31, v[18:19], off
	global_load_ushort v32, v[20:21], off
	global_load_ushort v33, v[22:23], off
	global_load_ushort v34, v[24:25], off
	global_load_ushort v35, v[26:27], off
	v_add_co_u32 v18, vcc_lo, v24, s24
	v_add_co_ci_u32_e64 v19, null, s25, v25, vcc_lo
	v_add_co_u32 v20, vcc_lo, v26, s24
	v_add_co_ci_u32_e64 v21, null, s25, v27, vcc_lo
	;; [unrolled: 2-line block ×5, first 2 shown]
	global_load_ushort v36, v[18:19], off
	global_load_ushort v37, v[20:21], off
	;; [unrolled: 1-line block ×5, first 2 shown]
	v_add_co_u32 v18, vcc_lo, v24, s24
	v_add_co_ci_u32_e64 v19, null, s25, v25, vcc_lo
	v_add_co_u32 v20, vcc_lo, v26, s24
	v_add_co_ci_u32_e64 v21, null, s25, v27, vcc_lo
	;; [unrolled: 2-line block ×3, first 2 shown]
	global_load_ushort v18, v[18:19], off
	global_load_ushort v19, v[20:21], off
	global_load_ushort v20, v[22:23], off
	s_waitcnt vmcnt(16)
	ds_bpermute_b32 v21, v3, v17
	ds_bpermute_b32 v22, v9, v17
	;; [unrolled: 1-line block ×4, first 2 shown]
	s_add_u32 s16, s16, s18
	v_add_co_u32 v6, vcc_lo, v6, s20
	s_addc_u32 s17, s17, 0
	v_add_co_ci_u32_e64 v7, null, s21, v7, vcc_lo
	v_add_co_u32 v4, vcc_lo, v4, s18
	v_cmp_lt_i64_e64 s1, s[16:17], s[8:9]
	v_add_co_ci_u32_e64 v5, null, 0, v5, vcc_lo
	v_add_co_u32 v2, vcc_lo, v2, s22
	v_add_co_ci_u32_e64 v15, null, s23, v15, vcc_lo
	s_and_b32 vcc_lo, exec_lo, s1
	s_waitcnt vmcnt(15)
	v_cvt_f32_f16_e32 v23, v28
	s_waitcnt vmcnt(14)
	v_cvt_f32_f16_e32 v24, v29
	;; [unrolled: 2-line block ×3, first 2 shown]
	v_mul_f32_e32 v23, v23, v24
	s_waitcnt lgkmcnt(3)
	v_fmac_f32_e32 v16, v23, v21
	s_waitcnt vmcnt(12)
	v_cvt_f32_f16_e32 v24, v31
	s_waitcnt vmcnt(11)
	v_cvt_f32_f16_e32 v28, v32
	;; [unrolled: 2-line block ×4, first 2 shown]
	v_mul_f32_e32 v21, v26, v24
	ds_bpermute_b32 v24, v11, v17
	ds_bpermute_b32 v26, v12, v17
	s_waitcnt lgkmcnt(4)
	v_fmac_f32_e32 v16, v21, v22
	v_mul_f32_e32 v21, v28, v23
	s_waitcnt vmcnt(8)
	v_cvt_f32_f16_e32 v22, v35
	ds_bpermute_b32 v23, v13, v17
	ds_bpermute_b32 v17, v14, v17
	s_waitcnt lgkmcnt(5)
	v_fmac_f32_e32 v16, v21, v25
	v_mul_f32_e32 v21, v29, v22
	s_waitcnt vmcnt(7)
	v_cvt_f32_f16_e32 v28, v36
	s_waitcnt vmcnt(6)
	v_cvt_f32_f16_e32 v22, v37
	s_waitcnt vmcnt(5)
	v_cvt_f32_f16_e32 v25, v38
	s_waitcnt vmcnt(4)
	v_cvt_f32_f16_e32 v29, v39
	s_waitcnt lgkmcnt(4)
	v_fmac_f32_e32 v16, v21, v27
	v_mul_f32_e32 v21, v28, v22
	s_waitcnt vmcnt(3)
	v_cvt_f32_f16_e32 v22, v40
	s_waitcnt lgkmcnt(3)
	v_fmac_f32_e32 v16, v21, v24
	v_mul_f32_e32 v21, v25, v29
	s_waitcnt vmcnt(2)
	v_cvt_f32_f16_e32 v18, v18
	s_waitcnt vmcnt(1)
	v_cvt_f32_f16_e32 v19, v19
	;; [unrolled: 2-line block ×3, first 2 shown]
	s_waitcnt lgkmcnt(2)
	v_fmac_f32_e32 v16, v21, v26
	v_mul_f32_e32 v18, v22, v18
	s_waitcnt lgkmcnt(1)
	v_fmac_f32_e32 v16, v18, v23
	v_mul_f32_e32 v18, v19, v20
	s_waitcnt lgkmcnt(0)
	v_fmac_f32_e32 v16, v18, v17
	s_cbranch_vccz .LBB167_7
.LBB167_4:                              ; =>This Inner Loop Header: Depth=1
	v_mov_b32_e32 v17, 0
	s_and_saveexec_b32 s1, s0
	s_cbranch_execz .LBB167_3
; %bb.5:                                ;   in Loop: Header=BB167_4 Depth=1
	v_mov_b32_e32 v17, 0
	s_mov_b32 s19, exec_lo
	v_cmpx_gt_i64_e64 s[8:9], v[4:5]
	s_cbranch_execz .LBB167_2
; %bb.6:                                ;   in Loop: Header=BB167_4 Depth=1
	global_load_dword v17, v[6:7], off
	s_branch .LBB167_2
.LBB167_7:
	v_cvt_f16_f32_e32 v3, v16
.LBB167_8:
	s_cmp_eq_u64 s[2:3], 0
	s_cbranch_scc1 .LBB167_10
; %bb.9:
	s_load_dword s0, s[4:5], 0x4c
	v_mov_b32_e32 v2, 0
	v_lshlrev_b32_e32 v0, 1, v0
	s_waitcnt lgkmcnt(0)
	s_lshr_b32 s0, s0, 16
	v_mad_u64_u32 v[1:2], null, s0, s7, v[1:2]
	s_mov_b32 s7, 0
	s_lshl_b64 s[0:1], s[6:7], 7
	v_mul_lo_u32 v4, v2, s10
	v_mul_lo_u32 v5, v1, s11
	v_mad_u64_u32 v[1:2], null, v1, s10, 0
	v_add3_u32 v2, v2, v5, v4
	v_lshlrev_b64 v[1:2], 1, v[1:2]
	v_add_co_u32 v1, vcc_lo, s2, v1
	v_add_co_ci_u32_e64 v2, null, s3, v2, vcc_lo
	v_add_co_u32 v1, vcc_lo, v1, s0
	v_add_co_ci_u32_e64 v2, null, s1, v2, vcc_lo
	;; [unrolled: 2-line block ×3, first 2 shown]
	global_store_short v[0:1], v3, off
.LBB167_10:
	s_endpgm
	.section	.rodata,"a",@progbits
	.p2align	6, 0x0
	.amdhsa_kernel _ZN2at6native12_GLOBAL__N_135GammaBetaBackwardCUDAKernelTemplateIN3c104HalfEfLj64ELj1ELj8ELb1ELb1ELb1EEEvllPKT_S7_PKT0_SA_PS5_SB_
		.amdhsa_group_segment_fixed_size 0
		.amdhsa_private_segment_fixed_size 0
		.amdhsa_kernarg_size 320
		.amdhsa_user_sgpr_count 6
		.amdhsa_user_sgpr_private_segment_buffer 1
		.amdhsa_user_sgpr_dispatch_ptr 0
		.amdhsa_user_sgpr_queue_ptr 0
		.amdhsa_user_sgpr_kernarg_segment_ptr 1
		.amdhsa_user_sgpr_dispatch_id 0
		.amdhsa_user_sgpr_flat_scratch_init 0
		.amdhsa_user_sgpr_private_segment_size 0
		.amdhsa_wavefront_size32 1
		.amdhsa_uses_dynamic_stack 0
		.amdhsa_system_sgpr_private_segment_wavefront_offset 0
		.amdhsa_system_sgpr_workgroup_id_x 1
		.amdhsa_system_sgpr_workgroup_id_y 1
		.amdhsa_system_sgpr_workgroup_id_z 0
		.amdhsa_system_sgpr_workgroup_info 0
		.amdhsa_system_vgpr_workitem_id 1
		.amdhsa_next_free_vgpr 41
		.amdhsa_next_free_sgpr 26
		.amdhsa_reserve_vcc 1
		.amdhsa_reserve_flat_scratch 0
		.amdhsa_float_round_mode_32 0
		.amdhsa_float_round_mode_16_64 0
		.amdhsa_float_denorm_mode_32 3
		.amdhsa_float_denorm_mode_16_64 3
		.amdhsa_dx10_clamp 1
		.amdhsa_ieee_mode 1
		.amdhsa_fp16_overflow 0
		.amdhsa_workgroup_processor_mode 1
		.amdhsa_memory_ordered 1
		.amdhsa_forward_progress 1
		.amdhsa_shared_vgpr_count 0
		.amdhsa_exception_fp_ieee_invalid_op 0
		.amdhsa_exception_fp_denorm_src 0
		.amdhsa_exception_fp_ieee_div_zero 0
		.amdhsa_exception_fp_ieee_overflow 0
		.amdhsa_exception_fp_ieee_underflow 0
		.amdhsa_exception_fp_ieee_inexact 0
		.amdhsa_exception_int_div_zero 0
	.end_amdhsa_kernel
	.section	.text._ZN2at6native12_GLOBAL__N_135GammaBetaBackwardCUDAKernelTemplateIN3c104HalfEfLj64ELj1ELj8ELb1ELb1ELb1EEEvllPKT_S7_PKT0_SA_PS5_SB_,"axG",@progbits,_ZN2at6native12_GLOBAL__N_135GammaBetaBackwardCUDAKernelTemplateIN3c104HalfEfLj64ELj1ELj8ELb1ELb1ELb1EEEvllPKT_S7_PKT0_SA_PS5_SB_,comdat
.Lfunc_end167:
	.size	_ZN2at6native12_GLOBAL__N_135GammaBetaBackwardCUDAKernelTemplateIN3c104HalfEfLj64ELj1ELj8ELb1ELb1ELb1EEEvllPKT_S7_PKT0_SA_PS5_SB_, .Lfunc_end167-_ZN2at6native12_GLOBAL__N_135GammaBetaBackwardCUDAKernelTemplateIN3c104HalfEfLj64ELj1ELj8ELb1ELb1ELb1EEEvllPKT_S7_PKT0_SA_PS5_SB_
                                        ; -- End function
	.set _ZN2at6native12_GLOBAL__N_135GammaBetaBackwardCUDAKernelTemplateIN3c104HalfEfLj64ELj1ELj8ELb1ELb1ELb1EEEvllPKT_S7_PKT0_SA_PS5_SB_.num_vgpr, 41
	.set _ZN2at6native12_GLOBAL__N_135GammaBetaBackwardCUDAKernelTemplateIN3c104HalfEfLj64ELj1ELj8ELb1ELb1ELb1EEEvllPKT_S7_PKT0_SA_PS5_SB_.num_agpr, 0
	.set _ZN2at6native12_GLOBAL__N_135GammaBetaBackwardCUDAKernelTemplateIN3c104HalfEfLj64ELj1ELj8ELb1ELb1ELb1EEEvllPKT_S7_PKT0_SA_PS5_SB_.numbered_sgpr, 26
	.set _ZN2at6native12_GLOBAL__N_135GammaBetaBackwardCUDAKernelTemplateIN3c104HalfEfLj64ELj1ELj8ELb1ELb1ELb1EEEvllPKT_S7_PKT0_SA_PS5_SB_.num_named_barrier, 0
	.set _ZN2at6native12_GLOBAL__N_135GammaBetaBackwardCUDAKernelTemplateIN3c104HalfEfLj64ELj1ELj8ELb1ELb1ELb1EEEvllPKT_S7_PKT0_SA_PS5_SB_.private_seg_size, 0
	.set _ZN2at6native12_GLOBAL__N_135GammaBetaBackwardCUDAKernelTemplateIN3c104HalfEfLj64ELj1ELj8ELb1ELb1ELb1EEEvllPKT_S7_PKT0_SA_PS5_SB_.uses_vcc, 1
	.set _ZN2at6native12_GLOBAL__N_135GammaBetaBackwardCUDAKernelTemplateIN3c104HalfEfLj64ELj1ELj8ELb1ELb1ELb1EEEvllPKT_S7_PKT0_SA_PS5_SB_.uses_flat_scratch, 0
	.set _ZN2at6native12_GLOBAL__N_135GammaBetaBackwardCUDAKernelTemplateIN3c104HalfEfLj64ELj1ELj8ELb1ELb1ELb1EEEvllPKT_S7_PKT0_SA_PS5_SB_.has_dyn_sized_stack, 0
	.set _ZN2at6native12_GLOBAL__N_135GammaBetaBackwardCUDAKernelTemplateIN3c104HalfEfLj64ELj1ELj8ELb1ELb1ELb1EEEvllPKT_S7_PKT0_SA_PS5_SB_.has_recursion, 0
	.set _ZN2at6native12_GLOBAL__N_135GammaBetaBackwardCUDAKernelTemplateIN3c104HalfEfLj64ELj1ELj8ELb1ELb1ELb1EEEvllPKT_S7_PKT0_SA_PS5_SB_.has_indirect_call, 0
	.section	.AMDGPU.csdata,"",@progbits
; Kernel info:
; codeLenInByte = 1280
; TotalNumSgprs: 28
; NumVgprs: 41
; ScratchSize: 0
; MemoryBound: 0
; FloatMode: 240
; IeeeMode: 1
; LDSByteSize: 0 bytes/workgroup (compile time only)
; SGPRBlocks: 0
; VGPRBlocks: 5
; NumSGPRsForWavesPerEU: 28
; NumVGPRsForWavesPerEU: 41
; Occupancy: 16
; WaveLimiterHint : 0
; COMPUTE_PGM_RSRC2:SCRATCH_EN: 0
; COMPUTE_PGM_RSRC2:USER_SGPR: 6
; COMPUTE_PGM_RSRC2:TRAP_HANDLER: 0
; COMPUTE_PGM_RSRC2:TGID_X_EN: 1
; COMPUTE_PGM_RSRC2:TGID_Y_EN: 1
; COMPUTE_PGM_RSRC2:TGID_Z_EN: 0
; COMPUTE_PGM_RSRC2:TIDIG_COMP_CNT: 1
	.section	.text._ZN2at6native12_GLOBAL__N_135GammaBetaBackwardCUDAKernelTemplateIN3c104HalfEfLj64ELj1ELj8ELb1ELb0ELb1EEEvllPKT_S7_PKT0_SA_PS5_SB_,"axG",@progbits,_ZN2at6native12_GLOBAL__N_135GammaBetaBackwardCUDAKernelTemplateIN3c104HalfEfLj64ELj1ELj8ELb1ELb0ELb1EEEvllPKT_S7_PKT0_SA_PS5_SB_,comdat
	.globl	_ZN2at6native12_GLOBAL__N_135GammaBetaBackwardCUDAKernelTemplateIN3c104HalfEfLj64ELj1ELj8ELb1ELb0ELb1EEEvllPKT_S7_PKT0_SA_PS5_SB_ ; -- Begin function _ZN2at6native12_GLOBAL__N_135GammaBetaBackwardCUDAKernelTemplateIN3c104HalfEfLj64ELj1ELj8ELb1ELb0ELb1EEEvllPKT_S7_PKT0_SA_PS5_SB_
	.p2align	8
	.type	_ZN2at6native12_GLOBAL__N_135GammaBetaBackwardCUDAKernelTemplateIN3c104HalfEfLj64ELj1ELj8ELb1ELb0ELb1EEEvllPKT_S7_PKT0_SA_PS5_SB_,@function
_ZN2at6native12_GLOBAL__N_135GammaBetaBackwardCUDAKernelTemplateIN3c104HalfEfLj64ELj1ELj8ELb1ELb0ELb1EEEvllPKT_S7_PKT0_SA_PS5_SB_: ; @_ZN2at6native12_GLOBAL__N_135GammaBetaBackwardCUDAKernelTemplateIN3c104HalfEfLj64ELj1ELj8ELb1ELb0ELb1EEEvllPKT_S7_PKT0_SA_PS5_SB_
; %bb.0:
	s_clause 0x1
	s_load_dwordx8 s[8:15], s[4:5], 0x0
	s_load_dwordx2 s[16:17], s[4:5], 0x28
	s_mov_b32 s0, s7
	s_lshl_b32 s7, s6, 6
	s_mov_b32 s19, 0
	s_or_b32 s18, s7, 63
	s_waitcnt lgkmcnt(0)
	v_cmp_le_i64_e64 s1, s[10:11], s[18:19]
	s_lshl_b32 s18, s0, 3
	v_cmp_gt_i64_e64 s26, s[8:9], s[18:19]
	s_and_b32 vcc_lo, exec_lo, s1
	v_cndmask_b32_e64 v2, 0, 1, s26
	v_cmp_ne_u32_e64 s1, 1, v2
	s_cbranch_vccz .LBB168_49
; %bb.1:
	v_mov_b32_e32 v86, 0
	s_and_b32 vcc_lo, exec_lo, s1
	s_cbranch_vccnz .LBB168_50
; %bb.2:
	v_lshlrev_b32_e32 v23, 3, v1
	v_mov_b32_e32 v2, 0
	v_add_nc_u32_e32 v3, s7, v0
	s_load_dword s2, s[4:5], 0x44
	s_add_u32 s20, s4, 64
	v_add_co_u32 v11, s1, v23, s18
	v_add_co_ci_u32_e64 v12, null, 0, 0, s1
	v_mov_b32_e32 v4, v2
	v_mul_lo_u32 v7, s11, v11
	v_mad_u64_u32 v[5:6], null, s10, v11, 0
	v_mul_lo_u32 v8, s10, v12
	v_cmp_gt_i64_e64 s1, s[10:11], v[3:4]
	v_lshlrev_b64 v[19:20], 1, v[3:4]
	s_addc_u32 s21, s5, 0
	v_mov_b32_e32 v24, v2
	v_mov_b32_e32 v57, 0
	s_mov_b64 s[24:25], s[18:19]
	v_add3_u32 v6, v6, v8, v7
	v_add_co_u32 v7, vcc_lo, v11, 7
	v_add_co_ci_u32_e64 v8, null, 0, v12, vcc_lo
	v_add_co_u32 v9, vcc_lo, v11, 6
	v_add_co_ci_u32_e64 v10, null, 0, v12, vcc_lo
	v_lshlrev_b64 v[3:4], 1, v[5:6]
	v_mul_lo_u32 v13, s11, v7
	v_mul_lo_u32 v14, s10, v8
	v_mad_u64_u32 v[7:8], null, s10, v7, 0
	v_mul_lo_u32 v15, s11, v9
	v_mul_lo_u32 v16, s10, v10
	v_mad_u64_u32 v[9:10], null, s10, v9, 0
	v_add_co_u32 v25, vcc_lo, s12, v3
	v_add_co_ci_u32_e64 v26, null, s13, v4, vcc_lo
	v_add_co_u32 v27, vcc_lo, s14, v3
	v_add3_u32 v8, v8, v14, v13
	v_add_co_ci_u32_e64 v28, null, s15, v4, vcc_lo
	v_add_co_u32 v13, vcc_lo, v11, 5
	v_add3_u32 v10, v10, v16, v15
	v_add_co_ci_u32_e64 v14, null, 0, v12, vcc_lo
	v_lshlrev_b64 v[3:4], 1, v[7:8]
	v_mul_lo_u32 v15, s11, v13
	v_lshlrev_b64 v[7:8], 1, v[9:10]
	v_mul_lo_u32 v14, s10, v14
	v_mad_u64_u32 v[9:10], null, s10, v13, 0
	v_add_co_u32 v29, vcc_lo, s12, v3
	v_add_co_ci_u32_e64 v30, null, s13, v4, vcc_lo
	v_add_co_u32 v31, vcc_lo, s14, v3
	s_waitcnt lgkmcnt(0)
	s_lshl_b32 s27, s2, 3
	v_add_co_ci_u32_e64 v32, null, s15, v4, vcc_lo
	v_add_co_u32 v33, vcc_lo, s12, v7
	v_add3_u32 v10, v10, v14, v15
	s_mul_i32 s2, s11, s27
	s_mul_hi_u32 s3, s10, s27
	v_add_co_ci_u32_e64 v34, null, s13, v8, vcc_lo
	v_add_co_u32 v13, vcc_lo, v11, 4
	s_add_i32 s23, s3, s2
	v_add_co_u32 v35, s2, s14, v7
	v_add_co_ci_u32_e64 v7, null, 0, v12, vcc_lo
	v_lshlrev_b64 v[3:4], 1, v[9:10]
	v_add_co_u32 v9, vcc_lo, v11, 3
	v_add_co_ci_u32_e64 v10, null, 0, v12, vcc_lo
	v_add_co_ci_u32_e64 v36, null, s15, v8, s2
	v_mul_lo_u32 v14, s11, v13
	v_mul_lo_u32 v15, s10, v7
	v_mad_u64_u32 v[7:8], null, s10, v13, 0
	v_mul_lo_u32 v13, s11, v9
	v_mul_lo_u32 v16, s10, v10
	v_mad_u64_u32 v[9:10], null, s10, v9, 0
	v_add_co_u32 v37, vcc_lo, s12, v3
	v_add_co_ci_u32_e64 v38, null, s13, v4, vcc_lo
	v_add3_u32 v8, v8, v15, v14
	v_add_co_u32 v39, vcc_lo, s14, v3
	v_add_co_ci_u32_e64 v40, null, s15, v4, vcc_lo
	v_add_co_u32 v11, vcc_lo, v11, 2
	v_add3_u32 v10, v10, v16, v13
	v_add_co_ci_u32_e64 v12, null, 0, v12, vcc_lo
	v_lshlrev_b64 v[3:4], 1, v[7:8]
	v_mul_lo_u32 v13, s11, v11
	v_lshlrev_b64 v[7:8], 1, v[9:10]
	v_mul_lo_u32 v12, s10, v12
	v_mad_u64_u32 v[9:10], null, s10, v11, 0
	v_add_co_u32 v41, vcc_lo, s12, v3
	v_add_co_ci_u32_e64 v42, null, s13, v4, vcc_lo
	v_add_co_u32 v43, vcc_lo, s14, v3
	v_add_co_ci_u32_e64 v44, null, s15, v4, vcc_lo
	;; [unrolled: 2-line block ×3, first 2 shown]
	v_add3_u32 v10, v10, v12, v13
	v_add_co_u32 v47, vcc_lo, s14, v7
	v_add_co_ci_u32_e64 v48, null, s15, v8, vcc_lo
	v_add_co_u32 v5, vcc_lo, v5, s10
	v_add_co_ci_u32_e64 v6, null, s11, v6, vcc_lo
	v_lshlrev_b64 v[3:4], 1, v[9:10]
	s_mul_i32 s22, s10, s27
	v_lshlrev_b64 v[5:6], 1, v[5:6]
	s_lshl_b64 s[2:3], s[22:23], 1
	s_mov_b64 s[22:23], 7
	v_add_co_u32 v49, vcc_lo, s12, v3
	v_add_co_ci_u32_e64 v50, null, s13, v4, vcc_lo
	v_add_co_u32 v51, vcc_lo, s14, v3
	v_add_co_ci_u32_e64 v52, null, s15, v4, vcc_lo
	;; [unrolled: 2-line block ×4, first 2 shown]
.LBB168_3:                              ; =>This Inner Loop Header: Depth=1
	s_add_u32 s28, s18, s22
	s_addc_u32 s29, 0, s23
	v_add_co_u32 v21, vcc_lo, s18, v23
	v_cmp_ge_i64_e64 s28, s[28:29], s[8:9]
	v_add_co_ci_u32_e64 v22, null, 0, v24, vcc_lo
                                        ; implicit-def: $vgpr3_vgpr4_vgpr5_vgpr6_vgpr7_vgpr8_vgpr9_vgpr10
                                        ; implicit-def: $vgpr86
                                        ; implicit-def: $vgpr11_vgpr12_vgpr13_vgpr14_vgpr15_vgpr16_vgpr17_vgpr18
                                        ; implicit-def: $vgpr3
	s_and_b32 vcc_lo, exec_lo, s28
	s_mov_b32 s28, -1
	s_cbranch_vccz .LBB168_25
; %bb.4:                                ;   in Loop: Header=BB168_3 Depth=1
	s_load_dword s28, s[20:21], 0xc
	v_mov_b32_e32 v58, 0
	s_waitcnt lgkmcnt(0)
	s_and_b32 s28, s28, 0xffff
	v_mad_u32_u24 v3, v1, s28, v0
	s_mov_b32 s28, exec_lo
	v_and_b32_e32 v3, 31, v3
	v_cmpx_gt_u32_e32 8, v3
	s_cbranch_execz .LBB168_8
; %bb.5:                                ;   in Loop: Header=BB168_3 Depth=1
	v_add_co_u32 v3, vcc_lo, v21, v3
	v_add_co_ci_u32_e64 v4, null, 0, v22, vcc_lo
	v_mov_b32_e32 v58, 0
	s_mov_b32 s29, exec_lo
	v_cmpx_gt_i64_e64 s[8:9], v[3:4]
	s_cbranch_execz .LBB168_7
; %bb.6:                                ;   in Loop: Header=BB168_3 Depth=1
	v_lshlrev_b64 v[3:4], 2, v[3:4]
	v_add_co_u32 v3, vcc_lo, s16, v3
	v_add_co_ci_u32_e64 v4, null, s17, v4, vcc_lo
	global_load_dword v58, v[3:4], off
.LBB168_7:                              ;   in Loop: Header=BB168_3 Depth=1
	s_or_b32 exec_lo, exec_lo, s29
.LBB168_8:                              ;   in Loop: Header=BB168_3 Depth=1
	s_or_b32 exec_lo, exec_lo, s28
	v_mov_b32_e32 v9, v2
	v_mov_b32_e32 v3, v2
	;; [unrolled: 1-line block ×7, first 2 shown]
	v_cmp_gt_i64_e32 vcc_lo, s[8:9], v[21:22]
	v_mov_b32_e32 v18, v9
	v_mov_b32_e32 v15, v6
	;; [unrolled: 1-line block ×16, first 2 shown]
	s_and_b32 s29, s1, vcc_lo
	s_and_saveexec_b32 s28, s29
	s_cbranch_execz .LBB168_10
; %bb.9:                                ;   in Loop: Header=BB168_3 Depth=1
	v_add_co_u32 v3, vcc_lo, v25, v19
	v_add_co_ci_u32_e64 v4, null, v26, v20, vcc_lo
	v_add_co_u32 v5, vcc_lo, v27, v19
	v_add_co_ci_u32_e64 v6, null, v28, v20, vcc_lo
	global_load_ushort v3, v[3:4], off
	global_load_ushort v11, v[5:6], off
	v_mov_b32_e32 v4, v2
	v_mov_b32_e32 v5, v2
	;; [unrolled: 1-line block ×14, first 2 shown]
	s_waitcnt vmcnt(1)
	v_cvt_f32_f16_e32 v3, v3
	s_waitcnt vmcnt(0)
	v_cvt_f32_f16_e32 v11, v11
.LBB168_10:                             ;   in Loop: Header=BB168_3 Depth=1
	s_or_b32 exec_lo, exec_lo, s28
	v_add_co_u32 v59, vcc_lo, v21, 1
	v_add_co_ci_u32_e64 v60, null, 0, v22, vcc_lo
	v_cmp_gt_i64_e32 vcc_lo, s[8:9], v[59:60]
	s_and_b32 s29, s1, vcc_lo
	s_and_saveexec_b32 s28, s29
	s_cbranch_execz .LBB168_12
; %bb.11:                               ;   in Loop: Header=BB168_3 Depth=1
	v_add_co_u32 v59, vcc_lo, v53, v19
	v_add_co_ci_u32_e64 v60, null, v54, v20, vcc_lo
	v_add_co_u32 v61, vcc_lo, v55, v19
	v_add_co_ci_u32_e64 v62, null, v56, v20, vcc_lo
	global_load_ushort v4, v[59:60], off
	global_load_ushort v12, v[61:62], off
	s_waitcnt vmcnt(1)
	v_cvt_f32_f16_e32 v4, v4
	s_waitcnt vmcnt(0)
	v_cvt_f32_f16_e32 v12, v12
.LBB168_12:                             ;   in Loop: Header=BB168_3 Depth=1
	s_or_b32 exec_lo, exec_lo, s28
	v_add_co_u32 v59, vcc_lo, v21, 2
	v_add_co_ci_u32_e64 v60, null, 0, v22, vcc_lo
	v_cmp_gt_i64_e32 vcc_lo, s[8:9], v[59:60]
	s_and_b32 s29, s1, vcc_lo
	s_and_saveexec_b32 s28, s29
	s_cbranch_execz .LBB168_14
; %bb.13:                               ;   in Loop: Header=BB168_3 Depth=1
	v_add_co_u32 v59, vcc_lo, v49, v19
	v_add_co_ci_u32_e64 v60, null, v50, v20, vcc_lo
	v_add_co_u32 v61, vcc_lo, v51, v19
	v_add_co_ci_u32_e64 v62, null, v52, v20, vcc_lo
	global_load_ushort v5, v[59:60], off
	global_load_ushort v13, v[61:62], off
	s_waitcnt vmcnt(1)
	v_cvt_f32_f16_e32 v5, v5
	s_waitcnt vmcnt(0)
	v_cvt_f32_f16_e32 v13, v13
.LBB168_14:                             ;   in Loop: Header=BB168_3 Depth=1
	;; [unrolled: 19-line block ×7, first 2 shown]
	s_or_b32 exec_lo, exec_lo, s28
	s_waitcnt vmcnt(0)
	ds_bpermute_b32 v59, v2, v58
	ds_bpermute_b32 v60, v2, v58 offset:4
	ds_bpermute_b32 v61, v2, v58 offset:8
	v_mul_f32_e32 v3, v11, v3
	ds_bpermute_b32 v11, v2, v58 offset:12
	v_mul_f32_e32 v4, v12, v4
	;; [unrolled: 2-line block ×3, first 2 shown]
	s_mov_b32 s28, 0
	s_waitcnt lgkmcnt(4)
	v_fma_f32 v86, v3, v59, v57
	v_mul_f32_e32 v3, v13, v5
	ds_bpermute_b32 v5, v2, v58 offset:20
	s_waitcnt lgkmcnt(4)
	v_fmac_f32_e32 v86, v4, v60
	v_mul_f32_e32 v4, v14, v6
	ds_bpermute_b32 v6, v2, v58 offset:24
	s_waitcnt lgkmcnt(4)
	v_fmac_f32_e32 v86, v3, v61
	ds_bpermute_b32 v3, v2, v58 offset:28
	s_waitcnt lgkmcnt(4)
	v_fmac_f32_e32 v86, v4, v11
	v_mul_f32_e32 v4, v16, v8
	s_waitcnt lgkmcnt(3)
	v_fmac_f32_e32 v86, v7, v12
	s_waitcnt lgkmcnt(2)
	v_fmac_f32_e32 v86, v4, v5
	v_mul_f32_e32 v4, v17, v9
	s_waitcnt lgkmcnt(1)
	v_fmac_f32_e32 v86, v4, v6
.LBB168_25:                             ;   in Loop: Header=BB168_3 Depth=1
	s_and_b32 vcc_lo, exec_lo, s28
	s_cbranch_vccz .LBB168_40
; %bb.26:                               ;   in Loop: Header=BB168_3 Depth=1
	s_load_dword s28, s[20:21], 0x0
	v_mov_b32_e32 v58, 0
	s_waitcnt lgkmcnt(0)
	s_cmp_lt_u32 s6, s28
	s_cselect_b32 s28, 12, 18
	s_add_u32 s28, s20, s28
	s_addc_u32 s29, s21, 0
	global_load_ushort v3, v2, s[28:29]
	s_mov_b32 s28, exec_lo
	s_waitcnt vmcnt(0)
	v_mad_u32_u24 v3, v1, v3, v0
	v_and_b32_e32 v3, 31, v3
	v_cmpx_gt_u32_e32 8, v3
	s_cbranch_execz .LBB168_30
; %bb.27:                               ;   in Loop: Header=BB168_3 Depth=1
	v_add_co_u32 v3, vcc_lo, v21, v3
	v_add_co_ci_u32_e64 v4, null, 0, v22, vcc_lo
	v_mov_b32_e32 v58, 0
	s_mov_b32 s29, exec_lo
	v_cmpx_gt_i64_e64 s[8:9], v[3:4]
	s_cbranch_execz .LBB168_29
; %bb.28:                               ;   in Loop: Header=BB168_3 Depth=1
	v_lshlrev_b64 v[3:4], 2, v[3:4]
	v_add_co_u32 v3, vcc_lo, s16, v3
	v_add_co_ci_u32_e64 v4, null, s17, v4, vcc_lo
	global_load_dword v58, v[3:4], off
.LBB168_29:                             ;   in Loop: Header=BB168_3 Depth=1
	s_or_b32 exec_lo, exec_lo, s29
.LBB168_30:                             ;   in Loop: Header=BB168_3 Depth=1
	s_or_b32 exec_lo, exec_lo, s28
	v_mov_b32_e32 v9, v2
	v_mov_b32_e32 v3, v2
	;; [unrolled: 1-line block ×23, first 2 shown]
	s_and_saveexec_b32 s28, s1
	s_cbranch_execnz .LBB168_42
; %bb.31:                               ;   in Loop: Header=BB168_3 Depth=1
	s_or_b32 exec_lo, exec_lo, s28
	s_and_saveexec_b32 s28, s1
	s_cbranch_execnz .LBB168_43
.LBB168_32:                             ;   in Loop: Header=BB168_3 Depth=1
	s_or_b32 exec_lo, exec_lo, s28
	s_and_saveexec_b32 s28, s1
	s_cbranch_execnz .LBB168_44
.LBB168_33:                             ;   in Loop: Header=BB168_3 Depth=1
	s_or_b32 exec_lo, exec_lo, s28
	s_and_saveexec_b32 s28, s1
	s_cbranch_execnz .LBB168_45
.LBB168_34:                             ;   in Loop: Header=BB168_3 Depth=1
	s_or_b32 exec_lo, exec_lo, s28
	s_and_saveexec_b32 s28, s1
	s_cbranch_execnz .LBB168_46
.LBB168_35:                             ;   in Loop: Header=BB168_3 Depth=1
	s_or_b32 exec_lo, exec_lo, s28
	s_and_saveexec_b32 s28, s1
	s_cbranch_execnz .LBB168_47
.LBB168_36:                             ;   in Loop: Header=BB168_3 Depth=1
	s_or_b32 exec_lo, exec_lo, s28
	s_and_saveexec_b32 s28, s1
	s_cbranch_execnz .LBB168_48
.LBB168_37:                             ;   in Loop: Header=BB168_3 Depth=1
	s_or_b32 exec_lo, exec_lo, s28
	s_and_saveexec_b32 s28, s1
	s_cbranch_execz .LBB168_39
.LBB168_38:                             ;   in Loop: Header=BB168_3 Depth=1
	v_add_co_u32 v21, vcc_lo, v29, v19
	v_add_co_ci_u32_e64 v22, null, v30, v20, vcc_lo
	v_add_co_u32 v59, vcc_lo, v31, v19
	v_add_co_ci_u32_e64 v60, null, v32, v20, vcc_lo
	global_load_ushort v10, v[21:22], off
	global_load_ushort v18, v[59:60], off
	s_waitcnt vmcnt(1)
	v_cvt_f32_f16_e32 v10, v10
	s_waitcnt vmcnt(0)
	v_cvt_f32_f16_e32 v18, v18
.LBB168_39:                             ;   in Loop: Header=BB168_3 Depth=1
	s_or_b32 exec_lo, exec_lo, s28
	s_waitcnt vmcnt(0)
	ds_bpermute_b32 v21, v2, v58
	ds_bpermute_b32 v22, v2, v58 offset:4
	ds_bpermute_b32 v59, v2, v58 offset:8
	v_mul_f32_e32 v3, v11, v3
	ds_bpermute_b32 v11, v2, v58 offset:12
	v_mul_f32_e32 v4, v12, v4
	ds_bpermute_b32 v12, v2, v58 offset:16
	s_waitcnt lgkmcnt(4)
	v_fmac_f32_e32 v57, v3, v21
	v_mul_f32_e32 v3, v13, v5
	ds_bpermute_b32 v5, v2, v58 offset:20
	s_waitcnt lgkmcnt(4)
	v_fmac_f32_e32 v57, v4, v22
	;; [unrolled: 4-line block ×3, first 2 shown]
	v_mul_f32_e32 v3, v15, v7
	s_waitcnt lgkmcnt(3)
	v_fmac_f32_e32 v57, v4, v11
	v_mul_f32_e32 v4, v16, v8
	s_waitcnt lgkmcnt(2)
	v_fmac_f32_e32 v57, v3, v12
	ds_bpermute_b32 v3, v2, v58 offset:28
	s_waitcnt lgkmcnt(2)
	v_fmac_f32_e32 v57, v4, v5
	v_mul_f32_e32 v4, v17, v9
	s_waitcnt lgkmcnt(1)
	v_fmac_f32_e32 v57, v4, v6
	v_mov_b32_e32 v86, v57
.LBB168_40:                             ;   in Loop: Header=BB168_3 Depth=1
	v_add_co_u32 v25, vcc_lo, v25, s2
	v_add_co_ci_u32_e64 v26, null, s3, v26, vcc_lo
	v_add_co_u32 v27, vcc_lo, v27, s2
	v_add_co_ci_u32_e64 v28, null, s3, v28, vcc_lo
	;; [unrolled: 2-line block ×13, first 2 shown]
	v_add_co_u32 v51, vcc_lo, v51, s2
	s_add_u32 s24, s24, s27
	v_add_co_ci_u32_e64 v52, null, s3, v52, vcc_lo
	v_add_co_u32 v53, vcc_lo, v53, s2
	v_mul_f32_e32 v4, v10, v18
	s_addc_u32 s25, s25, 0
	v_add_co_ci_u32_e64 v54, null, s3, v54, vcc_lo
	v_add_co_u32 v55, vcc_lo, v55, s2
	v_cmp_lt_i64_e64 s28, s[24:25], s[8:9]
	v_add_co_ci_u32_e64 v56, null, s3, v56, vcc_lo
	v_add_co_u32 v23, vcc_lo, v23, s27
	s_waitcnt lgkmcnt(0)
	v_fmac_f32_e32 v86, v4, v3
	v_add_co_ci_u32_e64 v24, null, 0, v24, vcc_lo
	s_add_u32 s22, s22, s27
	s_addc_u32 s23, 0, s23
	s_and_b32 vcc_lo, exec_lo, s28
	s_cbranch_vccz .LBB168_50
; %bb.41:                               ;   in Loop: Header=BB168_3 Depth=1
	v_mov_b32_e32 v57, v86
	s_branch .LBB168_3
.LBB168_42:                             ;   in Loop: Header=BB168_3 Depth=1
	v_add_co_u32 v3, vcc_lo, v25, v19
	v_add_co_ci_u32_e64 v4, null, v26, v20, vcc_lo
	v_add_co_u32 v5, vcc_lo, v27, v19
	v_add_co_ci_u32_e64 v6, null, v28, v20, vcc_lo
	global_load_ushort v3, v[3:4], off
	global_load_ushort v11, v[5:6], off
	v_mov_b32_e32 v4, v2
	v_mov_b32_e32 v5, v2
	;; [unrolled: 1-line block ×14, first 2 shown]
	s_waitcnt vmcnt(1)
	v_cvt_f32_f16_e32 v3, v3
	s_waitcnt vmcnt(0)
	v_cvt_f32_f16_e32 v11, v11
	s_or_b32 exec_lo, exec_lo, s28
	s_and_saveexec_b32 s28, s1
	s_cbranch_execz .LBB168_32
.LBB168_43:                             ;   in Loop: Header=BB168_3 Depth=1
	v_add_co_u32 v21, vcc_lo, v53, v19
	v_add_co_ci_u32_e64 v22, null, v54, v20, vcc_lo
	v_add_co_u32 v59, vcc_lo, v55, v19
	v_add_co_ci_u32_e64 v60, null, v56, v20, vcc_lo
	global_load_ushort v4, v[21:22], off
	global_load_ushort v12, v[59:60], off
	s_waitcnt vmcnt(1)
	v_cvt_f32_f16_e32 v4, v4
	s_waitcnt vmcnt(0)
	v_cvt_f32_f16_e32 v12, v12
	s_or_b32 exec_lo, exec_lo, s28
	s_and_saveexec_b32 s28, s1
	s_cbranch_execz .LBB168_33
.LBB168_44:                             ;   in Loop: Header=BB168_3 Depth=1
	v_add_co_u32 v21, vcc_lo, v49, v19
	v_add_co_ci_u32_e64 v22, null, v50, v20, vcc_lo
	v_add_co_u32 v59, vcc_lo, v51, v19
	v_add_co_ci_u32_e64 v60, null, v52, v20, vcc_lo
	global_load_ushort v5, v[21:22], off
	global_load_ushort v13, v[59:60], off
	s_waitcnt vmcnt(1)
	v_cvt_f32_f16_e32 v5, v5
	s_waitcnt vmcnt(0)
	v_cvt_f32_f16_e32 v13, v13
	s_or_b32 exec_lo, exec_lo, s28
	s_and_saveexec_b32 s28, s1
	s_cbranch_execz .LBB168_34
.LBB168_45:                             ;   in Loop: Header=BB168_3 Depth=1
	v_add_co_u32 v21, vcc_lo, v45, v19
	v_add_co_ci_u32_e64 v22, null, v46, v20, vcc_lo
	v_add_co_u32 v59, vcc_lo, v47, v19
	v_add_co_ci_u32_e64 v60, null, v48, v20, vcc_lo
	global_load_ushort v6, v[21:22], off
	global_load_ushort v14, v[59:60], off
	s_waitcnt vmcnt(1)
	v_cvt_f32_f16_e32 v6, v6
	s_waitcnt vmcnt(0)
	v_cvt_f32_f16_e32 v14, v14
	s_or_b32 exec_lo, exec_lo, s28
	s_and_saveexec_b32 s28, s1
	s_cbranch_execz .LBB168_35
.LBB168_46:                             ;   in Loop: Header=BB168_3 Depth=1
	v_add_co_u32 v21, vcc_lo, v41, v19
	v_add_co_ci_u32_e64 v22, null, v42, v20, vcc_lo
	v_add_co_u32 v59, vcc_lo, v43, v19
	v_add_co_ci_u32_e64 v60, null, v44, v20, vcc_lo
	global_load_ushort v7, v[21:22], off
	global_load_ushort v15, v[59:60], off
	s_waitcnt vmcnt(1)
	v_cvt_f32_f16_e32 v7, v7
	s_waitcnt vmcnt(0)
	v_cvt_f32_f16_e32 v15, v15
	s_or_b32 exec_lo, exec_lo, s28
	s_and_saveexec_b32 s28, s1
	s_cbranch_execz .LBB168_36
.LBB168_47:                             ;   in Loop: Header=BB168_3 Depth=1
	v_add_co_u32 v21, vcc_lo, v37, v19
	v_add_co_ci_u32_e64 v22, null, v38, v20, vcc_lo
	v_add_co_u32 v59, vcc_lo, v39, v19
	v_add_co_ci_u32_e64 v60, null, v40, v20, vcc_lo
	global_load_ushort v8, v[21:22], off
	global_load_ushort v16, v[59:60], off
	s_waitcnt vmcnt(1)
	v_cvt_f32_f16_e32 v8, v8
	s_waitcnt vmcnt(0)
	v_cvt_f32_f16_e32 v16, v16
	s_or_b32 exec_lo, exec_lo, s28
	s_and_saveexec_b32 s28, s1
	s_cbranch_execz .LBB168_37
.LBB168_48:                             ;   in Loop: Header=BB168_3 Depth=1
	v_add_co_u32 v21, vcc_lo, v33, v19
	v_add_co_ci_u32_e64 v22, null, v34, v20, vcc_lo
	v_add_co_u32 v59, vcc_lo, v35, v19
	v_add_co_ci_u32_e64 v60, null, v36, v20, vcc_lo
	global_load_ushort v9, v[21:22], off
	global_load_ushort v17, v[59:60], off
	s_waitcnt vmcnt(1)
	v_cvt_f32_f16_e32 v9, v9
	s_waitcnt vmcnt(0)
	v_cvt_f32_f16_e32 v17, v17
	s_or_b32 exec_lo, exec_lo, s28
	s_and_saveexec_b32 s28, s1
	s_cbranch_execnz .LBB168_38
	s_branch .LBB168_39
.LBB168_49:
                                        ; implicit-def: $vgpr86
	s_load_dwordx2 s[2:3], s[4:5], 0x30
	s_branch .LBB168_51
.LBB168_50:
	s_load_dwordx2 s[2:3], s[4:5], 0x30
	s_cbranch_execnz .LBB168_83
.LBB168_51:
	v_mov_b32_e32 v86, 0
	s_andn2_b32 vcc_lo, exec_lo, s26
	s_cbranch_vccnz .LBB168_83
; %bb.52:
	v_lshlrev_b32_e32 v51, 3, v1
	v_lshlrev_b32_e32 v4, 4, v1
	s_add_u32 s20, s4, 64
	s_addc_u32 s21, s5, 0
	s_lshl_b64 s[22:23], s[18:19], 1
	v_add_co_u32 v10, s1, v51, s18
	v_add_co_ci_u32_e64 v11, null, 0, 0, s1
	v_add_co_u32 v7, s1, v4, s22
	v_mul_lo_u32 v5, s11, v10
	v_mul_lo_u32 v6, s10, v11
	v_mad_u64_u32 v[2:3], null, s10, v10, 0
	v_add_co_ci_u32_e64 v8, null, 0, s23, s1
	v_mov_b32_e32 v85, 0
	s_mov_b64 s[22:23], s[18:19]
	v_add3_u32 v3, v3, v6, v5
	v_add_co_u32 v6, vcc_lo, v7, 2
	v_add_co_ci_u32_e64 v9, null, 0, v8, vcc_lo
	v_lshlrev_b64 v[4:5], 1, v[2:3]
	v_mad_u64_u32 v[19:20], null, s10, v6, s[12:13]
	v_mul_lo_u32 v9, s10, v9
	v_mul_lo_u32 v12, s11, v6
	v_mad_u64_u32 v[33:34], null, s10, v6, s[14:15]
	v_add_co_u32 v52, vcc_lo, s12, v4
	v_add_co_ci_u32_e64 v53, null, s13, v5, vcc_lo
	v_add_co_u32 v54, vcc_lo, s14, v4
	v_add_co_ci_u32_e64 v55, null, s15, v5, vcc_lo
	;; [unrolled: 2-line block ×4, first 2 shown]
	v_add_co_u32 v16, vcc_lo, v7, 8
	v_mad_u64_u32 v[21:22], null, s10, v4, s[12:13]
	v_mul_lo_u32 v5, s10, v5
	v_mul_lo_u32 v15, s11, v4
	v_add_co_ci_u32_e64 v18, null, 0, v8, vcc_lo
	v_add_co_u32 v41, vcc_lo, v7, 10
	v_mad_u64_u32 v[35:36], null, s10, v4, s[14:15]
	v_add_co_ci_u32_e64 v29, null, 0, v8, vcc_lo
	v_add_co_u32 v44, vcc_lo, v7, 12
	v_add_co_ci_u32_e64 v31, null, 0, v8, vcc_lo
	v_add_co_u32 v7, vcc_lo, v7, 14
	;; [unrolled: 2-line block ×3, first 2 shown]
	v_add3_u32 v22, v15, v22, v5
	v_add3_u32 v36, v15, v36, v5
	v_add_co_ci_u32_e64 v5, null, 0, v11, vcc_lo
	v_add3_u32 v20, v12, v20, v9
	v_add3_u32 v34, v12, v34, v9
	v_mul_lo_u32 v6, s11, v4
	v_mul_lo_u32 v9, s10, v5
	v_mad_u64_u32 v[4:5], null, s10, v4, 0
	v_mul_lo_u32 v49, s10, v31
	v_mad_u64_u32 v[31:32], null, s10, v7, s[12:13]
	v_mul_lo_u32 v8, s10, v8
	v_mul_lo_u32 v56, s11, v7
	v_mad_u64_u32 v[45:46], null, s10, v7, s[14:15]
	v_add3_u32 v5, v5, v9, v6
	v_add_co_u32 v6, vcc_lo, v10, 6
	v_add_co_ci_u32_e64 v7, null, 0, v11, vcc_lo
	v_mad_u64_u32 v[23:24], null, s10, v13, s[12:13]
	v_mul_lo_u32 v14, s10, v14
	v_mul_lo_u32 v17, s11, v13
	v_add3_u32 v32, v56, v32, v8
	v_mad_u64_u32 v[37:38], null, s10, v13, s[14:15]
	v_add3_u32 v46, v56, v46, v8
	v_mul_lo_u32 v8, s11, v6
	v_mul_lo_u32 v9, s10, v7
	v_mad_u64_u32 v[6:7], null, s10, v6, 0
	v_lshlrev_b64 v[4:5], 1, v[4:5]
	v_add_co_u32 v12, vcc_lo, v10, 5
	v_add_co_ci_u32_e64 v13, null, 0, v11, vcc_lo
	v_add3_u32 v24, v17, v24, v14
	v_add_co_u32 v56, vcc_lo, s12, v4
	v_add3_u32 v38, v17, v38, v14
	v_add3_u32 v7, v7, v9, v8
	v_mul_lo_u32 v14, s11, v12
	v_mul_lo_u32 v13, s10, v13
	v_mad_u64_u32 v[8:9], null, s10, v12, 0
	v_add_co_ci_u32_e64 v57, null, s13, v5, vcc_lo
	v_add_co_u32 v12, vcc_lo, v10, 4
	v_add_co_ci_u32_e64 v15, null, 0, v11, vcc_lo
	v_add_co_u32 v58, vcc_lo, s14, v4
	v_add_co_ci_u32_e64 v59, null, s15, v5, vcc_lo
	v_lshlrev_b64 v[4:5], 1, v[6:7]
	v_add3_u32 v9, v9, v13, v14
	v_mul_lo_u32 v13, s11, v12
	v_mul_lo_u32 v14, s10, v15
	v_mad_u64_u32 v[6:7], null, s10, v12, 0
	v_lshlrev_b64 v[8:9], 1, v[8:9]
	v_add_co_u32 v60, vcc_lo, s12, v4
	v_add_co_ci_u32_e64 v61, null, s13, v5, vcc_lo
	v_add_co_u32 v62, vcc_lo, s14, v4
	v_add3_u32 v7, v7, v14, v13
	v_add_co_ci_u32_e64 v63, null, s15, v5, vcc_lo
	v_add_co_u32 v64, vcc_lo, s12, v8
	v_add_co_ci_u32_e64 v65, null, s13, v9, vcc_lo
	v_lshlrev_b64 v[4:5], 1, v[6:7]
	v_add_co_u32 v6, vcc_lo, v10, 3
	v_add_co_ci_u32_e64 v7, null, 0, v11, vcc_lo
	v_add_co_u32 v66, s1, s14, v8
	v_add_co_u32 v8, vcc_lo, v10, 2
	v_add_co_ci_u32_e64 v67, null, s15, v9, s1
	v_mul_lo_u32 v12, s11, v6
	v_add_co_ci_u32_e64 v9, null, 0, v11, vcc_lo
	v_mul_lo_u32 v10, s10, v7
	v_mad_u64_u32 v[6:7], null, s10, v6, 0
	v_mul_lo_u32 v11, s11, v8
	v_mul_lo_u32 v13, s10, v9
	v_mad_u64_u32 v[8:9], null, s10, v8, 0
	v_add_co_u32 v68, vcc_lo, s12, v4
	v_add3_u32 v7, v7, v10, v12
	s_load_dword s1, s[4:5], 0x44
	v_add_co_ci_u32_e64 v69, null, s13, v5, vcc_lo
	v_add_co_u32 v70, vcc_lo, s14, v4
	v_add_co_ci_u32_e64 v71, null, s15, v5, vcc_lo
	v_lshlrev_b64 v[4:5], 1, v[6:7]
	v_add3_u32 v9, v9, v13, v11
	v_add_co_u32 v2, vcc_lo, v2, s10
	v_mad_u64_u32 v[25:26], null, s10, v16, s[12:13]
	v_mul_lo_u32 v18, s10, v18
	v_mul_lo_u32 v43, s11, v16
	v_mad_u64_u32 v[39:40], null, s10, v16, s[14:15]
	v_add_co_ci_u32_e64 v3, null, s11, v3, vcc_lo
	v_lshlrev_b64 v[6:7], 1, v[8:9]
	v_add_co_u32 v72, vcc_lo, s12, v4
	v_add_co_ci_u32_e64 v73, null, s13, v5, vcc_lo
	v_add_co_u32 v74, vcc_lo, s14, v4
	v_lshlrev_b64 v[3:4], 1, v[2:3]
	v_mov_b32_e32 v2, 0
	v_mad_u64_u32 v[27:28], null, s10, v41, s[12:13]
	v_mul_lo_u32 v47, s10, v29
	v_mul_lo_u32 v48, s11, v41
	v_mad_u64_u32 v[41:42], null, s10, v41, s[14:15]
	v_mad_u64_u32 v[29:30], null, s10, v44, s[12:13]
	v_mul_lo_u32 v50, s11, v44
	v_add3_u32 v26, v43, v26, v18
	v_add3_u32 v40, v43, v40, v18
	v_mad_u64_u32 v[43:44], null, s10, v44, s[14:15]
	v_add_co_ci_u32_e64 v75, null, s15, v5, vcc_lo
	v_add_co_u32 v76, vcc_lo, s12, v6
	v_add_co_ci_u32_e64 v77, null, s13, v7, vcc_lo
	v_add_co_u32 v78, vcc_lo, s14, v6
	v_add_nc_u32_e32 v5, s7, v0
	v_mov_b32_e32 v6, v2
	v_add_co_ci_u32_e64 v79, null, s15, v7, vcc_lo
	v_add_co_u32 v80, vcc_lo, s12, v3
	s_waitcnt lgkmcnt(0)
	s_lshl_b32 s1, s1, 3
	v_add_co_ci_u32_e64 v81, null, s13, v4, vcc_lo
	v_add_co_u32 v82, vcc_lo, s14, v3
	v_add3_u32 v28, v48, v28, v47
	v_add3_u32 v42, v48, v42, v47
	s_mul_i32 s7, s11, s1
	s_mul_hi_u32 s12, s10, s1
	v_lshlrev_b64 v[47:48], 1, v[5:6]
	v_add3_u32 v30, v50, v30, v49
	v_add3_u32 v44, v50, v44, v49
	v_add_co_ci_u32_e64 v83, null, s15, v4, vcc_lo
	v_mov_b32_e32 v84, v2
	s_add_i32 s13, s12, s7
	s_mul_i32 s12, s10, s1
	s_mov_b64 s[14:15], 7
	s_lshl_b64 s[12:13], s[12:13], 1
.LBB168_53:                             ; =>This Inner Loop Header: Depth=1
	s_add_u32 s24, s18, s14
	s_addc_u32 s25, 0, s15
	v_add_co_u32 v49, vcc_lo, s18, v51
	v_cmp_ge_i64_e64 s7, s[24:25], s[8:9]
	v_add_co_ci_u32_e64 v50, null, 0, v84, vcc_lo
                                        ; implicit-def: $vgpr86
	s_and_b32 vcc_lo, exec_lo, s7
	s_mov_b32 s7, -1
	s_cbranch_vccz .LBB168_75
; %bb.54:                               ;   in Loop: Header=BB168_53 Depth=1
	s_load_dword s7, s[20:21], 0xc
	v_mov_b32_e32 v87, 0
	s_waitcnt lgkmcnt(0)
	s_and_b32 s7, s7, 0xffff
	v_mad_u32_u24 v3, v1, s7, v0
	s_mov_b32 s7, exec_lo
	v_and_b32_e32 v3, 31, v3
	v_cmpx_gt_u32_e32 8, v3
	s_cbranch_execz .LBB168_58
; %bb.55:                               ;   in Loop: Header=BB168_53 Depth=1
	v_add_co_u32 v3, vcc_lo, v49, v3
	v_add_co_ci_u32_e64 v4, null, 0, v50, vcc_lo
	v_mov_b32_e32 v87, 0
	s_mov_b32 s19, exec_lo
	v_cmpx_gt_i64_e64 s[8:9], v[3:4]
	s_cbranch_execz .LBB168_57
; %bb.56:                               ;   in Loop: Header=BB168_53 Depth=1
	v_lshlrev_b64 v[3:4], 2, v[3:4]
	v_add_co_u32 v3, vcc_lo, s16, v3
	v_add_co_ci_u32_e64 v4, null, s17, v4, vcc_lo
	global_load_dword v87, v[3:4], off
.LBB168_57:                             ;   in Loop: Header=BB168_53 Depth=1
	s_or_b32 exec_lo, exec_lo, s19
.LBB168_58:                             ;   in Loop: Header=BB168_53 Depth=1
	s_or_b32 exec_lo, exec_lo, s7
	v_mov_b32_e32 v9, v2
	v_mov_b32_e32 v3, v2
	;; [unrolled: 1-line block ×23, first 2 shown]
	s_mov_b32 s7, exec_lo
	v_cmpx_gt_i64_e64 s[8:9], v[49:50]
	s_cbranch_execz .LBB168_60
; %bb.59:                               ;   in Loop: Header=BB168_53 Depth=1
	v_add_co_u32 v3, vcc_lo, v52, v47
	v_add_co_ci_u32_e64 v4, null, v53, v48, vcc_lo
	v_add_co_u32 v5, vcc_lo, v54, v47
	v_add_co_ci_u32_e64 v6, null, v55, v48, vcc_lo
	global_load_ushort v3, v[3:4], off
	global_load_ushort v11, v[5:6], off
	v_mov_b32_e32 v4, v2
	v_mov_b32_e32 v5, v2
	;; [unrolled: 1-line block ×14, first 2 shown]
	s_waitcnt vmcnt(1)
	v_cvt_f32_f16_e32 v3, v3
	s_waitcnt vmcnt(0)
	v_cvt_f32_f16_e32 v11, v11
.LBB168_60:                             ;   in Loop: Header=BB168_53 Depth=1
	s_or_b32 exec_lo, exec_lo, s7
	v_add_co_u32 v88, vcc_lo, v49, 1
	v_add_co_ci_u32_e64 v89, null, 0, v50, vcc_lo
	s_mov_b32 s7, exec_lo
	v_cmpx_gt_i64_e64 s[8:9], v[88:89]
	s_cbranch_execz .LBB168_62
; %bb.61:                               ;   in Loop: Header=BB168_53 Depth=1
	v_add_co_u32 v88, vcc_lo, v80, v47
	v_add_co_ci_u32_e64 v89, null, v81, v48, vcc_lo
	v_add_co_u32 v90, vcc_lo, v82, v47
	v_add_co_ci_u32_e64 v91, null, v83, v48, vcc_lo
	global_load_ushort v4, v[88:89], off
	global_load_ushort v12, v[90:91], off
	s_waitcnt vmcnt(1)
	v_cvt_f32_f16_e32 v4, v4
	s_waitcnt vmcnt(0)
	v_cvt_f32_f16_e32 v12, v12
.LBB168_62:                             ;   in Loop: Header=BB168_53 Depth=1
	s_or_b32 exec_lo, exec_lo, s7
	v_add_co_u32 v88, vcc_lo, v49, 2
	v_add_co_ci_u32_e64 v89, null, 0, v50, vcc_lo
	s_mov_b32 s7, exec_lo
	v_cmpx_gt_i64_e64 s[8:9], v[88:89]
	s_cbranch_execz .LBB168_64
; %bb.63:                               ;   in Loop: Header=BB168_53 Depth=1
	v_add_co_u32 v88, vcc_lo, v76, v47
	v_add_co_ci_u32_e64 v89, null, v77, v48, vcc_lo
	v_add_co_u32 v90, vcc_lo, v78, v47
	v_add_co_ci_u32_e64 v91, null, v79, v48, vcc_lo
	global_load_ushort v5, v[88:89], off
	global_load_ushort v13, v[90:91], off
	s_waitcnt vmcnt(1)
	v_cvt_f32_f16_e32 v5, v5
	s_waitcnt vmcnt(0)
	v_cvt_f32_f16_e32 v13, v13
.LBB168_64:                             ;   in Loop: Header=BB168_53 Depth=1
	;; [unrolled: 18-line block ×7, first 2 shown]
	s_or_b32 exec_lo, exec_lo, s7
	s_waitcnt vmcnt(0)
	ds_bpermute_b32 v86, v2, v87
	ds_bpermute_b32 v88, v2, v87 offset:4
	ds_bpermute_b32 v89, v2, v87 offset:8
	v_mul_f32_e32 v3, v11, v3
	ds_bpermute_b32 v11, v2, v87 offset:12
	v_mul_f32_e32 v4, v12, v4
	ds_bpermute_b32 v12, v2, v87 offset:16
	s_mov_b32 s7, 0
	s_waitcnt lgkmcnt(4)
	v_fma_f32 v86, v3, v86, v85
	v_mul_f32_e32 v3, v13, v5
	ds_bpermute_b32 v5, v2, v87 offset:20
	s_waitcnt lgkmcnt(4)
	v_fmac_f32_e32 v86, v4, v88
	v_mul_f32_e32 v4, v14, v6
	ds_bpermute_b32 v6, v2, v87 offset:24
	s_waitcnt lgkmcnt(4)
	v_fmac_f32_e32 v86, v3, v89
	v_mul_f32_e32 v3, v15, v7
	v_mul_f32_e32 v7, v16, v8
	s_waitcnt lgkmcnt(3)
	v_fmac_f32_e32 v86, v4, v11
	ds_bpermute_b32 v4, v2, v87 offset:28
	s_waitcnt lgkmcnt(3)
	v_fmac_f32_e32 v86, v3, v12
	v_mul_f32_e32 v3, v17, v9
	s_waitcnt lgkmcnt(2)
	v_fmac_f32_e32 v86, v7, v5
	s_waitcnt lgkmcnt(1)
	v_fmac_f32_e32 v86, v3, v6
	v_mul_f32_e32 v3, v18, v10
	s_waitcnt lgkmcnt(0)
	v_fmac_f32_e32 v86, v3, v4
.LBB168_75:                             ;   in Loop: Header=BB168_53 Depth=1
	s_and_b32 vcc_lo, exec_lo, s7
	s_cbranch_vccz .LBB168_81
; %bb.76:                               ;   in Loop: Header=BB168_53 Depth=1
	s_load_dword s7, s[20:21], 0x0
	v_mov_b32_e32 v5, 0
	s_waitcnt lgkmcnt(0)
	s_cmp_lt_u32 s6, s7
	s_cselect_b32 s7, 12, 18
	s_add_u32 s24, s20, s7
	s_addc_u32 s25, s21, 0
	s_mov_b32 s7, exec_lo
	global_load_ushort v3, v2, s[24:25]
	s_waitcnt vmcnt(0)
	v_mad_u32_u24 v3, v1, v3, v0
	v_and_b32_e32 v3, 31, v3
	v_cmpx_gt_u32_e32 8, v3
	s_cbranch_execz .LBB168_80
; %bb.77:                               ;   in Loop: Header=BB168_53 Depth=1
	v_add_co_u32 v3, vcc_lo, v49, v3
	v_add_co_ci_u32_e64 v4, null, 0, v50, vcc_lo
	v_mov_b32_e32 v5, 0
	s_mov_b32 s19, exec_lo
	v_cmpx_gt_i64_e64 s[8:9], v[3:4]
	s_cbranch_execz .LBB168_79
; %bb.78:                               ;   in Loop: Header=BB168_53 Depth=1
	v_lshlrev_b64 v[3:4], 2, v[3:4]
	v_add_co_u32 v3, vcc_lo, s16, v3
	v_add_co_ci_u32_e64 v4, null, s17, v4, vcc_lo
	global_load_dword v5, v[3:4], off
.LBB168_79:                             ;   in Loop: Header=BB168_53 Depth=1
	s_or_b32 exec_lo, exec_lo, s19
.LBB168_80:                             ;   in Loop: Header=BB168_53 Depth=1
	s_or_b32 exec_lo, exec_lo, s7
	v_add_co_u32 v3, vcc_lo, v52, v47
	v_add_co_ci_u32_e64 v4, null, v53, v48, vcc_lo
	v_add_co_u32 v6, vcc_lo, v54, v47
	v_add_co_ci_u32_e64 v7, null, v55, v48, vcc_lo
	;; [unrolled: 2-line block ×5, first 2 shown]
	global_load_ushort v14, v[3:4], off
	global_load_ushort v15, v[6:7], off
	;; [unrolled: 1-line block ×5, first 2 shown]
	v_add_co_u32 v3, vcc_lo, v35, v47
	v_add_co_ci_u32_e64 v4, null, v36, v48, vcc_lo
	v_add_co_u32 v6, vcc_lo, v23, v47
	v_add_co_ci_u32_e64 v7, null, v24, v48, vcc_lo
	;; [unrolled: 2-line block ×5, first 2 shown]
	global_load_ushort v49, v[3:4], off
	global_load_ushort v50, v[6:7], off
	;; [unrolled: 1-line block ×5, first 2 shown]
	v_add_co_u32 v3, vcc_lo, v27, v47
	v_add_co_ci_u32_e64 v4, null, v28, v48, vcc_lo
	v_add_co_u32 v6, vcc_lo, v41, v47
	v_add_co_ci_u32_e64 v7, null, v42, v48, vcc_lo
	;; [unrolled: 2-line block ×4, first 2 shown]
	global_load_ushort v13, v[3:4], off
	global_load_ushort v88, v[6:7], off
	;; [unrolled: 1-line block ×4, first 2 shown]
	v_add_co_u32 v3, vcc_lo, v31, v47
	v_add_co_ci_u32_e64 v4, null, v32, v48, vcc_lo
	v_add_co_u32 v6, vcc_lo, v45, v47
	v_add_co_ci_u32_e64 v7, null, v46, v48, vcc_lo
	global_load_ushort v3, v[3:4], off
	global_load_ushort v4, v[6:7], off
	s_waitcnt vmcnt(16)
	ds_bpermute_b32 v6, v2, v5
	ds_bpermute_b32 v7, v2, v5 offset:4
	ds_bpermute_b32 v10, v2, v5 offset:8
	s_waitcnt vmcnt(15)
	v_cvt_f32_f16_e32 v11, v14
	s_waitcnt vmcnt(14)
	v_cvt_f32_f16_e32 v14, v15
	ds_bpermute_b32 v15, v2, v5 offset:12
	s_waitcnt vmcnt(13)
	v_cvt_f32_f16_e32 v16, v16
	s_waitcnt vmcnt(12)
	v_cvt_f32_f16_e32 v17, v17
	s_waitcnt vmcnt(11)
	v_cvt_f32_f16_e32 v18, v18
	v_mul_f32_e32 v11, v11, v14
	ds_bpermute_b32 v14, v2, v5 offset:16
	v_mul_f32_e32 v16, v16, v17
	s_waitcnt lgkmcnt(4)
	v_fmac_f32_e32 v85, v11, v6
	ds_bpermute_b32 v6, v2, v5 offset:20
	s_waitcnt lgkmcnt(4)
	v_fmac_f32_e32 v85, v16, v7
	ds_bpermute_b32 v7, v2, v5 offset:24
	ds_bpermute_b32 v5, v2, v5 offset:28
	s_waitcnt vmcnt(10)
	v_cvt_f32_f16_e32 v49, v49
	s_waitcnt vmcnt(9)
	v_cvt_f32_f16_e32 v11, v50
	;; [unrolled: 2-line block ×5, first 2 shown]
	v_mul_f32_e32 v18, v18, v49
	v_mul_f32_e32 v11, v11, v17
	;; [unrolled: 1-line block ×3, first 2 shown]
	s_waitcnt lgkmcnt(5)
	v_fmac_f32_e32 v85, v18, v10
	s_waitcnt lgkmcnt(4)
	v_fmac_f32_e32 v85, v11, v15
	s_waitcnt vmcnt(5)
	v_cvt_f32_f16_e32 v10, v13
	s_waitcnt vmcnt(4)
	v_cvt_f32_f16_e32 v13, v88
	s_waitcnt vmcnt(3)
	v_cvt_f32_f16_e32 v8, v8
	s_waitcnt vmcnt(2)
	v_cvt_f32_f16_e32 v9, v9
	s_waitcnt lgkmcnt(3)
	v_fmac_f32_e32 v85, v12, v14
	v_mul_f32_e32 v10, v10, v13
	v_mul_f32_e32 v8, v8, v9
	s_waitcnt lgkmcnt(2)
	v_fmac_f32_e32 v85, v10, v6
	s_waitcnt vmcnt(1)
	v_cvt_f32_f16_e32 v3, v3
	s_waitcnt vmcnt(0)
	v_cvt_f32_f16_e32 v4, v4
	s_waitcnt lgkmcnt(1)
	v_fmac_f32_e32 v85, v8, v7
	v_mul_f32_e32 v3, v3, v4
	s_waitcnt lgkmcnt(0)
	v_fmac_f32_e32 v85, v3, v5
	v_mov_b32_e32 v86, v85
.LBB168_81:                             ;   in Loop: Header=BB168_53 Depth=1
	v_add_co_u32 v52, vcc_lo, v52, s12
	v_add_co_ci_u32_e64 v53, null, s13, v53, vcc_lo
	v_add_co_u32 v54, vcc_lo, v54, s12
	v_add_co_ci_u32_e64 v55, null, s13, v55, vcc_lo
	;; [unrolled: 2-line block ×27, first 2 shown]
	v_add_co_u32 v76, vcc_lo, v76, s12
	s_add_u32 s22, s22, s1
	v_add_co_ci_u32_e64 v77, null, s13, v77, vcc_lo
	v_add_co_u32 v78, vcc_lo, v78, s12
	s_addc_u32 s23, s23, 0
	v_add_co_ci_u32_e64 v79, null, s13, v79, vcc_lo
	v_add_co_u32 v80, vcc_lo, v80, s12
	v_cmp_ge_i64_e64 s7, s[22:23], s[8:9]
	v_add_co_ci_u32_e64 v81, null, s13, v81, vcc_lo
	v_add_co_u32 v82, vcc_lo, v82, s12
	v_add_co_ci_u32_e64 v83, null, s13, v83, vcc_lo
	s_add_u32 s14, s14, s1
	s_addc_u32 s15, 0, s15
	s_and_b32 vcc_lo, exec_lo, s7
	s_cbranch_vccnz .LBB168_83
; %bb.82:                               ;   in Loop: Header=BB168_53 Depth=1
	v_mov_b32_e32 v85, v86
	s_branch .LBB168_53
.LBB168_83:
	s_mov_b32 s7, 0
	s_lshl_b64 s[6:7], s[6:7], 6
	s_waitcnt lgkmcnt(0)
	s_cmp_lg_u64 s[2:3], 0
	v_or_b32_e32 v3, s6, v0
	v_mov_b32_e32 v4, s7
	s_cselect_b32 s1, -1, 0
	v_cmp_gt_i64_e32 vcc_lo, s[10:11], v[3:4]
	s_and_b32 s1, vcc_lo, s1
	s_and_saveexec_b32 s6, s1
	s_cbranch_execz .LBB168_85
; %bb.84:
	s_load_dword s1, s[4:5], 0x4c
	v_mov_b32_e32 v2, 0
	s_waitcnt lgkmcnt(0)
	s_lshr_b32 s1, s1, 16
	v_mad_u64_u32 v[0:1], null, s1, s0, v[1:2]
	v_mul_lo_u32 v2, v1, s10
	v_mul_lo_u32 v5, v0, s11
	v_mad_u64_u32 v[0:1], null, v0, s10, 0
	v_add3_u32 v1, v1, v5, v2
	v_lshlrev_b64 v[2:3], 1, v[3:4]
	v_cvt_f16_f32_e32 v4, v86
	v_lshlrev_b64 v[0:1], 1, v[0:1]
	v_add_co_u32 v0, vcc_lo, s2, v0
	v_add_co_ci_u32_e64 v1, null, s3, v1, vcc_lo
	v_add_co_u32 v0, vcc_lo, v0, v2
	v_add_co_ci_u32_e64 v1, null, v1, v3, vcc_lo
	global_store_short v[0:1], v4, off
.LBB168_85:
	s_endpgm
	.section	.rodata,"a",@progbits
	.p2align	6, 0x0
	.amdhsa_kernel _ZN2at6native12_GLOBAL__N_135GammaBetaBackwardCUDAKernelTemplateIN3c104HalfEfLj64ELj1ELj8ELb1ELb0ELb1EEEvllPKT_S7_PKT0_SA_PS5_SB_
		.amdhsa_group_segment_fixed_size 0
		.amdhsa_private_segment_fixed_size 0
		.amdhsa_kernarg_size 320
		.amdhsa_user_sgpr_count 6
		.amdhsa_user_sgpr_private_segment_buffer 1
		.amdhsa_user_sgpr_dispatch_ptr 0
		.amdhsa_user_sgpr_queue_ptr 0
		.amdhsa_user_sgpr_kernarg_segment_ptr 1
		.amdhsa_user_sgpr_dispatch_id 0
		.amdhsa_user_sgpr_flat_scratch_init 0
		.amdhsa_user_sgpr_private_segment_size 0
		.amdhsa_wavefront_size32 1
		.amdhsa_uses_dynamic_stack 0
		.amdhsa_system_sgpr_private_segment_wavefront_offset 0
		.amdhsa_system_sgpr_workgroup_id_x 1
		.amdhsa_system_sgpr_workgroup_id_y 1
		.amdhsa_system_sgpr_workgroup_id_z 0
		.amdhsa_system_sgpr_workgroup_info 0
		.amdhsa_system_vgpr_workitem_id 1
		.amdhsa_next_free_vgpr 92
		.amdhsa_next_free_sgpr 30
		.amdhsa_reserve_vcc 1
		.amdhsa_reserve_flat_scratch 0
		.amdhsa_float_round_mode_32 0
		.amdhsa_float_round_mode_16_64 0
		.amdhsa_float_denorm_mode_32 3
		.amdhsa_float_denorm_mode_16_64 3
		.amdhsa_dx10_clamp 1
		.amdhsa_ieee_mode 1
		.amdhsa_fp16_overflow 0
		.amdhsa_workgroup_processor_mode 1
		.amdhsa_memory_ordered 1
		.amdhsa_forward_progress 1
		.amdhsa_shared_vgpr_count 0
		.amdhsa_exception_fp_ieee_invalid_op 0
		.amdhsa_exception_fp_denorm_src 0
		.amdhsa_exception_fp_ieee_div_zero 0
		.amdhsa_exception_fp_ieee_overflow 0
		.amdhsa_exception_fp_ieee_underflow 0
		.amdhsa_exception_fp_ieee_inexact 0
		.amdhsa_exception_int_div_zero 0
	.end_amdhsa_kernel
	.section	.text._ZN2at6native12_GLOBAL__N_135GammaBetaBackwardCUDAKernelTemplateIN3c104HalfEfLj64ELj1ELj8ELb1ELb0ELb1EEEvllPKT_S7_PKT0_SA_PS5_SB_,"axG",@progbits,_ZN2at6native12_GLOBAL__N_135GammaBetaBackwardCUDAKernelTemplateIN3c104HalfEfLj64ELj1ELj8ELb1ELb0ELb1EEEvllPKT_S7_PKT0_SA_PS5_SB_,comdat
.Lfunc_end168:
	.size	_ZN2at6native12_GLOBAL__N_135GammaBetaBackwardCUDAKernelTemplateIN3c104HalfEfLj64ELj1ELj8ELb1ELb0ELb1EEEvllPKT_S7_PKT0_SA_PS5_SB_, .Lfunc_end168-_ZN2at6native12_GLOBAL__N_135GammaBetaBackwardCUDAKernelTemplateIN3c104HalfEfLj64ELj1ELj8ELb1ELb0ELb1EEEvllPKT_S7_PKT0_SA_PS5_SB_
                                        ; -- End function
	.set _ZN2at6native12_GLOBAL__N_135GammaBetaBackwardCUDAKernelTemplateIN3c104HalfEfLj64ELj1ELj8ELb1ELb0ELb1EEEvllPKT_S7_PKT0_SA_PS5_SB_.num_vgpr, 92
	.set _ZN2at6native12_GLOBAL__N_135GammaBetaBackwardCUDAKernelTemplateIN3c104HalfEfLj64ELj1ELj8ELb1ELb0ELb1EEEvllPKT_S7_PKT0_SA_PS5_SB_.num_agpr, 0
	.set _ZN2at6native12_GLOBAL__N_135GammaBetaBackwardCUDAKernelTemplateIN3c104HalfEfLj64ELj1ELj8ELb1ELb0ELb1EEEvllPKT_S7_PKT0_SA_PS5_SB_.numbered_sgpr, 30
	.set _ZN2at6native12_GLOBAL__N_135GammaBetaBackwardCUDAKernelTemplateIN3c104HalfEfLj64ELj1ELj8ELb1ELb0ELb1EEEvllPKT_S7_PKT0_SA_PS5_SB_.num_named_barrier, 0
	.set _ZN2at6native12_GLOBAL__N_135GammaBetaBackwardCUDAKernelTemplateIN3c104HalfEfLj64ELj1ELj8ELb1ELb0ELb1EEEvllPKT_S7_PKT0_SA_PS5_SB_.private_seg_size, 0
	.set _ZN2at6native12_GLOBAL__N_135GammaBetaBackwardCUDAKernelTemplateIN3c104HalfEfLj64ELj1ELj8ELb1ELb0ELb1EEEvllPKT_S7_PKT0_SA_PS5_SB_.uses_vcc, 1
	.set _ZN2at6native12_GLOBAL__N_135GammaBetaBackwardCUDAKernelTemplateIN3c104HalfEfLj64ELj1ELj8ELb1ELb0ELb1EEEvllPKT_S7_PKT0_SA_PS5_SB_.uses_flat_scratch, 0
	.set _ZN2at6native12_GLOBAL__N_135GammaBetaBackwardCUDAKernelTemplateIN3c104HalfEfLj64ELj1ELj8ELb1ELb0ELb1EEEvllPKT_S7_PKT0_SA_PS5_SB_.has_dyn_sized_stack, 0
	.set _ZN2at6native12_GLOBAL__N_135GammaBetaBackwardCUDAKernelTemplateIN3c104HalfEfLj64ELj1ELj8ELb1ELb0ELb1EEEvllPKT_S7_PKT0_SA_PS5_SB_.has_recursion, 0
	.set _ZN2at6native12_GLOBAL__N_135GammaBetaBackwardCUDAKernelTemplateIN3c104HalfEfLj64ELj1ELj8ELb1ELb0ELb1EEEvllPKT_S7_PKT0_SA_PS5_SB_.has_indirect_call, 0
	.section	.AMDGPU.csdata,"",@progbits
; Kernel info:
; codeLenInByte = 7668
; TotalNumSgprs: 32
; NumVgprs: 92
; ScratchSize: 0
; MemoryBound: 0
; FloatMode: 240
; IeeeMode: 1
; LDSByteSize: 0 bytes/workgroup (compile time only)
; SGPRBlocks: 0
; VGPRBlocks: 11
; NumSGPRsForWavesPerEU: 32
; NumVGPRsForWavesPerEU: 92
; Occupancy: 10
; WaveLimiterHint : 0
; COMPUTE_PGM_RSRC2:SCRATCH_EN: 0
; COMPUTE_PGM_RSRC2:USER_SGPR: 6
; COMPUTE_PGM_RSRC2:TRAP_HANDLER: 0
; COMPUTE_PGM_RSRC2:TGID_X_EN: 1
; COMPUTE_PGM_RSRC2:TGID_Y_EN: 1
; COMPUTE_PGM_RSRC2:TGID_Z_EN: 0
; COMPUTE_PGM_RSRC2:TIDIG_COMP_CNT: 1
	.section	.text._ZN2at6native12_GLOBAL__N_135GammaBetaBackwardCUDAKernelTemplateIN3c104HalfEfLj64ELj8ELj64ELb0ELb1ELb1EEEvllPKT_S7_PKT0_SA_PS5_SB_,"axG",@progbits,_ZN2at6native12_GLOBAL__N_135GammaBetaBackwardCUDAKernelTemplateIN3c104HalfEfLj64ELj8ELj64ELb0ELb1ELb1EEEvllPKT_S7_PKT0_SA_PS5_SB_,comdat
	.globl	_ZN2at6native12_GLOBAL__N_135GammaBetaBackwardCUDAKernelTemplateIN3c104HalfEfLj64ELj8ELj64ELb0ELb1ELb1EEEvllPKT_S7_PKT0_SA_PS5_SB_ ; -- Begin function _ZN2at6native12_GLOBAL__N_135GammaBetaBackwardCUDAKernelTemplateIN3c104HalfEfLj64ELj8ELj64ELb0ELb1ELb1EEEvllPKT_S7_PKT0_SA_PS5_SB_
	.p2align	8
	.type	_ZN2at6native12_GLOBAL__N_135GammaBetaBackwardCUDAKernelTemplateIN3c104HalfEfLj64ELj8ELj64ELb0ELb1ELb1EEEvllPKT_S7_PKT0_SA_PS5_SB_,@function
_ZN2at6native12_GLOBAL__N_135GammaBetaBackwardCUDAKernelTemplateIN3c104HalfEfLj64ELj8ELj64ELb0ELb1ELb1EEEvllPKT_S7_PKT0_SA_PS5_SB_: ; @_ZN2at6native12_GLOBAL__N_135GammaBetaBackwardCUDAKernelTemplateIN3c104HalfEfLj64ELj8ELj64ELb0ELb1ELb1EEEvllPKT_S7_PKT0_SA_PS5_SB_
; %bb.0:
	s_load_dwordx4 s[8:11], s[4:5], 0x0
	s_lshl_b32 s16, s7, 6
	s_mov_b32 s17, 0
	s_waitcnt lgkmcnt(0)
	v_cmp_gt_i64_e64 s0, s[8:9], s[16:17]
	s_and_b32 vcc_lo, exec_lo, s0
	s_cbranch_vccnz .LBB169_2
; %bb.1:
	s_mov_b32 s0, s17
	s_load_dwordx2 s[2:3], s[4:5], 0x30
	v_mov_b32_e32 v2, 0
	s_andn2_b32 vcc_lo, exec_lo, s0
	s_cbranch_vccz .LBB169_3
	s_branch .LBB169_9
.LBB169_2:
	s_load_dwordx2 s[2:3], s[4:5], 0x30
	v_mov_b32_e32 v2, 0
.LBB169_3:
	s_clause 0x3
	s_load_dword s0, s[4:5], 0x4c
	s_load_dword s1, s[4:5], 0x44
	s_load_dwordx4 s[12:15], s[4:5], 0x10
	s_load_dwordx2 s[18:19], s[4:5], 0x28
	v_lshlrev_b32_e32 v4, 3, v1
	v_mov_b32_e32 v3, 0
	v_lshl_add_u32 v2, s6, 6, v0
	v_mov_b32_e32 v8, 8
	v_mov_b32_e32 v9, 4
	v_add_co_u32 v4, s4, v4, s16
	v_add_co_ci_u32_e64 v5, null, 0, 0, s4
	v_lshlrev_b64 v[15:16], 1, v[2:3]
	v_mul_lo_u32 v17, s11, v4
	v_mov_b32_e32 v10, 12
	v_mul_lo_u32 v18, s10, v5
	v_mov_b32_e32 v11, 16
	v_mov_b32_e32 v12, 20
	;; [unrolled: 1-line block ×3, first 2 shown]
	s_waitcnt lgkmcnt(0)
	s_and_b32 s0, s0, 0xffff
	s_lshl_b32 s4, s1, 6
	v_mad_u32_u24 v6, v1, s0, v0
	s_mul_i32 s1, s11, s4
	s_mul_hi_u32 s7, s10, s4
	v_mov_b32_e32 v14, 28
	v_mov_b32_e32 v2, 0
	v_and_b32_e32 v21, 31, v6
	v_mad_u64_u32 v[6:7], null, s10, v4, 0
	s_mov_b32 s5, 0
	s_add_i32 s21, s7, s1
	v_add_co_u32 v4, vcc_lo, v4, v21
	v_add_co_ci_u32_e64 v5, null, 0, v5, vcc_lo
	v_add3_u32 v7, v7, v18, v17
	v_cmp_gt_u32_e64 s0, 8, v21
	s_mul_i32 s20, s10, s4
	v_lshlrev_b64 v[17:18], 2, v[4:5]
	s_lshl_b64 s[20:21], s[20:21], 1
	v_lshlrev_b64 v[19:20], 1, v[6:7]
	s_lshl_b64 s[10:11], s[10:11], 1
	v_add_co_u32 v6, vcc_lo, s18, v17
	v_add_co_ci_u32_e64 v7, null, s19, v18, vcc_lo
	v_add_co_u32 v15, vcc_lo, v19, v15
	v_add_co_ci_u32_e64 v16, null, v20, v16, vcc_lo
	s_lshl_b64 s[18:19], s[4:5], 2
	s_branch .LBB169_6
.LBB169_4:                              ;   in Loop: Header=BB169_6 Depth=1
	s_or_b32 exec_lo, exec_lo, s5
.LBB169_5:                              ;   in Loop: Header=BB169_6 Depth=1
	s_or_b32 exec_lo, exec_lo, s1
	v_add_co_u32 v18, vcc_lo, s12, v15
	v_add_co_ci_u32_e64 v19, null, s13, v16, vcc_lo
	v_add_co_u32 v20, vcc_lo, s14, v15
	v_add_co_ci_u32_e64 v21, null, s15, v16, vcc_lo
	;; [unrolled: 2-line block ×3, first 2 shown]
	global_load_ushort v28, v[18:19], off
	global_load_ushort v29, v[20:21], off
	;; [unrolled: 1-line block ×3, first 2 shown]
	v_add_co_u32 v18, vcc_lo, v20, s10
	v_add_co_ci_u32_e64 v19, null, s11, v21, vcc_lo
	v_add_co_u32 v20, vcc_lo, v22, s10
	v_add_co_ci_u32_e64 v21, null, s11, v23, vcc_lo
	;; [unrolled: 2-line block ×5, first 2 shown]
	global_load_ushort v31, v[18:19], off
	global_load_ushort v32, v[20:21], off
	;; [unrolled: 1-line block ×5, first 2 shown]
	v_add_co_u32 v18, vcc_lo, v24, s10
	v_add_co_ci_u32_e64 v19, null, s11, v25, vcc_lo
	v_add_co_u32 v20, vcc_lo, v26, s10
	v_add_co_ci_u32_e64 v21, null, s11, v27, vcc_lo
	;; [unrolled: 2-line block ×5, first 2 shown]
	global_load_ushort v36, v[18:19], off
	global_load_ushort v37, v[20:21], off
	;; [unrolled: 1-line block ×5, first 2 shown]
	v_add_co_u32 v18, vcc_lo, v24, s10
	v_add_co_ci_u32_e64 v19, null, s11, v25, vcc_lo
	v_add_co_u32 v20, vcc_lo, v26, s10
	v_add_co_ci_u32_e64 v21, null, s11, v27, vcc_lo
	;; [unrolled: 2-line block ×3, first 2 shown]
	global_load_ushort v18, v[18:19], off
	global_load_ushort v19, v[20:21], off
	;; [unrolled: 1-line block ×3, first 2 shown]
	s_waitcnt vmcnt(16)
	ds_bpermute_b32 v21, v3, v17
	ds_bpermute_b32 v22, v9, v17
	;; [unrolled: 1-line block ×4, first 2 shown]
	s_add_u32 s16, s16, s4
	v_add_co_u32 v6, vcc_lo, v6, s18
	s_addc_u32 s17, s17, 0
	v_add_co_ci_u32_e64 v7, null, s19, v7, vcc_lo
	v_add_co_u32 v4, vcc_lo, v4, s4
	v_cmp_lt_i64_e64 s1, s[16:17], s[8:9]
	v_add_co_ci_u32_e64 v5, null, 0, v5, vcc_lo
	v_add_co_u32 v15, vcc_lo, v15, s20
	v_add_co_ci_u32_e64 v16, null, s21, v16, vcc_lo
	s_and_b32 vcc_lo, exec_lo, s1
	s_waitcnt vmcnt(15)
	v_cvt_f32_f16_e32 v23, v28
	s_waitcnt vmcnt(14)
	v_cvt_f32_f16_e32 v24, v29
	;; [unrolled: 2-line block ×3, first 2 shown]
	v_mul_f32_e32 v23, v23, v24
	s_waitcnt lgkmcnt(3)
	v_fmac_f32_e32 v2, v23, v21
	s_waitcnt vmcnt(12)
	v_cvt_f32_f16_e32 v24, v31
	s_waitcnt vmcnt(11)
	v_cvt_f32_f16_e32 v28, v32
	;; [unrolled: 2-line block ×4, first 2 shown]
	v_mul_f32_e32 v21, v26, v24
	ds_bpermute_b32 v24, v11, v17
	ds_bpermute_b32 v26, v12, v17
	s_waitcnt lgkmcnt(4)
	v_fmac_f32_e32 v2, v21, v22
	v_mul_f32_e32 v21, v28, v23
	s_waitcnt vmcnt(8)
	v_cvt_f32_f16_e32 v22, v35
	ds_bpermute_b32 v23, v13, v17
	ds_bpermute_b32 v17, v14, v17
	s_waitcnt lgkmcnt(5)
	v_fmac_f32_e32 v2, v21, v25
	v_mul_f32_e32 v21, v29, v22
	s_waitcnt vmcnt(7)
	v_cvt_f32_f16_e32 v28, v36
	s_waitcnt vmcnt(6)
	v_cvt_f32_f16_e32 v22, v37
	;; [unrolled: 2-line block ×4, first 2 shown]
	s_waitcnt lgkmcnt(4)
	v_fmac_f32_e32 v2, v21, v27
	v_mul_f32_e32 v21, v28, v22
	s_waitcnt vmcnt(3)
	v_cvt_f32_f16_e32 v22, v40
	s_waitcnt lgkmcnt(3)
	v_fmac_f32_e32 v2, v21, v24
	v_mul_f32_e32 v21, v25, v29
	s_waitcnt vmcnt(2)
	v_cvt_f32_f16_e32 v18, v18
	s_waitcnt vmcnt(1)
	v_cvt_f32_f16_e32 v19, v19
	;; [unrolled: 2-line block ×3, first 2 shown]
	s_waitcnt lgkmcnt(2)
	v_fmac_f32_e32 v2, v21, v26
	v_mul_f32_e32 v18, v22, v18
	s_waitcnt lgkmcnt(1)
	v_fmac_f32_e32 v2, v18, v23
	v_mul_f32_e32 v18, v19, v20
	s_waitcnt lgkmcnt(0)
	v_fmac_f32_e32 v2, v18, v17
	s_cbranch_vccz .LBB169_9
.LBB169_6:                              ; =>This Inner Loop Header: Depth=1
	v_mov_b32_e32 v17, 0
	s_and_saveexec_b32 s1, s0
	s_cbranch_execz .LBB169_5
; %bb.7:                                ;   in Loop: Header=BB169_6 Depth=1
	v_mov_b32_e32 v17, 0
	s_mov_b32 s5, exec_lo
	v_cmpx_gt_i64_e64 s[8:9], v[4:5]
	s_cbranch_execz .LBB169_4
; %bb.8:                                ;   in Loop: Header=BB169_6 Depth=1
	global_load_dword v17, v[6:7], off
	s_branch .LBB169_4
.LBB169_9:
	v_mad_u32_u24 v3, 0x41, v1, v0
	s_mov_b32 s0, exec_lo
	v_lshl_add_u32 v4, v3, 2, 0
	v_sub_nc_u32_e32 v3, v3, v1
	v_mov_b32_e32 v1, 0
	ds_write_b32 v4, v2
	ds_write_b32 v4, v1 offset:2080
	s_waitcnt lgkmcnt(0)
	s_barrier
	buffer_gl0_inv
	v_cmpx_gt_u32_e32 0x800, v3
	s_cbranch_execz .LBB169_29
; %bb.10:
	v_and_b32_e32 v2, 31, v0
	v_lshrrev_b32_e32 v1, 5, v3
                                        ; implicit-def: $vgpr6
	v_cmp_gt_u32_e32 vcc_lo, 8, v2
	v_mul_u32_u24_e32 v2, 0x41, v2
	s_and_saveexec_b32 s0, vcc_lo
	s_cbranch_execz .LBB169_12
; %bb.11:
	v_lshlrev_b32_e32 v4, 2, v1
	v_lshlrev_b32_e32 v5, 2, v2
	v_add3_u32 v4, 0, v4, v5
	ds_read_b32 v6, v4
.LBB169_12:
	s_or_b32 exec_lo, exec_lo, s0
	v_mbcnt_lo_u32_b32 v7, -1, 0
	s_cmp_lg_u64 s[2:3], 0
	s_mov_b32 s7, 0
	s_cselect_b32 s1, -1, 0
	s_lshl_b64 s[4:5], s[6:7], 7
	v_xor_b32_e32 v4, 4, v7
	v_xor_b32_e32 v5, 2, v7
	;; [unrolled: 1-line block ×3, first 2 shown]
	v_cmp_gt_i32_e64 s0, 32, v4
	v_cndmask_b32_e64 v4, v7, v4, s0
	v_cmp_gt_i32_e64 s0, 32, v5
	v_lshlrev_b32_e32 v4, 2, v4
	v_cndmask_b32_e64 v5, v7, v5, s0
	v_cmp_gt_i32_e64 s0, 32, v9
	s_waitcnt lgkmcnt(0)
	ds_bpermute_b32 v8, v4, v6
	v_lshlrev_b32_e32 v5, 2, v5
	v_cndmask_b32_e64 v7, v7, v9, s0
	v_cmp_eq_u32_e64 s0, 0, v0
	s_and_b32 s1, s0, s1
	s_add_u32 s2, s2, s4
	s_addc_u32 s3, s3, s5
	s_waitcnt lgkmcnt(0)
	v_add_f32_e32 v6, v6, v8
	ds_bpermute_b32 v8, v5, v6
	s_waitcnt lgkmcnt(0)
	v_add_f32_e32 v8, v6, v8
	v_lshlrev_b32_e32 v6, 2, v7
	ds_bpermute_b32 v7, v6, v8
	s_waitcnt lgkmcnt(0)
	v_add_f32_e32 v0, v8, v7
	s_and_saveexec_b32 s0, s1
	s_cbranch_execz .LBB169_14
; %bb.13:
	v_cvt_f16_f32_e32 v7, v0
	v_lshlrev_b32_e32 v8, 1, v1
	global_store_short v8, v7, s[2:3]
.LBB169_14:
	s_or_b32 exec_lo, exec_lo, s0
	v_cmp_gt_u32_e64 s0, 0x600, v3
	s_and_b32 exec_lo, exec_lo, s0
	s_cbranch_execz .LBB169_29
; %bb.15:
	s_and_saveexec_b32 s0, vcc_lo
	s_cbranch_execz .LBB169_17
; %bb.16:
	v_lshlrev_b32_e32 v0, 2, v1
	v_lshlrev_b32_e32 v7, 2, v2
	v_add3_u32 v0, 0, v0, v7
	ds_read_b32 v0, v0 offset:64
.LBB169_17:
	s_or_b32 exec_lo, exec_lo, s0
	s_waitcnt lgkmcnt(0)
	ds_bpermute_b32 v7, v4, v0
	s_waitcnt lgkmcnt(0)
	v_add_f32_e32 v0, v0, v7
	ds_bpermute_b32 v7, v5, v0
	s_waitcnt lgkmcnt(0)
	v_add_f32_e32 v0, v0, v7
	;; [unrolled: 3-line block ×3, first 2 shown]
	s_and_saveexec_b32 s0, s1
	s_cbranch_execz .LBB169_19
; %bb.18:
	v_cvt_f16_f32_e32 v7, v0
	v_lshlrev_b32_e32 v8, 1, v1
	global_store_short v8, v7, s[2:3] offset:32
.LBB169_19:
	s_or_b32 exec_lo, exec_lo, s0
	v_cmp_gt_u32_e64 s0, 0x400, v3
	s_and_b32 exec_lo, exec_lo, s0
	s_cbranch_execz .LBB169_29
; %bb.20:
	s_and_saveexec_b32 s0, vcc_lo
	s_cbranch_execz .LBB169_22
; %bb.21:
	v_lshlrev_b32_e32 v0, 2, v1
	v_lshlrev_b32_e32 v7, 2, v2
	v_add3_u32 v0, 0, v0, v7
	ds_read_b32 v0, v0 offset:128
.LBB169_22:
	s_or_b32 exec_lo, exec_lo, s0
	s_waitcnt lgkmcnt(0)
	ds_bpermute_b32 v7, v4, v0
	s_waitcnt lgkmcnt(0)
	v_add_f32_e32 v0, v0, v7
	ds_bpermute_b32 v7, v5, v0
	s_waitcnt lgkmcnt(0)
	v_add_f32_e32 v0, v0, v7
	;; [unrolled: 3-line block ×3, first 2 shown]
	s_and_saveexec_b32 s0, s1
	s_cbranch_execz .LBB169_24
; %bb.23:
	v_cvt_f16_f32_e32 v7, v0
	v_lshlrev_b32_e32 v8, 1, v1
	global_store_short v8, v7, s[2:3] offset:64
.LBB169_24:
	s_or_b32 exec_lo, exec_lo, s0
	v_cmp_gt_u32_e64 s0, 0x200, v3
	s_and_b32 exec_lo, exec_lo, s0
	s_cbranch_execz .LBB169_29
; %bb.25:
	s_and_saveexec_b32 s0, vcc_lo
	s_cbranch_execz .LBB169_27
; %bb.26:
	v_lshlrev_b32_e32 v0, 2, v1
	v_lshlrev_b32_e32 v2, 2, v2
	v_add3_u32 v0, 0, v0, v2
	ds_read_b32 v0, v0 offset:192
.LBB169_27:
	s_or_b32 exec_lo, exec_lo, s0
	s_waitcnt lgkmcnt(0)
	ds_bpermute_b32 v2, v4, v0
	s_waitcnt lgkmcnt(0)
	v_add_f32_e32 v0, v0, v2
	ds_bpermute_b32 v2, v5, v0
	s_waitcnt lgkmcnt(0)
	v_add_f32_e32 v0, v0, v2
	ds_bpermute_b32 v2, v6, v0
	s_and_saveexec_b32 s0, s1
	s_xor_b32 s0, exec_lo, s0
	s_cbranch_execz .LBB169_29
; %bb.28:
	s_waitcnt lgkmcnt(0)
	v_add_f32_e32 v0, v0, v2
	v_lshlrev_b32_e32 v1, 1, v1
	v_cvt_f16_f32_e32 v0, v0
	global_store_short v1, v0, s[2:3] offset:96
.LBB169_29:
	s_endpgm
	.section	.rodata,"a",@progbits
	.p2align	6, 0x0
	.amdhsa_kernel _ZN2at6native12_GLOBAL__N_135GammaBetaBackwardCUDAKernelTemplateIN3c104HalfEfLj64ELj8ELj64ELb0ELb1ELb1EEEvllPKT_S7_PKT0_SA_PS5_SB_
		.amdhsa_group_segment_fixed_size 0
		.amdhsa_private_segment_fixed_size 0
		.amdhsa_kernarg_size 320
		.amdhsa_user_sgpr_count 6
		.amdhsa_user_sgpr_private_segment_buffer 1
		.amdhsa_user_sgpr_dispatch_ptr 0
		.amdhsa_user_sgpr_queue_ptr 0
		.amdhsa_user_sgpr_kernarg_segment_ptr 1
		.amdhsa_user_sgpr_dispatch_id 0
		.amdhsa_user_sgpr_flat_scratch_init 0
		.amdhsa_user_sgpr_private_segment_size 0
		.amdhsa_wavefront_size32 1
		.amdhsa_uses_dynamic_stack 0
		.amdhsa_system_sgpr_private_segment_wavefront_offset 0
		.amdhsa_system_sgpr_workgroup_id_x 1
		.amdhsa_system_sgpr_workgroup_id_y 1
		.amdhsa_system_sgpr_workgroup_id_z 0
		.amdhsa_system_sgpr_workgroup_info 0
		.amdhsa_system_vgpr_workitem_id 1
		.amdhsa_next_free_vgpr 41
		.amdhsa_next_free_sgpr 22
		.amdhsa_reserve_vcc 1
		.amdhsa_reserve_flat_scratch 0
		.amdhsa_float_round_mode_32 0
		.amdhsa_float_round_mode_16_64 0
		.amdhsa_float_denorm_mode_32 3
		.amdhsa_float_denorm_mode_16_64 3
		.amdhsa_dx10_clamp 1
		.amdhsa_ieee_mode 1
		.amdhsa_fp16_overflow 0
		.amdhsa_workgroup_processor_mode 1
		.amdhsa_memory_ordered 1
		.amdhsa_forward_progress 1
		.amdhsa_shared_vgpr_count 0
		.amdhsa_exception_fp_ieee_invalid_op 0
		.amdhsa_exception_fp_denorm_src 0
		.amdhsa_exception_fp_ieee_div_zero 0
		.amdhsa_exception_fp_ieee_overflow 0
		.amdhsa_exception_fp_ieee_underflow 0
		.amdhsa_exception_fp_ieee_inexact 0
		.amdhsa_exception_int_div_zero 0
	.end_amdhsa_kernel
	.section	.text._ZN2at6native12_GLOBAL__N_135GammaBetaBackwardCUDAKernelTemplateIN3c104HalfEfLj64ELj8ELj64ELb0ELb1ELb1EEEvllPKT_S7_PKT0_SA_PS5_SB_,"axG",@progbits,_ZN2at6native12_GLOBAL__N_135GammaBetaBackwardCUDAKernelTemplateIN3c104HalfEfLj64ELj8ELj64ELb0ELb1ELb1EEEvllPKT_S7_PKT0_SA_PS5_SB_,comdat
.Lfunc_end169:
	.size	_ZN2at6native12_GLOBAL__N_135GammaBetaBackwardCUDAKernelTemplateIN3c104HalfEfLj64ELj8ELj64ELb0ELb1ELb1EEEvllPKT_S7_PKT0_SA_PS5_SB_, .Lfunc_end169-_ZN2at6native12_GLOBAL__N_135GammaBetaBackwardCUDAKernelTemplateIN3c104HalfEfLj64ELj8ELj64ELb0ELb1ELb1EEEvllPKT_S7_PKT0_SA_PS5_SB_
                                        ; -- End function
	.set _ZN2at6native12_GLOBAL__N_135GammaBetaBackwardCUDAKernelTemplateIN3c104HalfEfLj64ELj8ELj64ELb0ELb1ELb1EEEvllPKT_S7_PKT0_SA_PS5_SB_.num_vgpr, 41
	.set _ZN2at6native12_GLOBAL__N_135GammaBetaBackwardCUDAKernelTemplateIN3c104HalfEfLj64ELj8ELj64ELb0ELb1ELb1EEEvllPKT_S7_PKT0_SA_PS5_SB_.num_agpr, 0
	.set _ZN2at6native12_GLOBAL__N_135GammaBetaBackwardCUDAKernelTemplateIN3c104HalfEfLj64ELj8ELj64ELb0ELb1ELb1EEEvllPKT_S7_PKT0_SA_PS5_SB_.numbered_sgpr, 22
	.set _ZN2at6native12_GLOBAL__N_135GammaBetaBackwardCUDAKernelTemplateIN3c104HalfEfLj64ELj8ELj64ELb0ELb1ELb1EEEvllPKT_S7_PKT0_SA_PS5_SB_.num_named_barrier, 0
	.set _ZN2at6native12_GLOBAL__N_135GammaBetaBackwardCUDAKernelTemplateIN3c104HalfEfLj64ELj8ELj64ELb0ELb1ELb1EEEvllPKT_S7_PKT0_SA_PS5_SB_.private_seg_size, 0
	.set _ZN2at6native12_GLOBAL__N_135GammaBetaBackwardCUDAKernelTemplateIN3c104HalfEfLj64ELj8ELj64ELb0ELb1ELb1EEEvllPKT_S7_PKT0_SA_PS5_SB_.uses_vcc, 1
	.set _ZN2at6native12_GLOBAL__N_135GammaBetaBackwardCUDAKernelTemplateIN3c104HalfEfLj64ELj8ELj64ELb0ELb1ELb1EEEvllPKT_S7_PKT0_SA_PS5_SB_.uses_flat_scratch, 0
	.set _ZN2at6native12_GLOBAL__N_135GammaBetaBackwardCUDAKernelTemplateIN3c104HalfEfLj64ELj8ELj64ELb0ELb1ELb1EEEvllPKT_S7_PKT0_SA_PS5_SB_.has_dyn_sized_stack, 0
	.set _ZN2at6native12_GLOBAL__N_135GammaBetaBackwardCUDAKernelTemplateIN3c104HalfEfLj64ELj8ELj64ELb0ELb1ELb1EEEvllPKT_S7_PKT0_SA_PS5_SB_.has_recursion, 0
	.set _ZN2at6native12_GLOBAL__N_135GammaBetaBackwardCUDAKernelTemplateIN3c104HalfEfLj64ELj8ELj64ELb0ELb1ELb1EEEvllPKT_S7_PKT0_SA_PS5_SB_.has_indirect_call, 0
	.section	.AMDGPU.csdata,"",@progbits
; Kernel info:
; codeLenInByte = 1892
; TotalNumSgprs: 24
; NumVgprs: 41
; ScratchSize: 0
; MemoryBound: 0
; FloatMode: 240
; IeeeMode: 1
; LDSByteSize: 0 bytes/workgroup (compile time only)
; SGPRBlocks: 0
; VGPRBlocks: 5
; NumSGPRsForWavesPerEU: 24
; NumVGPRsForWavesPerEU: 41
; Occupancy: 16
; WaveLimiterHint : 0
; COMPUTE_PGM_RSRC2:SCRATCH_EN: 0
; COMPUTE_PGM_RSRC2:USER_SGPR: 6
; COMPUTE_PGM_RSRC2:TRAP_HANDLER: 0
; COMPUTE_PGM_RSRC2:TGID_X_EN: 1
; COMPUTE_PGM_RSRC2:TGID_Y_EN: 1
; COMPUTE_PGM_RSRC2:TGID_Z_EN: 0
; COMPUTE_PGM_RSRC2:TIDIG_COMP_CNT: 1
	.section	.text._ZN2at6native12_GLOBAL__N_135GammaBetaBackwardCUDAKernelTemplateIN3c104HalfEfLj64ELj8ELj64ELb0ELb0ELb1EEEvllPKT_S7_PKT0_SA_PS5_SB_,"axG",@progbits,_ZN2at6native12_GLOBAL__N_135GammaBetaBackwardCUDAKernelTemplateIN3c104HalfEfLj64ELj8ELj64ELb0ELb0ELb1EEEvllPKT_S7_PKT0_SA_PS5_SB_,comdat
	.globl	_ZN2at6native12_GLOBAL__N_135GammaBetaBackwardCUDAKernelTemplateIN3c104HalfEfLj64ELj8ELj64ELb0ELb0ELb1EEEvllPKT_S7_PKT0_SA_PS5_SB_ ; -- Begin function _ZN2at6native12_GLOBAL__N_135GammaBetaBackwardCUDAKernelTemplateIN3c104HalfEfLj64ELj8ELj64ELb0ELb0ELb1EEEvllPKT_S7_PKT0_SA_PS5_SB_
	.p2align	8
	.type	_ZN2at6native12_GLOBAL__N_135GammaBetaBackwardCUDAKernelTemplateIN3c104HalfEfLj64ELj8ELj64ELb0ELb0ELb1EEEvllPKT_S7_PKT0_SA_PS5_SB_,@function
_ZN2at6native12_GLOBAL__N_135GammaBetaBackwardCUDAKernelTemplateIN3c104HalfEfLj64ELj8ELj64ELb0ELb0ELb1EEEvllPKT_S7_PKT0_SA_PS5_SB_: ; @_ZN2at6native12_GLOBAL__N_135GammaBetaBackwardCUDAKernelTemplateIN3c104HalfEfLj64ELj8ELj64ELb0ELb0ELb1EEEvllPKT_S7_PKT0_SA_PS5_SB_
; %bb.0:
	s_clause 0x1
	s_load_dwordx8 s[8:15], s[4:5], 0x0
	s_load_dwordx2 s[2:3], s[4:5], 0x28
	s_lshl_b32 s26, s6, 6
	s_mov_b32 s17, 0
	s_or_b32 s16, s26, 63
	s_waitcnt lgkmcnt(0)
	v_cmp_le_i64_e64 s0, s[10:11], s[16:17]
	s_lshl_b32 s16, s7, 6
	v_cmp_gt_i64_e64 s7, s[8:9], s[16:17]
	s_and_b32 vcc_lo, exec_lo, s0
	v_cndmask_b32_e64 v2, 0, 1, s7
	v_cmp_ne_u32_e64 s0, 1, v2
	s_cbranch_vccz .LBB170_49
; %bb.1:
	v_mov_b32_e32 v85, 0
	s_and_b32 vcc_lo, exec_lo, s0
	s_cbranch_vccnz .LBB170_50
; %bb.2:
	v_lshlrev_b32_e32 v21, 3, v1
	v_mov_b32_e32 v2, 0
	v_add_nc_u32_e32 v5, s26, v0
	s_load_dword s1, s[4:5], 0x44
	s_add_u32 s18, s4, 64
	v_add_co_u32 v11, s0, v21, s16
	v_add_co_ci_u32_e64 v12, null, 0, 0, s0
	v_mov_b32_e32 v6, v2
	v_mul_lo_u32 v7, s11, v11
	v_mad_u64_u32 v[3:4], null, s10, v11, 0
	v_mul_lo_u32 v8, s10, v12
	v_cmp_gt_i64_e64 s0, s[10:11], v[5:6]
	v_lshlrev_b64 v[19:20], 1, v[5:6]
	s_addc_u32 s19, s5, 0
	v_mov_b32_e32 v54, 0
	s_mov_b64 s[24:25], s[16:17]
	v_add3_u32 v4, v4, v8, v7
	v_add_co_u32 v7, vcc_lo, v11, 7
	v_add_co_ci_u32_e64 v8, null, 0, v12, vcc_lo
	v_lshlrev_b64 v[5:6], 1, v[3:4]
	v_mul_lo_u32 v13, s11, v7
	s_waitcnt lgkmcnt(0)
	s_lshl_b32 s27, s1, 6
	v_mul_lo_u32 v14, s10, v8
	v_mad_u64_u32 v[7:8], null, s10, v7, 0
	v_add_co_u32 v22, vcc_lo, s12, v5
	v_add_co_ci_u32_e64 v23, null, s13, v6, vcc_lo
	v_add_co_u32 v9, vcc_lo, v11, 6
	v_add_co_ci_u32_e64 v10, null, 0, v12, vcc_lo
	v_add_co_u32 v24, vcc_lo, s14, v5
	v_mul_lo_u32 v15, s11, v9
	v_mul_lo_u32 v16, s10, v10
	v_mad_u64_u32 v[9:10], null, s10, v9, 0
	v_add3_u32 v8, v8, v14, v13
	v_add_co_ci_u32_e64 v25, null, s15, v6, vcc_lo
	v_add_co_u32 v13, vcc_lo, v11, 5
	v_add_co_ci_u32_e64 v14, null, 0, v12, vcc_lo
	v_add3_u32 v10, v10, v16, v15
	v_lshlrev_b64 v[5:6], 1, v[7:8]
	v_mul_lo_u32 v15, s11, v13
	v_mul_lo_u32 v14, s10, v14
	s_mul_i32 s1, s11, s27
	v_lshlrev_b64 v[7:8], 1, v[9:10]
	v_mad_u64_u32 v[9:10], null, s10, v13, 0
	v_add_co_u32 v26, vcc_lo, s12, v5
	v_add_co_ci_u32_e64 v27, null, s13, v6, vcc_lo
	v_add_co_u32 v28, vcc_lo, s14, v5
	v_add_co_ci_u32_e64 v29, null, s15, v6, vcc_lo
	v_add_co_u32 v30, vcc_lo, s12, v7
	v_add3_u32 v10, v10, v14, v15
	s_mul_hi_u32 s20, s10, s27
	v_add_co_ci_u32_e64 v31, null, s13, v8, vcc_lo
	v_add_co_u32 v13, vcc_lo, v11, 4
	s_add_i32 s21, s20, s1
	v_add_co_u32 v32, s1, s14, v7
	v_add_co_ci_u32_e64 v7, null, 0, v12, vcc_lo
	v_lshlrev_b64 v[5:6], 1, v[9:10]
	v_add_co_u32 v9, vcc_lo, v11, 3
	v_add_co_ci_u32_e64 v10, null, 0, v12, vcc_lo
	v_add_co_ci_u32_e64 v33, null, s15, v8, s1
	v_mul_lo_u32 v14, s11, v13
	v_mul_lo_u32 v15, s10, v7
	v_mad_u64_u32 v[7:8], null, s10, v13, 0
	v_mul_lo_u32 v13, s11, v9
	v_mul_lo_u32 v16, s10, v10
	v_mad_u64_u32 v[9:10], null, s10, v9, 0
	v_add_co_u32 v34, vcc_lo, s12, v5
	v_add_co_ci_u32_e64 v35, null, s13, v6, vcc_lo
	v_add3_u32 v8, v8, v15, v14
	v_add_co_u32 v36, vcc_lo, s14, v5
	v_add_co_ci_u32_e64 v37, null, s15, v6, vcc_lo
	v_add_co_u32 v11, vcc_lo, v11, 2
	v_add3_u32 v10, v10, v16, v13
	v_add_co_ci_u32_e64 v12, null, 0, v12, vcc_lo
	v_lshlrev_b64 v[5:6], 1, v[7:8]
	v_mul_lo_u32 v13, s11, v11
	v_lshlrev_b64 v[7:8], 1, v[9:10]
	v_mul_lo_u32 v12, s10, v12
	v_mad_u64_u32 v[9:10], null, s10, v11, 0
	v_add_co_u32 v38, vcc_lo, s12, v5
	v_add_co_ci_u32_e64 v39, null, s13, v6, vcc_lo
	v_add_co_u32 v40, vcc_lo, s14, v5
	v_add_co_ci_u32_e64 v41, null, s15, v6, vcc_lo
	;; [unrolled: 2-line block ×3, first 2 shown]
	v_add3_u32 v10, v10, v12, v13
	v_add_co_u32 v44, vcc_lo, s14, v7
	v_add_co_ci_u32_e64 v45, null, s15, v8, vcc_lo
	v_add_co_u32 v3, vcc_lo, v3, s10
	v_add_co_ci_u32_e64 v4, null, s11, v4, vcc_lo
	v_lshlrev_b64 v[5:6], 1, v[9:10]
	s_mul_i32 s20, s10, s27
	v_lshlrev_b64 v[3:4], 1, v[3:4]
	s_lshl_b64 s[20:21], s[20:21], 1
	s_add_u32 s22, s16, 63
	v_add_co_u32 v46, vcc_lo, s12, v5
	v_add_co_ci_u32_e64 v47, null, s13, v6, vcc_lo
	v_add_co_u32 v48, vcc_lo, s14, v5
	v_add_co_ci_u32_e64 v49, null, s15, v6, vcc_lo
	;; [unrolled: 2-line block ×4, first 2 shown]
	s_addc_u32 s23, 0, 0
.LBB170_3:                              ; =>This Inner Loop Header: Depth=1
	v_cmp_ge_i64_e64 s1, s[22:23], s[8:9]
	v_add_co_u32 v55, s28, v21, s22
	v_add_co_ci_u32_e64 v56, null, 0, s23, s28
                                        ; implicit-def: $vgpr3_vgpr4_vgpr5_vgpr6_vgpr7_vgpr8_vgpr9_vgpr10
                                        ; implicit-def: $vgpr85
                                        ; implicit-def: $vgpr11_vgpr12_vgpr13_vgpr14_vgpr15_vgpr16_vgpr17_vgpr18
                                        ; implicit-def: $vgpr3
	s_and_b32 vcc_lo, exec_lo, s1
	s_mov_b32 s1, -1
	s_cbranch_vccz .LBB170_25
; %bb.4:                                ;   in Loop: Header=BB170_3 Depth=1
	s_load_dword s1, s[18:19], 0xc
	v_mov_b32_e32 v57, 0
	s_waitcnt lgkmcnt(0)
	s_and_b32 s1, s1, 0xffff
	v_mad_u32_u24 v3, v1, s1, v0
	s_mov_b32 s1, exec_lo
	v_and_b32_e32 v3, 31, v3
	v_cmpx_gt_u32_e32 8, v3
	s_cbranch_execz .LBB170_8
; %bb.5:                                ;   in Loop: Header=BB170_3 Depth=1
	v_add_co_u32 v3, vcc_lo, v55, v3
	v_add_co_ci_u32_e64 v4, null, 0, v56, vcc_lo
	v_mov_b32_e32 v57, 0
	v_add_co_u32 v3, vcc_lo, 0xffffffc1, v3
	v_add_co_ci_u32_e64 v4, null, -1, v4, vcc_lo
	s_mov_b32 s28, exec_lo
	v_cmpx_gt_i64_e64 s[8:9], v[3:4]
	s_cbranch_execz .LBB170_7
; %bb.6:                                ;   in Loop: Header=BB170_3 Depth=1
	v_lshlrev_b64 v[3:4], 2, v[3:4]
	v_add_co_u32 v3, vcc_lo, s2, v3
	v_add_co_ci_u32_e64 v4, null, s3, v4, vcc_lo
	global_load_dword v57, v[3:4], off
.LBB170_7:                              ;   in Loop: Header=BB170_3 Depth=1
	s_or_b32 exec_lo, exec_lo, s28
.LBB170_8:                              ;   in Loop: Header=BB170_3 Depth=1
	s_or_b32 exec_lo, exec_lo, s1
	v_add_co_u32 v10, vcc_lo, 0xffffffc1, v55
	v_add_co_ci_u32_e64 v11, null, -1, v56, vcc_lo
	v_mov_b32_e32 v9, v2
	v_mov_b32_e32 v3, v2
	;; [unrolled: 1-line block ×7, first 2 shown]
	v_cmp_gt_i64_e32 vcc_lo, s[8:9], v[10:11]
	v_mov_b32_e32 v18, v9
	v_mov_b32_e32 v15, v6
	;; [unrolled: 1-line block ×16, first 2 shown]
	s_and_b32 s28, s0, vcc_lo
	s_and_saveexec_b32 s1, s28
	s_cbranch_execz .LBB170_10
; %bb.9:                                ;   in Loop: Header=BB170_3 Depth=1
	v_add_co_u32 v3, vcc_lo, v22, v19
	v_add_co_ci_u32_e64 v4, null, v23, v20, vcc_lo
	v_add_co_u32 v5, vcc_lo, v24, v19
	v_add_co_ci_u32_e64 v6, null, v25, v20, vcc_lo
	global_load_ushort v3, v[3:4], off
	global_load_ushort v11, v[5:6], off
	v_mov_b32_e32 v4, v2
	v_mov_b32_e32 v5, v2
	;; [unrolled: 1-line block ×14, first 2 shown]
	s_waitcnt vmcnt(1)
	v_cvt_f32_f16_e32 v3, v3
	s_waitcnt vmcnt(0)
	v_cvt_f32_f16_e32 v11, v11
.LBB170_10:                             ;   in Loop: Header=BB170_3 Depth=1
	s_or_b32 exec_lo, exec_lo, s1
	v_add_co_u32 v58, vcc_lo, 0xffffffc2, v55
	v_add_co_ci_u32_e64 v59, null, -1, v56, vcc_lo
	v_cmp_gt_i64_e32 vcc_lo, s[8:9], v[58:59]
	s_and_b32 s28, s0, vcc_lo
	s_and_saveexec_b32 s1, s28
	s_cbranch_execz .LBB170_12
; %bb.11:                               ;   in Loop: Header=BB170_3 Depth=1
	v_add_co_u32 v58, vcc_lo, v50, v19
	v_add_co_ci_u32_e64 v59, null, v51, v20, vcc_lo
	v_add_co_u32 v60, vcc_lo, v52, v19
	v_add_co_ci_u32_e64 v61, null, v53, v20, vcc_lo
	global_load_ushort v4, v[58:59], off
	global_load_ushort v12, v[60:61], off
	s_waitcnt vmcnt(1)
	v_cvt_f32_f16_e32 v4, v4
	s_waitcnt vmcnt(0)
	v_cvt_f32_f16_e32 v12, v12
.LBB170_12:                             ;   in Loop: Header=BB170_3 Depth=1
	s_or_b32 exec_lo, exec_lo, s1
	v_add_co_u32 v58, vcc_lo, 0xffffffc3, v55
	v_add_co_ci_u32_e64 v59, null, -1, v56, vcc_lo
	v_cmp_gt_i64_e32 vcc_lo, s[8:9], v[58:59]
	s_and_b32 s28, s0, vcc_lo
	s_and_saveexec_b32 s1, s28
	s_cbranch_execz .LBB170_14
; %bb.13:                               ;   in Loop: Header=BB170_3 Depth=1
	v_add_co_u32 v58, vcc_lo, v46, v19
	v_add_co_ci_u32_e64 v59, null, v47, v20, vcc_lo
	v_add_co_u32 v60, vcc_lo, v48, v19
	v_add_co_ci_u32_e64 v61, null, v49, v20, vcc_lo
	global_load_ushort v5, v[58:59], off
	global_load_ushort v13, v[60:61], off
	s_waitcnt vmcnt(1)
	v_cvt_f32_f16_e32 v5, v5
	s_waitcnt vmcnt(0)
	v_cvt_f32_f16_e32 v13, v13
.LBB170_14:                             ;   in Loop: Header=BB170_3 Depth=1
	;; [unrolled: 19-line block ×7, first 2 shown]
	s_or_b32 exec_lo, exec_lo, s1
	s_waitcnt vmcnt(0)
	ds_bpermute_b32 v58, v2, v57
	ds_bpermute_b32 v59, v2, v57 offset:4
	ds_bpermute_b32 v60, v2, v57 offset:8
	v_mul_f32_e32 v3, v11, v3
	ds_bpermute_b32 v11, v2, v57 offset:12
	v_mul_f32_e32 v4, v12, v4
	;; [unrolled: 2-line block ×3, first 2 shown]
	s_mov_b32 s1, 0
	s_waitcnt lgkmcnt(4)
	v_fma_f32 v85, v3, v58, v54
	v_mul_f32_e32 v3, v13, v5
	ds_bpermute_b32 v5, v2, v57 offset:20
	s_waitcnt lgkmcnt(4)
	v_fmac_f32_e32 v85, v4, v59
	v_mul_f32_e32 v4, v14, v6
	ds_bpermute_b32 v6, v2, v57 offset:24
	s_waitcnt lgkmcnt(4)
	v_fmac_f32_e32 v85, v3, v60
	ds_bpermute_b32 v3, v2, v57 offset:28
	s_waitcnt lgkmcnt(4)
	v_fmac_f32_e32 v85, v4, v11
	v_mul_f32_e32 v4, v16, v8
	s_waitcnt lgkmcnt(3)
	v_fmac_f32_e32 v85, v7, v12
	s_waitcnt lgkmcnt(2)
	v_fmac_f32_e32 v85, v4, v5
	v_mul_f32_e32 v4, v17, v9
	s_waitcnt lgkmcnt(1)
	v_fmac_f32_e32 v85, v4, v6
.LBB170_25:                             ;   in Loop: Header=BB170_3 Depth=1
	s_and_b32 vcc_lo, exec_lo, s1
	s_cbranch_vccz .LBB170_40
; %bb.26:                               ;   in Loop: Header=BB170_3 Depth=1
	s_load_dword s1, s[18:19], 0x0
	v_mov_b32_e32 v57, 0
	s_waitcnt lgkmcnt(0)
	s_cmp_lt_u32 s6, s1
	s_cselect_b32 s1, 12, 18
	s_add_u32 s28, s18, s1
	s_addc_u32 s29, s19, 0
	s_mov_b32 s1, exec_lo
	global_load_ushort v3, v2, s[28:29]
	s_waitcnt vmcnt(0)
	v_mad_u32_u24 v3, v1, v3, v0
	v_and_b32_e32 v3, 31, v3
	v_cmpx_gt_u32_e32 8, v3
	s_cbranch_execz .LBB170_30
; %bb.27:                               ;   in Loop: Header=BB170_3 Depth=1
	v_add_co_u32 v3, vcc_lo, v55, v3
	v_add_co_ci_u32_e64 v4, null, 0, v56, vcc_lo
	v_mov_b32_e32 v57, 0
	v_add_co_u32 v3, vcc_lo, 0xffffffc1, v3
	v_add_co_ci_u32_e64 v4, null, -1, v4, vcc_lo
	s_mov_b32 s28, exec_lo
	v_cmpx_gt_i64_e64 s[8:9], v[3:4]
	s_cbranch_execz .LBB170_29
; %bb.28:                               ;   in Loop: Header=BB170_3 Depth=1
	v_lshlrev_b64 v[3:4], 2, v[3:4]
	v_add_co_u32 v3, vcc_lo, s2, v3
	v_add_co_ci_u32_e64 v4, null, s3, v4, vcc_lo
	global_load_dword v57, v[3:4], off
.LBB170_29:                             ;   in Loop: Header=BB170_3 Depth=1
	s_or_b32 exec_lo, exec_lo, s28
.LBB170_30:                             ;   in Loop: Header=BB170_3 Depth=1
	s_or_b32 exec_lo, exec_lo, s1
	v_mov_b32_e32 v9, v2
	v_mov_b32_e32 v3, v2
	;; [unrolled: 1-line block ×23, first 2 shown]
	s_and_saveexec_b32 s1, s0
	s_cbranch_execnz .LBB170_42
; %bb.31:                               ;   in Loop: Header=BB170_3 Depth=1
	s_or_b32 exec_lo, exec_lo, s1
	s_and_saveexec_b32 s1, s0
	s_cbranch_execnz .LBB170_43
.LBB170_32:                             ;   in Loop: Header=BB170_3 Depth=1
	s_or_b32 exec_lo, exec_lo, s1
	s_and_saveexec_b32 s1, s0
	s_cbranch_execnz .LBB170_44
.LBB170_33:                             ;   in Loop: Header=BB170_3 Depth=1
	s_or_b32 exec_lo, exec_lo, s1
	s_and_saveexec_b32 s1, s0
	s_cbranch_execnz .LBB170_45
.LBB170_34:                             ;   in Loop: Header=BB170_3 Depth=1
	s_or_b32 exec_lo, exec_lo, s1
	s_and_saveexec_b32 s1, s0
	s_cbranch_execnz .LBB170_46
.LBB170_35:                             ;   in Loop: Header=BB170_3 Depth=1
	s_or_b32 exec_lo, exec_lo, s1
	s_and_saveexec_b32 s1, s0
	s_cbranch_execnz .LBB170_47
.LBB170_36:                             ;   in Loop: Header=BB170_3 Depth=1
	s_or_b32 exec_lo, exec_lo, s1
	s_and_saveexec_b32 s1, s0
	s_cbranch_execnz .LBB170_48
.LBB170_37:                             ;   in Loop: Header=BB170_3 Depth=1
	s_or_b32 exec_lo, exec_lo, s1
	s_and_saveexec_b32 s1, s0
	s_cbranch_execz .LBB170_39
.LBB170_38:                             ;   in Loop: Header=BB170_3 Depth=1
	v_add_co_u32 v55, vcc_lo, v26, v19
	v_add_co_ci_u32_e64 v56, null, v27, v20, vcc_lo
	v_add_co_u32 v58, vcc_lo, v28, v19
	v_add_co_ci_u32_e64 v59, null, v29, v20, vcc_lo
	global_load_ushort v10, v[55:56], off
	global_load_ushort v18, v[58:59], off
	s_waitcnt vmcnt(1)
	v_cvt_f32_f16_e32 v10, v10
	s_waitcnt vmcnt(0)
	v_cvt_f32_f16_e32 v18, v18
.LBB170_39:                             ;   in Loop: Header=BB170_3 Depth=1
	s_or_b32 exec_lo, exec_lo, s1
	s_waitcnt vmcnt(0)
	ds_bpermute_b32 v55, v2, v57
	ds_bpermute_b32 v56, v2, v57 offset:4
	ds_bpermute_b32 v58, v2, v57 offset:8
	v_mul_f32_e32 v3, v11, v3
	ds_bpermute_b32 v11, v2, v57 offset:12
	v_mul_f32_e32 v4, v12, v4
	ds_bpermute_b32 v12, v2, v57 offset:16
	s_waitcnt lgkmcnt(4)
	v_fmac_f32_e32 v54, v3, v55
	v_mul_f32_e32 v3, v13, v5
	ds_bpermute_b32 v5, v2, v57 offset:20
	s_waitcnt lgkmcnt(4)
	v_fmac_f32_e32 v54, v4, v56
	;; [unrolled: 4-line block ×3, first 2 shown]
	v_mul_f32_e32 v3, v15, v7
	s_waitcnt lgkmcnt(3)
	v_fmac_f32_e32 v54, v4, v11
	v_mul_f32_e32 v4, v16, v8
	s_waitcnt lgkmcnt(2)
	v_fmac_f32_e32 v54, v3, v12
	ds_bpermute_b32 v3, v2, v57 offset:28
	s_waitcnt lgkmcnt(2)
	v_fmac_f32_e32 v54, v4, v5
	v_mul_f32_e32 v4, v17, v9
	s_waitcnt lgkmcnt(1)
	v_fmac_f32_e32 v54, v4, v6
	v_mov_b32_e32 v85, v54
.LBB170_40:                             ;   in Loop: Header=BB170_3 Depth=1
	v_add_co_u32 v22, vcc_lo, v22, s20
	v_add_co_ci_u32_e64 v23, null, s21, v23, vcc_lo
	v_add_co_u32 v24, vcc_lo, v24, s20
	v_add_co_ci_u32_e64 v25, null, s21, v25, vcc_lo
	;; [unrolled: 2-line block ×12, first 2 shown]
	v_add_co_u32 v46, vcc_lo, v46, s20
	s_add_u32 s24, s24, s27
	v_add_co_ci_u32_e64 v47, null, s21, v47, vcc_lo
	v_add_co_u32 v48, vcc_lo, v48, s20
	v_mul_f32_e32 v4, v10, v18
	s_addc_u32 s25, s25, 0
	v_add_co_ci_u32_e64 v49, null, s21, v49, vcc_lo
	v_add_co_u32 v50, vcc_lo, v50, s20
	v_cmp_lt_i64_e64 s1, s[24:25], s[8:9]
	v_add_co_ci_u32_e64 v51, null, s21, v51, vcc_lo
	v_add_co_u32 v52, vcc_lo, v52, s20
	s_waitcnt lgkmcnt(0)
	v_fmac_f32_e32 v85, v4, v3
	v_add_co_ci_u32_e64 v53, null, s21, v53, vcc_lo
	s_add_u32 s22, s22, s27
	s_addc_u32 s23, s23, 0
	s_and_b32 vcc_lo, exec_lo, s1
	s_cbranch_vccz .LBB170_50
; %bb.41:                               ;   in Loop: Header=BB170_3 Depth=1
	v_mov_b32_e32 v54, v85
	s_branch .LBB170_3
.LBB170_42:                             ;   in Loop: Header=BB170_3 Depth=1
	v_add_co_u32 v3, vcc_lo, v22, v19
	v_add_co_ci_u32_e64 v4, null, v23, v20, vcc_lo
	v_add_co_u32 v5, vcc_lo, v24, v19
	v_add_co_ci_u32_e64 v6, null, v25, v20, vcc_lo
	global_load_ushort v3, v[3:4], off
	global_load_ushort v11, v[5:6], off
	v_mov_b32_e32 v4, v2
	v_mov_b32_e32 v5, v2
	;; [unrolled: 1-line block ×14, first 2 shown]
	s_waitcnt vmcnt(1)
	v_cvt_f32_f16_e32 v3, v3
	s_waitcnt vmcnt(0)
	v_cvt_f32_f16_e32 v11, v11
	s_or_b32 exec_lo, exec_lo, s1
	s_and_saveexec_b32 s1, s0
	s_cbranch_execz .LBB170_32
.LBB170_43:                             ;   in Loop: Header=BB170_3 Depth=1
	v_add_co_u32 v55, vcc_lo, v50, v19
	v_add_co_ci_u32_e64 v56, null, v51, v20, vcc_lo
	v_add_co_u32 v58, vcc_lo, v52, v19
	v_add_co_ci_u32_e64 v59, null, v53, v20, vcc_lo
	global_load_ushort v4, v[55:56], off
	global_load_ushort v12, v[58:59], off
	s_waitcnt vmcnt(1)
	v_cvt_f32_f16_e32 v4, v4
	s_waitcnt vmcnt(0)
	v_cvt_f32_f16_e32 v12, v12
	s_or_b32 exec_lo, exec_lo, s1
	s_and_saveexec_b32 s1, s0
	s_cbranch_execz .LBB170_33
.LBB170_44:                             ;   in Loop: Header=BB170_3 Depth=1
	v_add_co_u32 v55, vcc_lo, v46, v19
	v_add_co_ci_u32_e64 v56, null, v47, v20, vcc_lo
	v_add_co_u32 v58, vcc_lo, v48, v19
	v_add_co_ci_u32_e64 v59, null, v49, v20, vcc_lo
	global_load_ushort v5, v[55:56], off
	global_load_ushort v13, v[58:59], off
	s_waitcnt vmcnt(1)
	v_cvt_f32_f16_e32 v5, v5
	s_waitcnt vmcnt(0)
	v_cvt_f32_f16_e32 v13, v13
	s_or_b32 exec_lo, exec_lo, s1
	s_and_saveexec_b32 s1, s0
	s_cbranch_execz .LBB170_34
.LBB170_45:                             ;   in Loop: Header=BB170_3 Depth=1
	v_add_co_u32 v55, vcc_lo, v42, v19
	v_add_co_ci_u32_e64 v56, null, v43, v20, vcc_lo
	v_add_co_u32 v58, vcc_lo, v44, v19
	v_add_co_ci_u32_e64 v59, null, v45, v20, vcc_lo
	global_load_ushort v6, v[55:56], off
	global_load_ushort v14, v[58:59], off
	s_waitcnt vmcnt(1)
	v_cvt_f32_f16_e32 v6, v6
	s_waitcnt vmcnt(0)
	v_cvt_f32_f16_e32 v14, v14
	s_or_b32 exec_lo, exec_lo, s1
	s_and_saveexec_b32 s1, s0
	s_cbranch_execz .LBB170_35
.LBB170_46:                             ;   in Loop: Header=BB170_3 Depth=1
	v_add_co_u32 v55, vcc_lo, v38, v19
	v_add_co_ci_u32_e64 v56, null, v39, v20, vcc_lo
	v_add_co_u32 v58, vcc_lo, v40, v19
	v_add_co_ci_u32_e64 v59, null, v41, v20, vcc_lo
	global_load_ushort v7, v[55:56], off
	global_load_ushort v15, v[58:59], off
	s_waitcnt vmcnt(1)
	v_cvt_f32_f16_e32 v7, v7
	s_waitcnt vmcnt(0)
	v_cvt_f32_f16_e32 v15, v15
	s_or_b32 exec_lo, exec_lo, s1
	s_and_saveexec_b32 s1, s0
	s_cbranch_execz .LBB170_36
.LBB170_47:                             ;   in Loop: Header=BB170_3 Depth=1
	v_add_co_u32 v55, vcc_lo, v34, v19
	v_add_co_ci_u32_e64 v56, null, v35, v20, vcc_lo
	v_add_co_u32 v58, vcc_lo, v36, v19
	v_add_co_ci_u32_e64 v59, null, v37, v20, vcc_lo
	global_load_ushort v8, v[55:56], off
	global_load_ushort v16, v[58:59], off
	s_waitcnt vmcnt(1)
	v_cvt_f32_f16_e32 v8, v8
	s_waitcnt vmcnt(0)
	v_cvt_f32_f16_e32 v16, v16
	s_or_b32 exec_lo, exec_lo, s1
	s_and_saveexec_b32 s1, s0
	s_cbranch_execz .LBB170_37
.LBB170_48:                             ;   in Loop: Header=BB170_3 Depth=1
	v_add_co_u32 v55, vcc_lo, v30, v19
	v_add_co_ci_u32_e64 v56, null, v31, v20, vcc_lo
	v_add_co_u32 v58, vcc_lo, v32, v19
	v_add_co_ci_u32_e64 v59, null, v33, v20, vcc_lo
	global_load_ushort v9, v[55:56], off
	global_load_ushort v17, v[58:59], off
	s_waitcnt vmcnt(1)
	v_cvt_f32_f16_e32 v9, v9
	s_waitcnt vmcnt(0)
	v_cvt_f32_f16_e32 v17, v17
	s_or_b32 exec_lo, exec_lo, s1
	s_and_saveexec_b32 s1, s0
	s_cbranch_execnz .LBB170_38
	s_branch .LBB170_39
.LBB170_49:
                                        ; implicit-def: $vgpr85
	s_branch .LBB170_51
.LBB170_50:
	s_cbranch_execnz .LBB170_83
.LBB170_51:
	v_mov_b32_e32 v85, 0
	s_andn2_b32 vcc_lo, exec_lo, s7
	s_cbranch_vccnz .LBB170_83
; %bb.52:
	s_load_dword s7, s[4:5], 0x44
	v_lshlrev_b32_e32 v49, 3, v1
	v_lshlrev_b32_e32 v6, 4, v1
	v_mov_b32_e32 v82, 0
	v_add_co_u32 v10, s0, v49, s16
	v_add_co_ci_u32_e64 v11, null, 0, 0, s0
	s_add_u32 s0, s4, 64
	v_mul_lo_u32 v4, s11, v10
	v_mad_u64_u32 v[2:3], null, s10, v10, 0
	v_mul_lo_u32 v5, s10, v11
	s_addc_u32 s1, s5, 0
	s_waitcnt lgkmcnt(0)
	s_lshl_b32 s7, s7, 6
	v_add3_u32 v3, v3, v5, v4
	s_mul_i32 s19, s11, s7
	s_mul_hi_u32 s20, s10, s7
	s_mul_i32 s18, s10, s7
	s_add_i32 s19, s20, s19
	v_lshlrev_b64 v[4:5], 1, v[2:3]
	s_lshl_b64 s[18:19], s[18:19], 1
	s_add_u32 s20, s16, 63
	s_addc_u32 s21, 0, 0
	s_lshl_b64 s[22:23], s[16:17], 1
	v_add_co_u32 v6, s22, v6, s22
	v_add_co_ci_u32_e64 v7, null, 0, s23, s22
	v_add_co_u32 v8, vcc_lo, v6, 2
	v_add_co_ci_u32_e64 v9, null, 0, v7, vcc_lo
	v_add_co_u32 v50, vcc_lo, s12, v4
	v_add_co_ci_u32_e64 v51, null, s13, v5, vcc_lo
	;; [unrolled: 2-line block ×6, first 2 shown]
	v_add_co_u32 v41, vcc_lo, v6, 10
	v_mad_u64_u32 v[21:22], null, s10, v4, s[12:13]
	v_mul_lo_u32 v5, s10, v5
	v_mul_lo_u32 v15, s11, v4
	v_mad_u64_u32 v[35:36], null, s10, v4, s[14:15]
	v_add_co_ci_u32_e64 v29, null, 0, v7, vcc_lo
	v_add_co_u32 v43, vcc_lo, v6, 12
	v_add_co_ci_u32_e64 v31, null, 0, v7, vcc_lo
	v_add_co_u32 v6, vcc_lo, v6, 14
	v_mad_u64_u32 v[19:20], null, s10, v8, s[12:13]
	v_mul_lo_u32 v9, s10, v9
	v_mul_lo_u32 v12, s11, v8
	v_mad_u64_u32 v[33:34], null, s10, v8, s[14:15]
	v_add_co_ci_u32_e64 v7, null, 0, v7, vcc_lo
	v_add_co_u32 v4, vcc_lo, v10, 7
	v_add3_u32 v22, v15, v22, v5
	v_add3_u32 v36, v15, v36, v5
	v_add_co_ci_u32_e64 v5, null, 0, v11, vcc_lo
	v_mul_lo_u32 v57, s10, v7
	v_add_co_u32 v7, vcc_lo, v10, 6
	v_add3_u32 v20, v12, v20, v9
	v_add3_u32 v34, v12, v34, v9
	v_add_co_ci_u32_e64 v12, null, 0, v11, vcc_lo
	v_mul_lo_u32 v8, s11, v4
	v_mul_lo_u32 v9, s10, v5
	v_mad_u64_u32 v[4:5], null, s10, v4, 0
	v_mad_u64_u32 v[23:24], null, s10, v13, s[12:13]
	v_mul_lo_u32 v17, s11, v13
	v_mul_lo_u32 v55, s10, v31
	v_mad_u64_u32 v[31:32], null, s10, v6, s[12:13]
	v_mul_lo_u32 v58, s11, v6
	v_mad_u64_u32 v[37:38], null, s10, v13, s[14:15]
	v_mad_u64_u32 v[45:46], null, s10, v6, s[14:15]
	v_mul_lo_u32 v13, s11, v7
	v_mul_lo_u32 v12, s10, v12
	v_mad_u64_u32 v[6:7], null, s10, v7, 0
	v_add3_u32 v5, v5, v9, v8
	v_add_co_u32 v8, vcc_lo, v10, 5
	v_mad_u64_u32 v[27:28], null, s10, v41, s[12:13]
	v_mul_lo_u32 v48, s10, v29
	v_mul_lo_u32 v54, s11, v41
	v_mad_u64_u32 v[41:42], null, s10, v41, s[14:15]
	v_add3_u32 v7, v7, v12, v13
	v_add_co_ci_u32_e64 v9, null, 0, v11, vcc_lo
	v_mad_u64_u32 v[29:30], null, s10, v43, s[12:13]
	v_mul_lo_u32 v56, s11, v43
	v_mad_u64_u32 v[43:44], null, s10, v43, s[14:15]
	v_lshlrev_b64 v[4:5], 1, v[4:5]
	v_lshlrev_b64 v[6:7], 1, v[6:7]
	v_mul_lo_u32 v12, s11, v8
	v_mul_lo_u32 v13, s10, v9
	v_mad_u64_u32 v[8:9], null, s10, v8, 0
	v_add3_u32 v28, v54, v28, v48
	v_add3_u32 v42, v54, v42, v48
	v_add_co_u32 v54, vcc_lo, s12, v4
	v_add3_u32 v30, v56, v30, v55
	v_add3_u32 v44, v56, v44, v55
	v_add_co_ci_u32_e64 v55, null, s13, v5, vcc_lo
	v_add_co_u32 v56, vcc_lo, s14, v4
	v_add3_u32 v32, v58, v32, v57
	v_add3_u32 v46, v58, v46, v57
	v_add_co_ci_u32_e64 v57, null, s15, v5, vcc_lo
	v_add_co_u32 v58, vcc_lo, s12, v6
	v_add_co_ci_u32_e64 v59, null, s13, v7, vcc_lo
	v_add3_u32 v9, v9, v13, v12
	v_add_co_u32 v12, vcc_lo, v10, 4
	v_add_co_ci_u32_e64 v13, null, 0, v11, vcc_lo
	v_add_co_u32 v60, vcc_lo, s14, v6
	v_add_co_ci_u32_e64 v61, null, s15, v7, vcc_lo
	v_lshlrev_b64 v[4:5], 1, v[8:9]
	v_mul_lo_u32 v8, s11, v12
	v_mul_lo_u32 v9, s10, v13
	v_mad_u64_u32 v[6:7], null, s10, v12, 0
	v_mul_lo_u32 v14, s10, v14
	v_add_co_u32 v12, vcc_lo, v10, 3
	v_add_co_ci_u32_e64 v13, null, 0, v11, vcc_lo
	v_add_co_u32 v62, vcc_lo, s12, v4
	v_add_co_ci_u32_e64 v63, null, s13, v5, vcc_lo
	v_add3_u32 v7, v7, v9, v8
	v_add_co_u32 v10, vcc_lo, v10, 2
	v_add3_u32 v24, v17, v24, v14
	v_add3_u32 v38, v17, v38, v14
	v_mul_lo_u32 v14, s11, v12
	v_mul_lo_u32 v13, s10, v13
	v_mad_u64_u32 v[8:9], null, s10, v12, 0
	v_add_co_ci_u32_e64 v11, null, 0, v11, vcc_lo
	v_add_co_u32 v64, vcc_lo, s14, v4
	v_add_co_ci_u32_e64 v65, null, s15, v5, vcc_lo
	v_lshlrev_b64 v[4:5], 1, v[6:7]
	v_mul_lo_u32 v12, s11, v10
	v_mul_lo_u32 v11, s10, v11
	v_mad_u64_u32 v[6:7], null, s10, v10, 0
	v_add3_u32 v9, v9, v13, v14
	v_add_co_u32 v66, vcc_lo, s12, v4
	v_add_co_ci_u32_e64 v67, null, s13, v5, vcc_lo
	v_add_co_u32 v68, vcc_lo, s14, v4
	v_add_co_ci_u32_e64 v69, null, s15, v5, vcc_lo
	v_lshlrev_b64 v[4:5], 1, v[8:9]
	v_add3_u32 v7, v7, v11, v12
	v_add_co_u32 v2, vcc_lo, v2, s10
	v_add_co_ci_u32_e64 v3, null, s11, v3, vcc_lo
	v_lshlrev_b64 v[6:7], 1, v[6:7]
	v_add_co_u32 v70, vcc_lo, s12, v4
	v_add_co_ci_u32_e64 v71, null, s13, v5, vcc_lo
	v_add_co_u32 v72, vcc_lo, s14, v4
	v_lshlrev_b64 v[3:4], 1, v[2:3]
	v_mov_b32_e32 v2, 0
	v_mad_u64_u32 v[25:26], null, s10, v16, s[12:13]
	v_mul_lo_u32 v18, s10, v18
	v_mul_lo_u32 v47, s11, v16
	v_mad_u64_u32 v[39:40], null, s10, v16, s[14:15]
	v_add_co_ci_u32_e64 v73, null, s15, v5, vcc_lo
	v_add_co_u32 v74, vcc_lo, s12, v6
	v_add_co_ci_u32_e64 v75, null, s13, v7, vcc_lo
	v_add_co_u32 v76, vcc_lo, s14, v6
	v_add_nc_u32_e32 v5, s26, v0
	v_mov_b32_e32 v6, v2
	v_add_co_ci_u32_e64 v77, null, s15, v7, vcc_lo
	v_add_co_u32 v78, vcc_lo, s12, v3
	v_add_co_ci_u32_e64 v79, null, s13, v4, vcc_lo
	v_add_co_u32 v80, vcc_lo, s14, v3
	v_add3_u32 v26, v47, v26, v18
	v_add3_u32 v40, v47, v40, v18
	v_lshlrev_b64 v[47:48], 1, v[5:6]
	v_add_co_ci_u32_e64 v81, null, s15, v4, vcc_lo
.LBB170_53:                             ; =>This Inner Loop Header: Depth=1
	v_cmp_ge_i64_e64 s12, s[20:21], s[8:9]
	v_add_co_u32 v83, s13, v49, s20
	v_add_co_ci_u32_e64 v84, null, 0, s21, s13
                                        ; implicit-def: $vgpr85
	s_and_b32 vcc_lo, exec_lo, s12
	s_mov_b32 s12, -1
	s_cbranch_vccz .LBB170_75
; %bb.54:                               ;   in Loop: Header=BB170_53 Depth=1
	s_load_dword s12, s[0:1], 0xc
	v_mov_b32_e32 v86, 0
	s_waitcnt lgkmcnt(0)
	s_and_b32 s12, s12, 0xffff
	v_mad_u32_u24 v3, v1, s12, v0
	s_mov_b32 s12, exec_lo
	v_and_b32_e32 v3, 31, v3
	v_cmpx_gt_u32_e32 8, v3
	s_cbranch_execz .LBB170_58
; %bb.55:                               ;   in Loop: Header=BB170_53 Depth=1
	v_add_co_u32 v3, vcc_lo, v83, v3
	v_add_co_ci_u32_e64 v4, null, 0, v84, vcc_lo
	v_mov_b32_e32 v86, 0
	v_add_co_u32 v3, vcc_lo, 0xffffffc1, v3
	v_add_co_ci_u32_e64 v4, null, -1, v4, vcc_lo
	s_mov_b32 s13, exec_lo
	v_cmpx_gt_i64_e64 s[8:9], v[3:4]
	s_cbranch_execz .LBB170_57
; %bb.56:                               ;   in Loop: Header=BB170_53 Depth=1
	v_lshlrev_b64 v[3:4], 2, v[3:4]
	v_add_co_u32 v3, vcc_lo, s2, v3
	v_add_co_ci_u32_e64 v4, null, s3, v4, vcc_lo
	global_load_dword v86, v[3:4], off
.LBB170_57:                             ;   in Loop: Header=BB170_53 Depth=1
	s_or_b32 exec_lo, exec_lo, s13
.LBB170_58:                             ;   in Loop: Header=BB170_53 Depth=1
	s_or_b32 exec_lo, exec_lo, s12
	v_add_co_u32 v10, vcc_lo, 0xffffffc1, v83
	v_add_co_ci_u32_e64 v11, null, -1, v84, vcc_lo
	v_mov_b32_e32 v9, v2
	v_mov_b32_e32 v3, v2
	;; [unrolled: 1-line block ×7, first 2 shown]
	v_cmp_gt_i64_e32 vcc_lo, s[8:9], v[10:11]
	v_mov_b32_e32 v18, v9
	v_mov_b32_e32 v15, v6
	v_mov_b32_e32 v16, v7
	v_mov_b32_e32 v17, v8
	v_mov_b32_e32 v14, v5
	v_mov_b32_e32 v13, v4
	v_mov_b32_e32 v12, v3
	v_mov_b32_e32 v11, v2
	v_mov_b32_e32 v10, v9
	v_mov_b32_e32 v9, v8
	v_mov_b32_e32 v8, v7
	v_mov_b32_e32 v7, v6
	v_mov_b32_e32 v6, v5
	v_mov_b32_e32 v5, v4
	v_mov_b32_e32 v4, v3
	v_mov_b32_e32 v3, v2
	s_and_saveexec_b32 s12, vcc_lo
	s_cbranch_execz .LBB170_60
; %bb.59:                               ;   in Loop: Header=BB170_53 Depth=1
	v_add_co_u32 v3, vcc_lo, v50, v47
	v_add_co_ci_u32_e64 v4, null, v51, v48, vcc_lo
	v_add_co_u32 v5, vcc_lo, v52, v47
	v_add_co_ci_u32_e64 v6, null, v53, v48, vcc_lo
	global_load_ushort v3, v[3:4], off
	global_load_ushort v11, v[5:6], off
	v_mov_b32_e32 v4, v2
	v_mov_b32_e32 v5, v2
	;; [unrolled: 1-line block ×14, first 2 shown]
	s_waitcnt vmcnt(1)
	v_cvt_f32_f16_e32 v3, v3
	s_waitcnt vmcnt(0)
	v_cvt_f32_f16_e32 v11, v11
.LBB170_60:                             ;   in Loop: Header=BB170_53 Depth=1
	s_or_b32 exec_lo, exec_lo, s12
	v_add_co_u32 v87, vcc_lo, 0xffffffc2, v83
	v_add_co_ci_u32_e64 v88, null, -1, v84, vcc_lo
	s_mov_b32 s12, exec_lo
	v_cmpx_gt_i64_e64 s[8:9], v[87:88]
	s_cbranch_execz .LBB170_62
; %bb.61:                               ;   in Loop: Header=BB170_53 Depth=1
	v_add_co_u32 v87, vcc_lo, v78, v47
	v_add_co_ci_u32_e64 v88, null, v79, v48, vcc_lo
	v_add_co_u32 v89, vcc_lo, v80, v47
	v_add_co_ci_u32_e64 v90, null, v81, v48, vcc_lo
	global_load_ushort v4, v[87:88], off
	global_load_ushort v12, v[89:90], off
	s_waitcnt vmcnt(1)
	v_cvt_f32_f16_e32 v4, v4
	s_waitcnt vmcnt(0)
	v_cvt_f32_f16_e32 v12, v12
.LBB170_62:                             ;   in Loop: Header=BB170_53 Depth=1
	s_or_b32 exec_lo, exec_lo, s12
	v_add_co_u32 v87, vcc_lo, 0xffffffc3, v83
	v_add_co_ci_u32_e64 v88, null, -1, v84, vcc_lo
	s_mov_b32 s12, exec_lo
	v_cmpx_gt_i64_e64 s[8:9], v[87:88]
	s_cbranch_execz .LBB170_64
; %bb.63:                               ;   in Loop: Header=BB170_53 Depth=1
	v_add_co_u32 v87, vcc_lo, v74, v47
	v_add_co_ci_u32_e64 v88, null, v75, v48, vcc_lo
	v_add_co_u32 v89, vcc_lo, v76, v47
	v_add_co_ci_u32_e64 v90, null, v77, v48, vcc_lo
	global_load_ushort v5, v[87:88], off
	global_load_ushort v13, v[89:90], off
	s_waitcnt vmcnt(1)
	v_cvt_f32_f16_e32 v5, v5
	s_waitcnt vmcnt(0)
	v_cvt_f32_f16_e32 v13, v13
.LBB170_64:                             ;   in Loop: Header=BB170_53 Depth=1
	;; [unrolled: 18-line block ×7, first 2 shown]
	s_or_b32 exec_lo, exec_lo, s12
	s_waitcnt vmcnt(0)
	ds_bpermute_b32 v85, v2, v86
	ds_bpermute_b32 v87, v2, v86 offset:4
	ds_bpermute_b32 v88, v2, v86 offset:8
	v_mul_f32_e32 v3, v11, v3
	ds_bpermute_b32 v11, v2, v86 offset:12
	v_mul_f32_e32 v4, v12, v4
	ds_bpermute_b32 v12, v2, v86 offset:16
	s_mov_b32 s12, 0
	s_waitcnt lgkmcnt(4)
	v_fma_f32 v85, v3, v85, v82
	v_mul_f32_e32 v3, v13, v5
	ds_bpermute_b32 v5, v2, v86 offset:20
	s_waitcnt lgkmcnt(4)
	v_fmac_f32_e32 v85, v4, v87
	v_mul_f32_e32 v4, v14, v6
	ds_bpermute_b32 v6, v2, v86 offset:24
	s_waitcnt lgkmcnt(4)
	v_fmac_f32_e32 v85, v3, v88
	v_mul_f32_e32 v3, v15, v7
	v_mul_f32_e32 v7, v16, v8
	s_waitcnt lgkmcnt(3)
	v_fmac_f32_e32 v85, v4, v11
	ds_bpermute_b32 v4, v2, v86 offset:28
	s_waitcnt lgkmcnt(3)
	v_fmac_f32_e32 v85, v3, v12
	v_mul_f32_e32 v3, v17, v9
	s_waitcnt lgkmcnt(2)
	v_fmac_f32_e32 v85, v7, v5
	s_waitcnt lgkmcnt(1)
	v_fmac_f32_e32 v85, v3, v6
	v_mul_f32_e32 v3, v18, v10
	s_waitcnt lgkmcnt(0)
	v_fmac_f32_e32 v85, v3, v4
.LBB170_75:                             ;   in Loop: Header=BB170_53 Depth=1
	s_and_b32 vcc_lo, exec_lo, s12
	s_cbranch_vccz .LBB170_81
; %bb.76:                               ;   in Loop: Header=BB170_53 Depth=1
	s_load_dword s12, s[0:1], 0x0
	v_mov_b32_e32 v5, 0
	s_waitcnt lgkmcnt(0)
	s_cmp_lt_u32 s6, s12
	s_cselect_b32 s12, 12, 18
	s_add_u32 s12, s0, s12
	s_addc_u32 s13, s1, 0
	global_load_ushort v3, v2, s[12:13]
	s_mov_b32 s12, exec_lo
	s_waitcnt vmcnt(0)
	v_mad_u32_u24 v3, v1, v3, v0
	v_and_b32_e32 v3, 31, v3
	v_cmpx_gt_u32_e32 8, v3
	s_cbranch_execz .LBB170_80
; %bb.77:                               ;   in Loop: Header=BB170_53 Depth=1
	v_add_co_u32 v3, vcc_lo, v83, v3
	v_add_co_ci_u32_e64 v4, null, 0, v84, vcc_lo
	v_mov_b32_e32 v5, 0
	v_add_co_u32 v3, vcc_lo, 0xffffffc1, v3
	v_add_co_ci_u32_e64 v4, null, -1, v4, vcc_lo
	s_mov_b32 s13, exec_lo
	v_cmpx_gt_i64_e64 s[8:9], v[3:4]
	s_cbranch_execz .LBB170_79
; %bb.78:                               ;   in Loop: Header=BB170_53 Depth=1
	v_lshlrev_b64 v[3:4], 2, v[3:4]
	v_add_co_u32 v3, vcc_lo, s2, v3
	v_add_co_ci_u32_e64 v4, null, s3, v4, vcc_lo
	global_load_dword v5, v[3:4], off
.LBB170_79:                             ;   in Loop: Header=BB170_53 Depth=1
	s_or_b32 exec_lo, exec_lo, s13
.LBB170_80:                             ;   in Loop: Header=BB170_53 Depth=1
	s_or_b32 exec_lo, exec_lo, s12
	v_add_co_u32 v3, vcc_lo, v50, v47
	v_add_co_ci_u32_e64 v4, null, v51, v48, vcc_lo
	v_add_co_u32 v6, vcc_lo, v52, v47
	v_add_co_ci_u32_e64 v7, null, v53, v48, vcc_lo
	;; [unrolled: 2-line block ×5, first 2 shown]
	global_load_ushort v14, v[3:4], off
	global_load_ushort v15, v[6:7], off
	;; [unrolled: 1-line block ×5, first 2 shown]
	v_add_co_u32 v3, vcc_lo, v35, v47
	v_add_co_ci_u32_e64 v4, null, v36, v48, vcc_lo
	v_add_co_u32 v6, vcc_lo, v23, v47
	v_add_co_ci_u32_e64 v7, null, v24, v48, vcc_lo
	;; [unrolled: 2-line block ×5, first 2 shown]
	global_load_ushort v83, v[3:4], off
	global_load_ushort v84, v[6:7], off
	;; [unrolled: 1-line block ×5, first 2 shown]
	v_add_co_u32 v3, vcc_lo, v27, v47
	v_add_co_ci_u32_e64 v4, null, v28, v48, vcc_lo
	v_add_co_u32 v6, vcc_lo, v41, v47
	v_add_co_ci_u32_e64 v7, null, v42, v48, vcc_lo
	;; [unrolled: 2-line block ×4, first 2 shown]
	global_load_ushort v13, v[3:4], off
	global_load_ushort v87, v[6:7], off
	;; [unrolled: 1-line block ×4, first 2 shown]
	v_add_co_u32 v3, vcc_lo, v31, v47
	v_add_co_ci_u32_e64 v4, null, v32, v48, vcc_lo
	v_add_co_u32 v6, vcc_lo, v45, v47
	v_add_co_ci_u32_e64 v7, null, v46, v48, vcc_lo
	global_load_ushort v3, v[3:4], off
	global_load_ushort v4, v[6:7], off
	s_waitcnt vmcnt(16)
	ds_bpermute_b32 v6, v2, v5
	ds_bpermute_b32 v7, v2, v5 offset:4
	ds_bpermute_b32 v10, v2, v5 offset:8
	s_waitcnt vmcnt(15)
	v_cvt_f32_f16_e32 v11, v14
	s_waitcnt vmcnt(14)
	v_cvt_f32_f16_e32 v14, v15
	ds_bpermute_b32 v15, v2, v5 offset:12
	s_waitcnt vmcnt(13)
	v_cvt_f32_f16_e32 v16, v16
	s_waitcnt vmcnt(12)
	v_cvt_f32_f16_e32 v17, v17
	;; [unrolled: 2-line block ×3, first 2 shown]
	v_mul_f32_e32 v11, v11, v14
	ds_bpermute_b32 v14, v2, v5 offset:16
	v_mul_f32_e32 v16, v16, v17
	s_waitcnt lgkmcnt(4)
	v_fmac_f32_e32 v82, v11, v6
	ds_bpermute_b32 v6, v2, v5 offset:20
	s_waitcnt lgkmcnt(4)
	v_fmac_f32_e32 v82, v16, v7
	ds_bpermute_b32 v7, v2, v5 offset:24
	ds_bpermute_b32 v5, v2, v5 offset:28
	s_waitcnt vmcnt(10)
	v_cvt_f32_f16_e32 v83, v83
	s_waitcnt vmcnt(9)
	v_cvt_f32_f16_e32 v11, v84
	;; [unrolled: 2-line block ×5, first 2 shown]
	v_mul_f32_e32 v18, v18, v83
	v_mul_f32_e32 v11, v11, v17
	v_mul_f32_e32 v12, v16, v12
	s_waitcnt lgkmcnt(5)
	v_fmac_f32_e32 v82, v18, v10
	s_waitcnt lgkmcnt(4)
	v_fmac_f32_e32 v82, v11, v15
	s_waitcnt vmcnt(5)
	v_cvt_f32_f16_e32 v10, v13
	s_waitcnt vmcnt(4)
	v_cvt_f32_f16_e32 v13, v87
	;; [unrolled: 2-line block ×4, first 2 shown]
	s_waitcnt lgkmcnt(3)
	v_fmac_f32_e32 v82, v12, v14
	v_mul_f32_e32 v10, v10, v13
	v_mul_f32_e32 v8, v8, v9
	s_waitcnt lgkmcnt(2)
	v_fmac_f32_e32 v82, v10, v6
	s_waitcnt vmcnt(1)
	v_cvt_f32_f16_e32 v3, v3
	s_waitcnt vmcnt(0)
	v_cvt_f32_f16_e32 v4, v4
	s_waitcnt lgkmcnt(1)
	v_fmac_f32_e32 v82, v8, v7
	v_mul_f32_e32 v3, v3, v4
	s_waitcnt lgkmcnt(0)
	v_fmac_f32_e32 v82, v3, v5
	v_mov_b32_e32 v85, v82
.LBB170_81:                             ;   in Loop: Header=BB170_53 Depth=1
	v_add_co_u32 v50, vcc_lo, v50, s18
	v_add_co_ci_u32_e64 v51, null, s19, v51, vcc_lo
	v_add_co_u32 v52, vcc_lo, v52, s18
	v_add_co_ci_u32_e64 v53, null, s19, v53, vcc_lo
	;; [unrolled: 2-line block ×26, first 2 shown]
	v_add_co_u32 v74, vcc_lo, v74, s18
	s_add_u32 s16, s16, s7
	v_add_co_ci_u32_e64 v75, null, s19, v75, vcc_lo
	v_add_co_u32 v76, vcc_lo, v76, s18
	s_addc_u32 s17, s17, 0
	v_add_co_ci_u32_e64 v77, null, s19, v77, vcc_lo
	v_add_co_u32 v78, vcc_lo, v78, s18
	v_cmp_ge_i64_e64 s12, s[16:17], s[8:9]
	v_add_co_ci_u32_e64 v79, null, s19, v79, vcc_lo
	v_add_co_u32 v80, vcc_lo, v80, s18
	v_add_co_ci_u32_e64 v81, null, s19, v81, vcc_lo
	s_add_u32 s20, s20, s7
	s_addc_u32 s21, s21, 0
	s_and_b32 vcc_lo, exec_lo, s12
	s_cbranch_vccnz .LBB170_83
; %bb.82:                               ;   in Loop: Header=BB170_53 Depth=1
	v_mov_b32_e32 v82, v85
	s_branch .LBB170_53
.LBB170_83:
	v_mad_u32_u24 v2, 0x41, v1, v0
	s_mov_b32 s0, exec_lo
	v_lshl_add_u32 v3, v2, 2, 0
	v_sub_nc_u32_e32 v4, v2, v1
	v_mov_b32_e32 v1, 0
	ds_write_b32 v3, v85
	ds_write_b32 v3, v1 offset:2080
	s_waitcnt lgkmcnt(0)
	s_barrier
	buffer_gl0_inv
	v_cmpx_gt_u32_e32 0x800, v4
	s_cbranch_execz .LBB170_103
; %bb.84:
	s_load_dwordx2 s[2:3], s[4:5], 0x30
	v_and_b32_e32 v1, 31, v0
	v_lshrrev_b32_e32 v3, 5, v4
	v_cmp_gt_u32_e32 vcc_lo, 8, v1
	v_mul_u32_u24_e32 v5, 0x41, v1
                                        ; implicit-def: $vgpr1
	s_and_saveexec_b32 s0, vcc_lo
	s_cbranch_execz .LBB170_86
; %bb.85:
	v_lshlrev_b32_e32 v1, 2, v3
	v_lshlrev_b32_e32 v2, 2, v5
	v_add3_u32 v1, 0, v1, v2
	ds_read_b32 v1, v1
.LBB170_86:
	s_or_b32 exec_lo, exec_lo, s0
	v_mbcnt_lo_u32_b32 v2, -1, 0
	s_mov_b32 s7, 0
	s_lshl_b64 s[4:5], s[6:7], 6
	s_waitcnt lgkmcnt(0)
	s_cmp_eq_u64 s[2:3], 0
	v_xor_b32_e32 v6, 4, v2
	v_xor_b32_e32 v7, 2, v2
	;; [unrolled: 1-line block ×3, first 2 shown]
	s_cselect_b32 s6, -1, 0
	v_cmp_gt_i32_e64 s0, 32, v6
	v_cndmask_b32_e64 v6, v2, v6, s0
	v_cmp_gt_i32_e64 s0, 32, v7
	v_lshlrev_b32_e32 v6, 2, v6
	v_cndmask_b32_e64 v7, v2, v7, s0
	v_cmp_gt_i32_e64 s0, 32, v9
	ds_bpermute_b32 v8, v6, v1
	v_lshlrev_b32_e32 v7, 2, v7
	v_cndmask_b32_e64 v2, v2, v9, s0
	v_cmp_ne_u32_e64 s0, 0, v0
	s_waitcnt lgkmcnt(0)
	v_add_f32_e32 v1, v1, v8
	ds_bpermute_b32 v8, v7, v1
	s_waitcnt lgkmcnt(0)
	v_add_f32_e32 v9, v1, v8
	v_lshlrev_b32_e32 v8, 2, v2
	v_or_b32_e32 v1, s4, v3
	v_mov_b32_e32 v2, s5
	ds_bpermute_b32 v10, v8, v9
	v_cmp_le_i64_e64 s1, s[10:11], v[1:2]
	s_or_b32 s1, s0, s1
	s_nor_b32 s1, s6, s1
	s_waitcnt lgkmcnt(0)
	v_add_f32_e32 v0, v9, v10
	s_and_saveexec_b32 s7, s1
	s_cbranch_execz .LBB170_88
; %bb.87:
	v_lshlrev_b64 v[1:2], 1, v[1:2]
	v_cvt_f16_f32_e32 v9, v0
	v_add_co_u32 v1, s1, s2, v1
	v_add_co_ci_u32_e64 v2, null, s3, v2, s1
	global_store_short v[1:2], v9, off
.LBB170_88:
	s_or_b32 exec_lo, exec_lo, s7
	v_cmp_gt_u32_e64 s1, 0x600, v4
	s_and_b32 exec_lo, exec_lo, s1
	s_cbranch_execz .LBB170_103
; %bb.89:
	s_and_saveexec_b32 s1, vcc_lo
	s_cbranch_execz .LBB170_91
; %bb.90:
	v_lshlrev_b32_e32 v0, 2, v3
	v_lshlrev_b32_e32 v1, 2, v5
	v_add3_u32 v0, 0, v0, v1
	ds_read_b32 v0, v0 offset:64
.LBB170_91:
	s_or_b32 exec_lo, exec_lo, s1
	s_waitcnt lgkmcnt(0)
	ds_bpermute_b32 v1, v6, v0
	s_waitcnt lgkmcnt(0)
	v_add_f32_e32 v0, v0, v1
	ds_bpermute_b32 v1, v7, v0
	s_waitcnt lgkmcnt(0)
	v_add_f32_e32 v2, v0, v1
	v_add_nc_u32_e32 v0, 16, v3
	ds_bpermute_b32 v9, v8, v2
	v_add_co_u32 v0, s1, s4, v0
	v_add_co_ci_u32_e64 v1, null, s5, 0, s1
	v_cmp_le_i64_e64 s1, s[10:11], v[0:1]
	s_or_b32 s1, s0, s1
	s_nor_b32 s1, s6, s1
	s_waitcnt lgkmcnt(0)
	v_add_f32_e32 v0, v2, v9
	s_and_saveexec_b32 s7, s1
	s_cbranch_execz .LBB170_93
; %bb.92:
	v_add_co_u32 v1, s1, s4, v3
	v_add_co_ci_u32_e64 v2, null, s5, 0, s1
	v_cvt_f16_f32_e32 v9, v0
	v_lshlrev_b64 v[1:2], 1, v[1:2]
	v_add_co_u32 v1, s1, s2, v1
	v_add_co_ci_u32_e64 v2, null, s3, v2, s1
	global_store_short v[1:2], v9, off offset:32
.LBB170_93:
	s_or_b32 exec_lo, exec_lo, s7
	v_cmp_gt_u32_e64 s1, 0x400, v4
	s_and_b32 exec_lo, exec_lo, s1
	s_cbranch_execz .LBB170_103
; %bb.94:
	s_and_saveexec_b32 s1, vcc_lo
	s_cbranch_execz .LBB170_96
; %bb.95:
	v_lshlrev_b32_e32 v0, 2, v3
	v_lshlrev_b32_e32 v1, 2, v5
	v_add3_u32 v0, 0, v0, v1
	ds_read_b32 v0, v0 offset:128
.LBB170_96:
	s_or_b32 exec_lo, exec_lo, s1
	s_waitcnt lgkmcnt(0)
	ds_bpermute_b32 v1, v6, v0
	s_waitcnt lgkmcnt(0)
	v_add_f32_e32 v0, v0, v1
	ds_bpermute_b32 v1, v7, v0
	s_waitcnt lgkmcnt(0)
	v_add_f32_e32 v2, v0, v1
	v_add_nc_u32_e32 v0, 32, v3
	v_mov_b32_e32 v1, s5
	ds_bpermute_b32 v9, v8, v2
	v_or_b32_e32 v0, s4, v0
	v_cmp_le_i64_e64 s1, s[10:11], v[0:1]
	s_or_b32 s1, s0, s1
	s_nor_b32 s1, s6, s1
	s_waitcnt lgkmcnt(0)
	v_add_f32_e32 v0, v2, v9
	s_and_saveexec_b32 s7, s1
	s_cbranch_execz .LBB170_98
; %bb.97:
	v_add_co_u32 v1, s1, s4, v3
	v_add_co_ci_u32_e64 v2, null, s5, 0, s1
	v_cvt_f16_f32_e32 v9, v0
	v_lshlrev_b64 v[1:2], 1, v[1:2]
	v_add_co_u32 v1, s1, s2, v1
	v_add_co_ci_u32_e64 v2, null, s3, v2, s1
	global_store_short v[1:2], v9, off offset:64
.LBB170_98:
	s_or_b32 exec_lo, exec_lo, s7
	v_cmp_gt_u32_e64 s1, 0x200, v4
	s_and_b32 exec_lo, exec_lo, s1
	s_cbranch_execz .LBB170_103
; %bb.99:
	s_and_saveexec_b32 s1, vcc_lo
	s_cbranch_execz .LBB170_101
; %bb.100:
	v_lshlrev_b32_e32 v0, 2, v3
	v_lshlrev_b32_e32 v1, 2, v5
	v_add3_u32 v0, 0, v0, v1
	ds_read_b32 v0, v0 offset:192
.LBB170_101:
	s_or_b32 exec_lo, exec_lo, s1
	s_waitcnt lgkmcnt(0)
	ds_bpermute_b32 v1, v6, v0
	v_add_nc_u32_e32 v2, 48, v3
	v_mov_b32_e32 v5, s5
	v_or_b32_e32 v4, s4, v2
	v_cmp_le_i64_e32 vcc_lo, s[10:11], v[4:5]
	s_or_b32 s0, s0, vcc_lo
	s_nor_b32 s0, s6, s0
	s_waitcnt lgkmcnt(0)
	v_add_f32_e32 v0, v0, v1
	ds_bpermute_b32 v1, v7, v0
	s_waitcnt lgkmcnt(0)
	v_add_f32_e32 v0, v0, v1
	ds_bpermute_b32 v1, v8, v0
	s_and_saveexec_b32 s1, s0
	s_xor_b32 s1, exec_lo, s1
	s_cbranch_execz .LBB170_103
; %bb.102:
	v_add_co_u32 v2, s0, s4, v3
	v_add_co_ci_u32_e64 v3, null, s5, 0, s0
	s_waitcnt lgkmcnt(0)
	v_add_f32_e32 v4, v0, v1
	v_lshlrev_b64 v[2:3], 1, v[2:3]
	v_add_co_u32 v0, vcc_lo, s2, v2
	v_add_co_ci_u32_e64 v1, null, s3, v3, vcc_lo
	v_cvt_f16_f32_e32 v2, v4
	global_store_short v[0:1], v2, off offset:96
.LBB170_103:
	s_endpgm
	.section	.rodata,"a",@progbits
	.p2align	6, 0x0
	.amdhsa_kernel _ZN2at6native12_GLOBAL__N_135GammaBetaBackwardCUDAKernelTemplateIN3c104HalfEfLj64ELj8ELj64ELb0ELb0ELb1EEEvllPKT_S7_PKT0_SA_PS5_SB_
		.amdhsa_group_segment_fixed_size 0
		.amdhsa_private_segment_fixed_size 0
		.amdhsa_kernarg_size 320
		.amdhsa_user_sgpr_count 6
		.amdhsa_user_sgpr_private_segment_buffer 1
		.amdhsa_user_sgpr_dispatch_ptr 0
		.amdhsa_user_sgpr_queue_ptr 0
		.amdhsa_user_sgpr_kernarg_segment_ptr 1
		.amdhsa_user_sgpr_dispatch_id 0
		.amdhsa_user_sgpr_flat_scratch_init 0
		.amdhsa_user_sgpr_private_segment_size 0
		.amdhsa_wavefront_size32 1
		.amdhsa_uses_dynamic_stack 0
		.amdhsa_system_sgpr_private_segment_wavefront_offset 0
		.amdhsa_system_sgpr_workgroup_id_x 1
		.amdhsa_system_sgpr_workgroup_id_y 1
		.amdhsa_system_sgpr_workgroup_id_z 0
		.amdhsa_system_sgpr_workgroup_info 0
		.amdhsa_system_vgpr_workitem_id 1
		.amdhsa_next_free_vgpr 91
		.amdhsa_next_free_sgpr 30
		.amdhsa_reserve_vcc 1
		.amdhsa_reserve_flat_scratch 0
		.amdhsa_float_round_mode_32 0
		.amdhsa_float_round_mode_16_64 0
		.amdhsa_float_denorm_mode_32 3
		.amdhsa_float_denorm_mode_16_64 3
		.amdhsa_dx10_clamp 1
		.amdhsa_ieee_mode 1
		.amdhsa_fp16_overflow 0
		.amdhsa_workgroup_processor_mode 1
		.amdhsa_memory_ordered 1
		.amdhsa_forward_progress 1
		.amdhsa_shared_vgpr_count 0
		.amdhsa_exception_fp_ieee_invalid_op 0
		.amdhsa_exception_fp_denorm_src 0
		.amdhsa_exception_fp_ieee_div_zero 0
		.amdhsa_exception_fp_ieee_overflow 0
		.amdhsa_exception_fp_ieee_underflow 0
		.amdhsa_exception_fp_ieee_inexact 0
		.amdhsa_exception_int_div_zero 0
	.end_amdhsa_kernel
	.section	.text._ZN2at6native12_GLOBAL__N_135GammaBetaBackwardCUDAKernelTemplateIN3c104HalfEfLj64ELj8ELj64ELb0ELb0ELb1EEEvllPKT_S7_PKT0_SA_PS5_SB_,"axG",@progbits,_ZN2at6native12_GLOBAL__N_135GammaBetaBackwardCUDAKernelTemplateIN3c104HalfEfLj64ELj8ELj64ELb0ELb0ELb1EEEvllPKT_S7_PKT0_SA_PS5_SB_,comdat
.Lfunc_end170:
	.size	_ZN2at6native12_GLOBAL__N_135GammaBetaBackwardCUDAKernelTemplateIN3c104HalfEfLj64ELj8ELj64ELb0ELb0ELb1EEEvllPKT_S7_PKT0_SA_PS5_SB_, .Lfunc_end170-_ZN2at6native12_GLOBAL__N_135GammaBetaBackwardCUDAKernelTemplateIN3c104HalfEfLj64ELj8ELj64ELb0ELb0ELb1EEEvllPKT_S7_PKT0_SA_PS5_SB_
                                        ; -- End function
	.set _ZN2at6native12_GLOBAL__N_135GammaBetaBackwardCUDAKernelTemplateIN3c104HalfEfLj64ELj8ELj64ELb0ELb0ELb1EEEvllPKT_S7_PKT0_SA_PS5_SB_.num_vgpr, 91
	.set _ZN2at6native12_GLOBAL__N_135GammaBetaBackwardCUDAKernelTemplateIN3c104HalfEfLj64ELj8ELj64ELb0ELb0ELb1EEEvllPKT_S7_PKT0_SA_PS5_SB_.num_agpr, 0
	.set _ZN2at6native12_GLOBAL__N_135GammaBetaBackwardCUDAKernelTemplateIN3c104HalfEfLj64ELj8ELj64ELb0ELb0ELb1EEEvllPKT_S7_PKT0_SA_PS5_SB_.numbered_sgpr, 30
	.set _ZN2at6native12_GLOBAL__N_135GammaBetaBackwardCUDAKernelTemplateIN3c104HalfEfLj64ELj8ELj64ELb0ELb0ELb1EEEvllPKT_S7_PKT0_SA_PS5_SB_.num_named_barrier, 0
	.set _ZN2at6native12_GLOBAL__N_135GammaBetaBackwardCUDAKernelTemplateIN3c104HalfEfLj64ELj8ELj64ELb0ELb0ELb1EEEvllPKT_S7_PKT0_SA_PS5_SB_.private_seg_size, 0
	.set _ZN2at6native12_GLOBAL__N_135GammaBetaBackwardCUDAKernelTemplateIN3c104HalfEfLj64ELj8ELj64ELb0ELb0ELb1EEEvllPKT_S7_PKT0_SA_PS5_SB_.uses_vcc, 1
	.set _ZN2at6native12_GLOBAL__N_135GammaBetaBackwardCUDAKernelTemplateIN3c104HalfEfLj64ELj8ELj64ELb0ELb0ELb1EEEvllPKT_S7_PKT0_SA_PS5_SB_.uses_flat_scratch, 0
	.set _ZN2at6native12_GLOBAL__N_135GammaBetaBackwardCUDAKernelTemplateIN3c104HalfEfLj64ELj8ELj64ELb0ELb0ELb1EEEvllPKT_S7_PKT0_SA_PS5_SB_.has_dyn_sized_stack, 0
	.set _ZN2at6native12_GLOBAL__N_135GammaBetaBackwardCUDAKernelTemplateIN3c104HalfEfLj64ELj8ELj64ELb0ELb0ELb1EEEvllPKT_S7_PKT0_SA_PS5_SB_.has_recursion, 0
	.set _ZN2at6native12_GLOBAL__N_135GammaBetaBackwardCUDAKernelTemplateIN3c104HalfEfLj64ELj8ELj64ELb0ELb0ELb1EEEvllPKT_S7_PKT0_SA_PS5_SB_.has_indirect_call, 0
	.section	.AMDGPU.csdata,"",@progbits
; Kernel info:
; codeLenInByte = 8576
; TotalNumSgprs: 32
; NumVgprs: 91
; ScratchSize: 0
; MemoryBound: 0
; FloatMode: 240
; IeeeMode: 1
; LDSByteSize: 0 bytes/workgroup (compile time only)
; SGPRBlocks: 0
; VGPRBlocks: 11
; NumSGPRsForWavesPerEU: 32
; NumVGPRsForWavesPerEU: 91
; Occupancy: 10
; WaveLimiterHint : 0
; COMPUTE_PGM_RSRC2:SCRATCH_EN: 0
; COMPUTE_PGM_RSRC2:USER_SGPR: 6
; COMPUTE_PGM_RSRC2:TRAP_HANDLER: 0
; COMPUTE_PGM_RSRC2:TGID_X_EN: 1
; COMPUTE_PGM_RSRC2:TGID_Y_EN: 1
; COMPUTE_PGM_RSRC2:TGID_Z_EN: 0
; COMPUTE_PGM_RSRC2:TIDIG_COMP_CNT: 1
	.section	.text._ZN2at6native12_GLOBAL__N_135GammaBetaBackwardCUDAKernelTemplateIN3c104HalfEfLj64ELj16ELj128ELb0ELb1ELb1EEEvllPKT_S7_PKT0_SA_PS5_SB_,"axG",@progbits,_ZN2at6native12_GLOBAL__N_135GammaBetaBackwardCUDAKernelTemplateIN3c104HalfEfLj64ELj16ELj128ELb0ELb1ELb1EEEvllPKT_S7_PKT0_SA_PS5_SB_,comdat
	.globl	_ZN2at6native12_GLOBAL__N_135GammaBetaBackwardCUDAKernelTemplateIN3c104HalfEfLj64ELj16ELj128ELb0ELb1ELb1EEEvllPKT_S7_PKT0_SA_PS5_SB_ ; -- Begin function _ZN2at6native12_GLOBAL__N_135GammaBetaBackwardCUDAKernelTemplateIN3c104HalfEfLj64ELj16ELj128ELb0ELb1ELb1EEEvllPKT_S7_PKT0_SA_PS5_SB_
	.p2align	8
	.type	_ZN2at6native12_GLOBAL__N_135GammaBetaBackwardCUDAKernelTemplateIN3c104HalfEfLj64ELj16ELj128ELb0ELb1ELb1EEEvllPKT_S7_PKT0_SA_PS5_SB_,@function
_ZN2at6native12_GLOBAL__N_135GammaBetaBackwardCUDAKernelTemplateIN3c104HalfEfLj64ELj16ELj128ELb0ELb1ELb1EEEvllPKT_S7_PKT0_SA_PS5_SB_: ; @_ZN2at6native12_GLOBAL__N_135GammaBetaBackwardCUDAKernelTemplateIN3c104HalfEfLj64ELj16ELj128ELb0ELb1ELb1EEEvllPKT_S7_PKT0_SA_PS5_SB_
; %bb.0:
	s_load_dwordx4 s[8:11], s[4:5], 0x0
	s_lshl_b32 s16, s7, 7
	s_mov_b32 s17, 0
	s_waitcnt lgkmcnt(0)
	v_cmp_gt_i64_e64 s0, s[8:9], s[16:17]
	s_and_b32 vcc_lo, exec_lo, s0
	s_cbranch_vccnz .LBB171_2
; %bb.1:
	s_mov_b32 s0, s17
	s_load_dwordx2 s[2:3], s[4:5], 0x30
	v_mov_b32_e32 v2, 0
	s_andn2_b32 vcc_lo, exec_lo, s0
	s_cbranch_vccz .LBB171_3
	s_branch .LBB171_9
.LBB171_2:
	s_load_dwordx2 s[2:3], s[4:5], 0x30
	v_mov_b32_e32 v2, 0
.LBB171_3:
	s_clause 0x3
	s_load_dword s0, s[4:5], 0x4c
	s_load_dword s1, s[4:5], 0x44
	s_load_dwordx4 s[12:15], s[4:5], 0x10
	s_load_dwordx2 s[18:19], s[4:5], 0x28
	v_lshlrev_b32_e32 v4, 3, v1
	v_mov_b32_e32 v3, 0
	v_lshl_add_u32 v2, s6, 6, v0
	v_mov_b32_e32 v8, 8
	v_mov_b32_e32 v9, 4
	v_add_co_u32 v4, s4, v4, s16
	v_add_co_ci_u32_e64 v5, null, 0, 0, s4
	v_lshlrev_b64 v[15:16], 1, v[2:3]
	v_mul_lo_u32 v17, s11, v4
	v_mov_b32_e32 v10, 12
	v_mul_lo_u32 v18, s10, v5
	v_mov_b32_e32 v11, 16
	v_mov_b32_e32 v12, 20
	v_mov_b32_e32 v13, 24
	s_waitcnt lgkmcnt(0)
	s_and_b32 s0, s0, 0xffff
	s_lshl_b32 s4, s1, 7
	v_mad_u32_u24 v6, v1, s0, v0
	s_mul_i32 s1, s11, s4
	s_mul_hi_u32 s7, s10, s4
	v_mov_b32_e32 v14, 28
	v_mov_b32_e32 v2, 0
	v_and_b32_e32 v21, 31, v6
	v_mad_u64_u32 v[6:7], null, s10, v4, 0
	s_mov_b32 s5, 0
	s_add_i32 s21, s7, s1
	v_add_co_u32 v4, vcc_lo, v4, v21
	v_add_co_ci_u32_e64 v5, null, 0, v5, vcc_lo
	v_add3_u32 v7, v7, v18, v17
	v_cmp_gt_u32_e64 s0, 8, v21
	s_mul_i32 s20, s10, s4
	v_lshlrev_b64 v[17:18], 2, v[4:5]
	s_lshl_b64 s[20:21], s[20:21], 1
	v_lshlrev_b64 v[19:20], 1, v[6:7]
	s_lshl_b64 s[10:11], s[10:11], 1
	v_add_co_u32 v6, vcc_lo, s18, v17
	v_add_co_ci_u32_e64 v7, null, s19, v18, vcc_lo
	v_add_co_u32 v15, vcc_lo, v19, v15
	v_add_co_ci_u32_e64 v16, null, v20, v16, vcc_lo
	s_lshl_b64 s[18:19], s[4:5], 2
	s_branch .LBB171_6
.LBB171_4:                              ;   in Loop: Header=BB171_6 Depth=1
	s_or_b32 exec_lo, exec_lo, s5
.LBB171_5:                              ;   in Loop: Header=BB171_6 Depth=1
	s_or_b32 exec_lo, exec_lo, s1
	v_add_co_u32 v18, vcc_lo, s12, v15
	v_add_co_ci_u32_e64 v19, null, s13, v16, vcc_lo
	v_add_co_u32 v20, vcc_lo, s14, v15
	v_add_co_ci_u32_e64 v21, null, s15, v16, vcc_lo
	;; [unrolled: 2-line block ×3, first 2 shown]
	global_load_ushort v28, v[18:19], off
	global_load_ushort v29, v[20:21], off
	global_load_ushort v30, v[22:23], off
	v_add_co_u32 v18, vcc_lo, v20, s10
	v_add_co_ci_u32_e64 v19, null, s11, v21, vcc_lo
	v_add_co_u32 v20, vcc_lo, v22, s10
	v_add_co_ci_u32_e64 v21, null, s11, v23, vcc_lo
	v_add_co_u32 v22, vcc_lo, v18, s10
	v_add_co_ci_u32_e64 v23, null, s11, v19, vcc_lo
	v_add_co_u32 v24, vcc_lo, v20, s10
	v_add_co_ci_u32_e64 v25, null, s11, v21, vcc_lo
	v_add_co_u32 v26, vcc_lo, v22, s10
	v_add_co_ci_u32_e64 v27, null, s11, v23, vcc_lo
	global_load_ushort v31, v[18:19], off
	global_load_ushort v32, v[20:21], off
	;; [unrolled: 1-line block ×5, first 2 shown]
	v_add_co_u32 v18, vcc_lo, v24, s10
	v_add_co_ci_u32_e64 v19, null, s11, v25, vcc_lo
	v_add_co_u32 v20, vcc_lo, v26, s10
	v_add_co_ci_u32_e64 v21, null, s11, v27, vcc_lo
	;; [unrolled: 2-line block ×5, first 2 shown]
	global_load_ushort v36, v[18:19], off
	global_load_ushort v37, v[20:21], off
	;; [unrolled: 1-line block ×5, first 2 shown]
	v_add_co_u32 v18, vcc_lo, v24, s10
	v_add_co_ci_u32_e64 v19, null, s11, v25, vcc_lo
	v_add_co_u32 v20, vcc_lo, v26, s10
	v_add_co_ci_u32_e64 v21, null, s11, v27, vcc_lo
	;; [unrolled: 2-line block ×3, first 2 shown]
	global_load_ushort v18, v[18:19], off
	global_load_ushort v19, v[20:21], off
	global_load_ushort v20, v[22:23], off
	s_waitcnt vmcnt(16)
	ds_bpermute_b32 v21, v3, v17
	ds_bpermute_b32 v22, v9, v17
	;; [unrolled: 1-line block ×4, first 2 shown]
	s_add_u32 s16, s16, s4
	v_add_co_u32 v6, vcc_lo, v6, s18
	s_addc_u32 s17, s17, 0
	v_add_co_ci_u32_e64 v7, null, s19, v7, vcc_lo
	v_add_co_u32 v4, vcc_lo, v4, s4
	v_cmp_lt_i64_e64 s1, s[16:17], s[8:9]
	v_add_co_ci_u32_e64 v5, null, 0, v5, vcc_lo
	v_add_co_u32 v15, vcc_lo, v15, s20
	v_add_co_ci_u32_e64 v16, null, s21, v16, vcc_lo
	s_and_b32 vcc_lo, exec_lo, s1
	s_waitcnt vmcnt(15)
	v_cvt_f32_f16_e32 v23, v28
	s_waitcnt vmcnt(14)
	v_cvt_f32_f16_e32 v24, v29
	;; [unrolled: 2-line block ×3, first 2 shown]
	v_mul_f32_e32 v23, v23, v24
	s_waitcnt lgkmcnt(3)
	v_fmac_f32_e32 v2, v23, v21
	s_waitcnt vmcnt(12)
	v_cvt_f32_f16_e32 v24, v31
	s_waitcnt vmcnt(11)
	v_cvt_f32_f16_e32 v28, v32
	;; [unrolled: 2-line block ×4, first 2 shown]
	v_mul_f32_e32 v21, v26, v24
	ds_bpermute_b32 v24, v11, v17
	ds_bpermute_b32 v26, v12, v17
	s_waitcnt lgkmcnt(4)
	v_fmac_f32_e32 v2, v21, v22
	v_mul_f32_e32 v21, v28, v23
	s_waitcnt vmcnt(8)
	v_cvt_f32_f16_e32 v22, v35
	ds_bpermute_b32 v23, v13, v17
	ds_bpermute_b32 v17, v14, v17
	s_waitcnt lgkmcnt(5)
	v_fmac_f32_e32 v2, v21, v25
	v_mul_f32_e32 v21, v29, v22
	s_waitcnt vmcnt(7)
	v_cvt_f32_f16_e32 v28, v36
	s_waitcnt vmcnt(6)
	v_cvt_f32_f16_e32 v22, v37
	;; [unrolled: 2-line block ×4, first 2 shown]
	s_waitcnt lgkmcnt(4)
	v_fmac_f32_e32 v2, v21, v27
	v_mul_f32_e32 v21, v28, v22
	s_waitcnt vmcnt(3)
	v_cvt_f32_f16_e32 v22, v40
	s_waitcnt lgkmcnt(3)
	v_fmac_f32_e32 v2, v21, v24
	v_mul_f32_e32 v21, v25, v29
	s_waitcnt vmcnt(2)
	v_cvt_f32_f16_e32 v18, v18
	s_waitcnt vmcnt(1)
	v_cvt_f32_f16_e32 v19, v19
	;; [unrolled: 2-line block ×3, first 2 shown]
	s_waitcnt lgkmcnt(2)
	v_fmac_f32_e32 v2, v21, v26
	v_mul_f32_e32 v18, v22, v18
	s_waitcnt lgkmcnt(1)
	v_fmac_f32_e32 v2, v18, v23
	v_mul_f32_e32 v18, v19, v20
	s_waitcnt lgkmcnt(0)
	v_fmac_f32_e32 v2, v18, v17
	s_cbranch_vccz .LBB171_9
.LBB171_6:                              ; =>This Inner Loop Header: Depth=1
	v_mov_b32_e32 v17, 0
	s_and_saveexec_b32 s1, s0
	s_cbranch_execz .LBB171_5
; %bb.7:                                ;   in Loop: Header=BB171_6 Depth=1
	v_mov_b32_e32 v17, 0
	s_mov_b32 s5, exec_lo
	v_cmpx_gt_i64_e64 s[8:9], v[4:5]
	s_cbranch_execz .LBB171_4
; %bb.8:                                ;   in Loop: Header=BB171_6 Depth=1
	global_load_dword v17, v[6:7], off
	s_branch .LBB171_4
.LBB171_9:
	v_mad_u32_u24 v3, 0x41, v1, v0
	s_mov_b32 s0, exec_lo
	v_lshl_add_u32 v4, v3, 2, 0
	v_sub_nc_u32_e32 v3, v3, v1
	v_mov_b32_e32 v1, 0
	ds_write_b32 v4, v2
	ds_write_b32 v4, v1 offset:4160
	s_waitcnt lgkmcnt(0)
	s_barrier
	buffer_gl0_inv
	v_cmpx_gt_u32_e32 0x800, v3
	s_cbranch_execz .LBB171_19
; %bb.10:
	v_and_b32_e32 v2, 31, v0
	v_lshrrev_b32_e32 v1, 5, v3
                                        ; implicit-def: $vgpr6
	v_cmp_gt_u32_e32 vcc_lo, 16, v2
	v_mul_u32_u24_e32 v2, 0x41, v2
	s_and_saveexec_b32 s0, vcc_lo
	s_cbranch_execz .LBB171_12
; %bb.11:
	v_lshlrev_b32_e32 v4, 2, v1
	v_lshlrev_b32_e32 v5, 2, v2
	v_add3_u32 v4, 0, v4, v5
	ds_read_b32 v6, v4
.LBB171_12:
	s_or_b32 exec_lo, exec_lo, s0
	v_mbcnt_lo_u32_b32 v7, -1, 0
	s_cmp_lg_u64 s[2:3], 0
	s_mov_b32 s7, 0
	s_cselect_b32 s1, -1, 0
	s_lshl_b64 s[4:5], s[6:7], 7
	v_xor_b32_e32 v4, 8, v7
	v_xor_b32_e32 v5, 4, v7
	;; [unrolled: 1-line block ×3, first 2 shown]
	v_cmp_gt_i32_e64 s0, 32, v4
	v_cndmask_b32_e64 v4, v7, v4, s0
	v_cmp_gt_i32_e64 s0, 32, v5
	v_lshlrev_b32_e32 v4, 2, v4
	v_cndmask_b32_e64 v5, v7, v5, s0
	s_waitcnt lgkmcnt(0)
	ds_bpermute_b32 v8, v4, v6
	v_lshlrev_b32_e32 v5, 2, v5
	s_waitcnt lgkmcnt(0)
	v_add_f32_e32 v8, v6, v8
	v_xor_b32_e32 v6, 2, v7
	ds_bpermute_b32 v9, v5, v8
	v_cmp_gt_i32_e64 s0, 32, v6
	v_cndmask_b32_e64 v6, v7, v6, s0
	v_cmp_gt_i32_e64 s0, 32, v10
	v_lshlrev_b32_e32 v6, 2, v6
	v_cndmask_b32_e64 v7, v7, v10, s0
	v_cmp_eq_u32_e64 s0, 0, v0
	v_lshlrev_b32_e32 v7, 2, v7
	s_and_b32 s1, s0, s1
	s_add_u32 s2, s2, s4
	s_waitcnt lgkmcnt(0)
	v_add_f32_e32 v8, v8, v9
	s_addc_u32 s3, s3, s5
	ds_bpermute_b32 v9, v6, v8
	s_waitcnt lgkmcnt(0)
	v_add_f32_e32 v8, v8, v9
	ds_bpermute_b32 v9, v7, v8
	s_waitcnt lgkmcnt(0)
	v_add_f32_e32 v0, v8, v9
	s_and_saveexec_b32 s0, s1
	s_cbranch_execz .LBB171_14
; %bb.13:
	v_cvt_f16_f32_e32 v8, v0
	v_lshlrev_b32_e32 v9, 1, v1
	global_store_short v9, v8, s[2:3]
.LBB171_14:
	s_or_b32 exec_lo, exec_lo, s0
	v_cmp_gt_u32_e64 s0, 0x400, v3
	s_and_b32 exec_lo, exec_lo, s0
	s_cbranch_execz .LBB171_19
; %bb.15:
	s_and_saveexec_b32 s0, vcc_lo
	s_cbranch_execz .LBB171_17
; %bb.16:
	v_lshlrev_b32_e32 v0, 2, v1
	v_lshlrev_b32_e32 v2, 2, v2
	v_add3_u32 v0, 0, v0, v2
	ds_read_b32 v0, v0 offset:128
.LBB171_17:
	s_or_b32 exec_lo, exec_lo, s0
	s_waitcnt lgkmcnt(0)
	ds_bpermute_b32 v2, v4, v0
	s_waitcnt lgkmcnt(0)
	v_add_f32_e32 v0, v0, v2
	ds_bpermute_b32 v2, v5, v0
	s_waitcnt lgkmcnt(0)
	v_add_f32_e32 v0, v0, v2
	;; [unrolled: 3-line block ×3, first 2 shown]
	ds_bpermute_b32 v2, v7, v0
	s_and_saveexec_b32 s0, s1
	s_xor_b32 s0, exec_lo, s0
	s_cbranch_execz .LBB171_19
; %bb.18:
	s_waitcnt lgkmcnt(0)
	v_add_f32_e32 v0, v0, v2
	v_lshlrev_b32_e32 v1, 1, v1
	v_cvt_f16_f32_e32 v0, v0
	global_store_short v1, v0, s[2:3] offset:64
.LBB171_19:
	s_endpgm
	.section	.rodata,"a",@progbits
	.p2align	6, 0x0
	.amdhsa_kernel _ZN2at6native12_GLOBAL__N_135GammaBetaBackwardCUDAKernelTemplateIN3c104HalfEfLj64ELj16ELj128ELb0ELb1ELb1EEEvllPKT_S7_PKT0_SA_PS5_SB_
		.amdhsa_group_segment_fixed_size 0
		.amdhsa_private_segment_fixed_size 0
		.amdhsa_kernarg_size 320
		.amdhsa_user_sgpr_count 6
		.amdhsa_user_sgpr_private_segment_buffer 1
		.amdhsa_user_sgpr_dispatch_ptr 0
		.amdhsa_user_sgpr_queue_ptr 0
		.amdhsa_user_sgpr_kernarg_segment_ptr 1
		.amdhsa_user_sgpr_dispatch_id 0
		.amdhsa_user_sgpr_flat_scratch_init 0
		.amdhsa_user_sgpr_private_segment_size 0
		.amdhsa_wavefront_size32 1
		.amdhsa_uses_dynamic_stack 0
		.amdhsa_system_sgpr_private_segment_wavefront_offset 0
		.amdhsa_system_sgpr_workgroup_id_x 1
		.amdhsa_system_sgpr_workgroup_id_y 1
		.amdhsa_system_sgpr_workgroup_id_z 0
		.amdhsa_system_sgpr_workgroup_info 0
		.amdhsa_system_vgpr_workitem_id 1
		.amdhsa_next_free_vgpr 41
		.amdhsa_next_free_sgpr 22
		.amdhsa_reserve_vcc 1
		.amdhsa_reserve_flat_scratch 0
		.amdhsa_float_round_mode_32 0
		.amdhsa_float_round_mode_16_64 0
		.amdhsa_float_denorm_mode_32 3
		.amdhsa_float_denorm_mode_16_64 3
		.amdhsa_dx10_clamp 1
		.amdhsa_ieee_mode 1
		.amdhsa_fp16_overflow 0
		.amdhsa_workgroup_processor_mode 1
		.amdhsa_memory_ordered 1
		.amdhsa_forward_progress 1
		.amdhsa_shared_vgpr_count 0
		.amdhsa_exception_fp_ieee_invalid_op 0
		.amdhsa_exception_fp_denorm_src 0
		.amdhsa_exception_fp_ieee_div_zero 0
		.amdhsa_exception_fp_ieee_overflow 0
		.amdhsa_exception_fp_ieee_underflow 0
		.amdhsa_exception_fp_ieee_inexact 0
		.amdhsa_exception_int_div_zero 0
	.end_amdhsa_kernel
	.section	.text._ZN2at6native12_GLOBAL__N_135GammaBetaBackwardCUDAKernelTemplateIN3c104HalfEfLj64ELj16ELj128ELb0ELb1ELb1EEEvllPKT_S7_PKT0_SA_PS5_SB_,"axG",@progbits,_ZN2at6native12_GLOBAL__N_135GammaBetaBackwardCUDAKernelTemplateIN3c104HalfEfLj64ELj16ELj128ELb0ELb1ELb1EEEvllPKT_S7_PKT0_SA_PS5_SB_,comdat
.Lfunc_end171:
	.size	_ZN2at6native12_GLOBAL__N_135GammaBetaBackwardCUDAKernelTemplateIN3c104HalfEfLj64ELj16ELj128ELb0ELb1ELb1EEEvllPKT_S7_PKT0_SA_PS5_SB_, .Lfunc_end171-_ZN2at6native12_GLOBAL__N_135GammaBetaBackwardCUDAKernelTemplateIN3c104HalfEfLj64ELj16ELj128ELb0ELb1ELb1EEEvllPKT_S7_PKT0_SA_PS5_SB_
                                        ; -- End function
	.set _ZN2at6native12_GLOBAL__N_135GammaBetaBackwardCUDAKernelTemplateIN3c104HalfEfLj64ELj16ELj128ELb0ELb1ELb1EEEvllPKT_S7_PKT0_SA_PS5_SB_.num_vgpr, 41
	.set _ZN2at6native12_GLOBAL__N_135GammaBetaBackwardCUDAKernelTemplateIN3c104HalfEfLj64ELj16ELj128ELb0ELb1ELb1EEEvllPKT_S7_PKT0_SA_PS5_SB_.num_agpr, 0
	.set _ZN2at6native12_GLOBAL__N_135GammaBetaBackwardCUDAKernelTemplateIN3c104HalfEfLj64ELj16ELj128ELb0ELb1ELb1EEEvllPKT_S7_PKT0_SA_PS5_SB_.numbered_sgpr, 22
	.set _ZN2at6native12_GLOBAL__N_135GammaBetaBackwardCUDAKernelTemplateIN3c104HalfEfLj64ELj16ELj128ELb0ELb1ELb1EEEvllPKT_S7_PKT0_SA_PS5_SB_.num_named_barrier, 0
	.set _ZN2at6native12_GLOBAL__N_135GammaBetaBackwardCUDAKernelTemplateIN3c104HalfEfLj64ELj16ELj128ELb0ELb1ELb1EEEvllPKT_S7_PKT0_SA_PS5_SB_.private_seg_size, 0
	.set _ZN2at6native12_GLOBAL__N_135GammaBetaBackwardCUDAKernelTemplateIN3c104HalfEfLj64ELj16ELj128ELb0ELb1ELb1EEEvllPKT_S7_PKT0_SA_PS5_SB_.uses_vcc, 1
	.set _ZN2at6native12_GLOBAL__N_135GammaBetaBackwardCUDAKernelTemplateIN3c104HalfEfLj64ELj16ELj128ELb0ELb1ELb1EEEvllPKT_S7_PKT0_SA_PS5_SB_.uses_flat_scratch, 0
	.set _ZN2at6native12_GLOBAL__N_135GammaBetaBackwardCUDAKernelTemplateIN3c104HalfEfLj64ELj16ELj128ELb0ELb1ELb1EEEvllPKT_S7_PKT0_SA_PS5_SB_.has_dyn_sized_stack, 0
	.set _ZN2at6native12_GLOBAL__N_135GammaBetaBackwardCUDAKernelTemplateIN3c104HalfEfLj64ELj16ELj128ELb0ELb1ELb1EEEvllPKT_S7_PKT0_SA_PS5_SB_.has_recursion, 0
	.set _ZN2at6native12_GLOBAL__N_135GammaBetaBackwardCUDAKernelTemplateIN3c104HalfEfLj64ELj16ELj128ELb0ELb1ELb1EEEvllPKT_S7_PKT0_SA_PS5_SB_.has_indirect_call, 0
	.section	.AMDGPU.csdata,"",@progbits
; Kernel info:
; codeLenInByte = 1676
; TotalNumSgprs: 24
; NumVgprs: 41
; ScratchSize: 0
; MemoryBound: 0
; FloatMode: 240
; IeeeMode: 1
; LDSByteSize: 0 bytes/workgroup (compile time only)
; SGPRBlocks: 0
; VGPRBlocks: 5
; NumSGPRsForWavesPerEU: 24
; NumVGPRsForWavesPerEU: 41
; Occupancy: 16
; WaveLimiterHint : 0
; COMPUTE_PGM_RSRC2:SCRATCH_EN: 0
; COMPUTE_PGM_RSRC2:USER_SGPR: 6
; COMPUTE_PGM_RSRC2:TRAP_HANDLER: 0
; COMPUTE_PGM_RSRC2:TGID_X_EN: 1
; COMPUTE_PGM_RSRC2:TGID_Y_EN: 1
; COMPUTE_PGM_RSRC2:TGID_Z_EN: 0
; COMPUTE_PGM_RSRC2:TIDIG_COMP_CNT: 1
	.section	.text._ZN2at6native12_GLOBAL__N_135GammaBetaBackwardCUDAKernelTemplateIN3c104HalfEfLj64ELj16ELj128ELb0ELb0ELb1EEEvllPKT_S7_PKT0_SA_PS5_SB_,"axG",@progbits,_ZN2at6native12_GLOBAL__N_135GammaBetaBackwardCUDAKernelTemplateIN3c104HalfEfLj64ELj16ELj128ELb0ELb0ELb1EEEvllPKT_S7_PKT0_SA_PS5_SB_,comdat
	.globl	_ZN2at6native12_GLOBAL__N_135GammaBetaBackwardCUDAKernelTemplateIN3c104HalfEfLj64ELj16ELj128ELb0ELb0ELb1EEEvllPKT_S7_PKT0_SA_PS5_SB_ ; -- Begin function _ZN2at6native12_GLOBAL__N_135GammaBetaBackwardCUDAKernelTemplateIN3c104HalfEfLj64ELj16ELj128ELb0ELb0ELb1EEEvllPKT_S7_PKT0_SA_PS5_SB_
	.p2align	8
	.type	_ZN2at6native12_GLOBAL__N_135GammaBetaBackwardCUDAKernelTemplateIN3c104HalfEfLj64ELj16ELj128ELb0ELb0ELb1EEEvllPKT_S7_PKT0_SA_PS5_SB_,@function
_ZN2at6native12_GLOBAL__N_135GammaBetaBackwardCUDAKernelTemplateIN3c104HalfEfLj64ELj16ELj128ELb0ELb0ELb1EEEvllPKT_S7_PKT0_SA_PS5_SB_: ; @_ZN2at6native12_GLOBAL__N_135GammaBetaBackwardCUDAKernelTemplateIN3c104HalfEfLj64ELj16ELj128ELb0ELb0ELb1EEEvllPKT_S7_PKT0_SA_PS5_SB_
; %bb.0:
	s_clause 0x1
	s_load_dwordx8 s[8:15], s[4:5], 0x0
	s_load_dwordx2 s[2:3], s[4:5], 0x28
	s_lshl_b32 s26, s6, 6
	s_mov_b32 s17, 0
	s_or_b32 s16, s26, 63
	s_waitcnt lgkmcnt(0)
	v_cmp_le_i64_e64 s0, s[10:11], s[16:17]
	s_lshl_b32 s16, s7, 7
	v_cmp_gt_i64_e64 s7, s[8:9], s[16:17]
	s_and_b32 vcc_lo, exec_lo, s0
	v_cndmask_b32_e64 v2, 0, 1, s7
	v_cmp_ne_u32_e64 s0, 1, v2
	s_cbranch_vccz .LBB172_49
; %bb.1:
	v_mov_b32_e32 v85, 0
	s_and_b32 vcc_lo, exec_lo, s0
	s_cbranch_vccnz .LBB172_50
; %bb.2:
	v_lshlrev_b32_e32 v21, 3, v1
	v_mov_b32_e32 v2, 0
	v_add_nc_u32_e32 v5, s26, v0
	s_load_dword s1, s[4:5], 0x44
	s_add_u32 s18, s4, 64
	v_add_co_u32 v11, s0, v21, s16
	v_add_co_ci_u32_e64 v12, null, 0, 0, s0
	v_mov_b32_e32 v6, v2
	v_mul_lo_u32 v7, s11, v11
	v_mad_u64_u32 v[3:4], null, s10, v11, 0
	v_mul_lo_u32 v8, s10, v12
	v_cmp_gt_i64_e64 s0, s[10:11], v[5:6]
	v_lshlrev_b64 v[19:20], 1, v[5:6]
	s_addc_u32 s19, s5, 0
	v_mov_b32_e32 v54, 0
	s_mov_b64 s[24:25], s[16:17]
	v_add3_u32 v4, v4, v8, v7
	v_add_co_u32 v7, vcc_lo, v11, 7
	v_add_co_ci_u32_e64 v8, null, 0, v12, vcc_lo
	v_lshlrev_b64 v[5:6], 1, v[3:4]
	v_mul_lo_u32 v13, s11, v7
	s_waitcnt lgkmcnt(0)
	s_lshl_b32 s27, s1, 7
	v_mul_lo_u32 v14, s10, v8
	v_mad_u64_u32 v[7:8], null, s10, v7, 0
	v_add_co_u32 v22, vcc_lo, s12, v5
	v_add_co_ci_u32_e64 v23, null, s13, v6, vcc_lo
	v_add_co_u32 v9, vcc_lo, v11, 6
	v_add_co_ci_u32_e64 v10, null, 0, v12, vcc_lo
	v_add_co_u32 v24, vcc_lo, s14, v5
	v_mul_lo_u32 v15, s11, v9
	v_mul_lo_u32 v16, s10, v10
	v_mad_u64_u32 v[9:10], null, s10, v9, 0
	v_add3_u32 v8, v8, v14, v13
	v_add_co_ci_u32_e64 v25, null, s15, v6, vcc_lo
	v_add_co_u32 v13, vcc_lo, v11, 5
	v_add_co_ci_u32_e64 v14, null, 0, v12, vcc_lo
	v_add3_u32 v10, v10, v16, v15
	v_lshlrev_b64 v[5:6], 1, v[7:8]
	v_mul_lo_u32 v15, s11, v13
	v_mul_lo_u32 v14, s10, v14
	s_mul_i32 s1, s11, s27
	v_lshlrev_b64 v[7:8], 1, v[9:10]
	v_mad_u64_u32 v[9:10], null, s10, v13, 0
	v_add_co_u32 v26, vcc_lo, s12, v5
	v_add_co_ci_u32_e64 v27, null, s13, v6, vcc_lo
	v_add_co_u32 v28, vcc_lo, s14, v5
	v_add_co_ci_u32_e64 v29, null, s15, v6, vcc_lo
	v_add_co_u32 v30, vcc_lo, s12, v7
	v_add3_u32 v10, v10, v14, v15
	s_mul_hi_u32 s20, s10, s27
	v_add_co_ci_u32_e64 v31, null, s13, v8, vcc_lo
	v_add_co_u32 v13, vcc_lo, v11, 4
	s_add_i32 s21, s20, s1
	v_add_co_u32 v32, s1, s14, v7
	v_add_co_ci_u32_e64 v7, null, 0, v12, vcc_lo
	v_lshlrev_b64 v[5:6], 1, v[9:10]
	v_add_co_u32 v9, vcc_lo, v11, 3
	v_add_co_ci_u32_e64 v10, null, 0, v12, vcc_lo
	v_add_co_ci_u32_e64 v33, null, s15, v8, s1
	v_mul_lo_u32 v14, s11, v13
	v_mul_lo_u32 v15, s10, v7
	v_mad_u64_u32 v[7:8], null, s10, v13, 0
	v_mul_lo_u32 v13, s11, v9
	v_mul_lo_u32 v16, s10, v10
	v_mad_u64_u32 v[9:10], null, s10, v9, 0
	v_add_co_u32 v34, vcc_lo, s12, v5
	v_add_co_ci_u32_e64 v35, null, s13, v6, vcc_lo
	v_add3_u32 v8, v8, v15, v14
	v_add_co_u32 v36, vcc_lo, s14, v5
	v_add_co_ci_u32_e64 v37, null, s15, v6, vcc_lo
	v_add_co_u32 v11, vcc_lo, v11, 2
	v_add3_u32 v10, v10, v16, v13
	v_add_co_ci_u32_e64 v12, null, 0, v12, vcc_lo
	v_lshlrev_b64 v[5:6], 1, v[7:8]
	v_mul_lo_u32 v13, s11, v11
	v_lshlrev_b64 v[7:8], 1, v[9:10]
	v_mul_lo_u32 v12, s10, v12
	v_mad_u64_u32 v[9:10], null, s10, v11, 0
	v_add_co_u32 v38, vcc_lo, s12, v5
	v_add_co_ci_u32_e64 v39, null, s13, v6, vcc_lo
	v_add_co_u32 v40, vcc_lo, s14, v5
	v_add_co_ci_u32_e64 v41, null, s15, v6, vcc_lo
	v_add_co_u32 v42, vcc_lo, s12, v7
	v_add_co_ci_u32_e64 v43, null, s13, v8, vcc_lo
	v_add3_u32 v10, v10, v12, v13
	v_add_co_u32 v44, vcc_lo, s14, v7
	v_add_co_ci_u32_e64 v45, null, s15, v8, vcc_lo
	v_add_co_u32 v3, vcc_lo, v3, s10
	v_add_co_ci_u32_e64 v4, null, s11, v4, vcc_lo
	v_lshlrev_b64 v[5:6], 1, v[9:10]
	s_mul_i32 s20, s10, s27
	v_lshlrev_b64 v[3:4], 1, v[3:4]
	s_lshl_b64 s[20:21], s[20:21], 1
	s_add_u32 s22, s16, 0x7f
	v_add_co_u32 v46, vcc_lo, s12, v5
	v_add_co_ci_u32_e64 v47, null, s13, v6, vcc_lo
	v_add_co_u32 v48, vcc_lo, s14, v5
	v_add_co_ci_u32_e64 v49, null, s15, v6, vcc_lo
	;; [unrolled: 2-line block ×4, first 2 shown]
	s_addc_u32 s23, 0, 0
.LBB172_3:                              ; =>This Inner Loop Header: Depth=1
	v_cmp_ge_i64_e64 s1, s[22:23], s[8:9]
	v_add_co_u32 v55, s28, v21, s22
	v_add_co_ci_u32_e64 v56, null, 0, s23, s28
                                        ; implicit-def: $vgpr3_vgpr4_vgpr5_vgpr6_vgpr7_vgpr8_vgpr9_vgpr10
                                        ; implicit-def: $vgpr85
                                        ; implicit-def: $vgpr11_vgpr12_vgpr13_vgpr14_vgpr15_vgpr16_vgpr17_vgpr18
                                        ; implicit-def: $vgpr3
	s_and_b32 vcc_lo, exec_lo, s1
	s_mov_b32 s1, -1
	s_cbranch_vccz .LBB172_25
; %bb.4:                                ;   in Loop: Header=BB172_3 Depth=1
	s_load_dword s1, s[18:19], 0xc
	v_mov_b32_e32 v57, 0
	s_waitcnt lgkmcnt(0)
	s_and_b32 s1, s1, 0xffff
	v_mad_u32_u24 v3, v1, s1, v0
	s_mov_b32 s1, exec_lo
	v_and_b32_e32 v3, 31, v3
	v_cmpx_gt_u32_e32 8, v3
	s_cbranch_execz .LBB172_8
; %bb.5:                                ;   in Loop: Header=BB172_3 Depth=1
	v_add_co_u32 v3, vcc_lo, v55, v3
	v_add_co_ci_u32_e64 v4, null, 0, v56, vcc_lo
	v_mov_b32_e32 v57, 0
	v_add_co_u32 v3, vcc_lo, 0xffffff81, v3
	v_add_co_ci_u32_e64 v4, null, -1, v4, vcc_lo
	s_mov_b32 s28, exec_lo
	v_cmpx_gt_i64_e64 s[8:9], v[3:4]
	s_cbranch_execz .LBB172_7
; %bb.6:                                ;   in Loop: Header=BB172_3 Depth=1
	v_lshlrev_b64 v[3:4], 2, v[3:4]
	v_add_co_u32 v3, vcc_lo, s2, v3
	v_add_co_ci_u32_e64 v4, null, s3, v4, vcc_lo
	global_load_dword v57, v[3:4], off
.LBB172_7:                              ;   in Loop: Header=BB172_3 Depth=1
	s_or_b32 exec_lo, exec_lo, s28
.LBB172_8:                              ;   in Loop: Header=BB172_3 Depth=1
	s_or_b32 exec_lo, exec_lo, s1
	v_add_co_u32 v10, vcc_lo, 0xffffff81, v55
	v_add_co_ci_u32_e64 v11, null, -1, v56, vcc_lo
	v_mov_b32_e32 v9, v2
	v_mov_b32_e32 v3, v2
	;; [unrolled: 1-line block ×7, first 2 shown]
	v_cmp_gt_i64_e32 vcc_lo, s[8:9], v[10:11]
	v_mov_b32_e32 v18, v9
	v_mov_b32_e32 v15, v6
	;; [unrolled: 1-line block ×16, first 2 shown]
	s_and_b32 s28, s0, vcc_lo
	s_and_saveexec_b32 s1, s28
	s_cbranch_execz .LBB172_10
; %bb.9:                                ;   in Loop: Header=BB172_3 Depth=1
	v_add_co_u32 v3, vcc_lo, v22, v19
	v_add_co_ci_u32_e64 v4, null, v23, v20, vcc_lo
	v_add_co_u32 v5, vcc_lo, v24, v19
	v_add_co_ci_u32_e64 v6, null, v25, v20, vcc_lo
	global_load_ushort v3, v[3:4], off
	global_load_ushort v11, v[5:6], off
	v_mov_b32_e32 v4, v2
	v_mov_b32_e32 v5, v2
	;; [unrolled: 1-line block ×14, first 2 shown]
	s_waitcnt vmcnt(1)
	v_cvt_f32_f16_e32 v3, v3
	s_waitcnt vmcnt(0)
	v_cvt_f32_f16_e32 v11, v11
.LBB172_10:                             ;   in Loop: Header=BB172_3 Depth=1
	s_or_b32 exec_lo, exec_lo, s1
	v_add_co_u32 v58, vcc_lo, 0xffffff82, v55
	v_add_co_ci_u32_e64 v59, null, -1, v56, vcc_lo
	v_cmp_gt_i64_e32 vcc_lo, s[8:9], v[58:59]
	s_and_b32 s28, s0, vcc_lo
	s_and_saveexec_b32 s1, s28
	s_cbranch_execz .LBB172_12
; %bb.11:                               ;   in Loop: Header=BB172_3 Depth=1
	v_add_co_u32 v58, vcc_lo, v50, v19
	v_add_co_ci_u32_e64 v59, null, v51, v20, vcc_lo
	v_add_co_u32 v60, vcc_lo, v52, v19
	v_add_co_ci_u32_e64 v61, null, v53, v20, vcc_lo
	global_load_ushort v4, v[58:59], off
	global_load_ushort v12, v[60:61], off
	s_waitcnt vmcnt(1)
	v_cvt_f32_f16_e32 v4, v4
	s_waitcnt vmcnt(0)
	v_cvt_f32_f16_e32 v12, v12
.LBB172_12:                             ;   in Loop: Header=BB172_3 Depth=1
	s_or_b32 exec_lo, exec_lo, s1
	v_add_co_u32 v58, vcc_lo, 0xffffff83, v55
	v_add_co_ci_u32_e64 v59, null, -1, v56, vcc_lo
	v_cmp_gt_i64_e32 vcc_lo, s[8:9], v[58:59]
	s_and_b32 s28, s0, vcc_lo
	s_and_saveexec_b32 s1, s28
	s_cbranch_execz .LBB172_14
; %bb.13:                               ;   in Loop: Header=BB172_3 Depth=1
	v_add_co_u32 v58, vcc_lo, v46, v19
	v_add_co_ci_u32_e64 v59, null, v47, v20, vcc_lo
	v_add_co_u32 v60, vcc_lo, v48, v19
	v_add_co_ci_u32_e64 v61, null, v49, v20, vcc_lo
	global_load_ushort v5, v[58:59], off
	global_load_ushort v13, v[60:61], off
	s_waitcnt vmcnt(1)
	v_cvt_f32_f16_e32 v5, v5
	s_waitcnt vmcnt(0)
	v_cvt_f32_f16_e32 v13, v13
.LBB172_14:                             ;   in Loop: Header=BB172_3 Depth=1
	;; [unrolled: 19-line block ×7, first 2 shown]
	s_or_b32 exec_lo, exec_lo, s1
	s_waitcnt vmcnt(0)
	ds_bpermute_b32 v58, v2, v57
	ds_bpermute_b32 v59, v2, v57 offset:4
	ds_bpermute_b32 v60, v2, v57 offset:8
	v_mul_f32_e32 v3, v11, v3
	ds_bpermute_b32 v11, v2, v57 offset:12
	v_mul_f32_e32 v4, v12, v4
	ds_bpermute_b32 v12, v2, v57 offset:16
	v_mul_f32_e32 v7, v15, v7
	s_mov_b32 s1, 0
	s_waitcnt lgkmcnt(4)
	v_fma_f32 v85, v3, v58, v54
	v_mul_f32_e32 v3, v13, v5
	ds_bpermute_b32 v5, v2, v57 offset:20
	s_waitcnt lgkmcnt(4)
	v_fmac_f32_e32 v85, v4, v59
	v_mul_f32_e32 v4, v14, v6
	ds_bpermute_b32 v6, v2, v57 offset:24
	s_waitcnt lgkmcnt(4)
	v_fmac_f32_e32 v85, v3, v60
	ds_bpermute_b32 v3, v2, v57 offset:28
	s_waitcnt lgkmcnt(4)
	v_fmac_f32_e32 v85, v4, v11
	v_mul_f32_e32 v4, v16, v8
	s_waitcnt lgkmcnt(3)
	v_fmac_f32_e32 v85, v7, v12
	s_waitcnt lgkmcnt(2)
	v_fmac_f32_e32 v85, v4, v5
	v_mul_f32_e32 v4, v17, v9
	s_waitcnt lgkmcnt(1)
	v_fmac_f32_e32 v85, v4, v6
.LBB172_25:                             ;   in Loop: Header=BB172_3 Depth=1
	s_and_b32 vcc_lo, exec_lo, s1
	s_cbranch_vccz .LBB172_40
; %bb.26:                               ;   in Loop: Header=BB172_3 Depth=1
	s_load_dword s1, s[18:19], 0x0
	v_mov_b32_e32 v57, 0
	s_waitcnt lgkmcnt(0)
	s_cmp_lt_u32 s6, s1
	s_cselect_b32 s1, 12, 18
	s_add_u32 s28, s18, s1
	s_addc_u32 s29, s19, 0
	s_mov_b32 s1, exec_lo
	global_load_ushort v3, v2, s[28:29]
	s_waitcnt vmcnt(0)
	v_mad_u32_u24 v3, v1, v3, v0
	v_and_b32_e32 v3, 31, v3
	v_cmpx_gt_u32_e32 8, v3
	s_cbranch_execz .LBB172_30
; %bb.27:                               ;   in Loop: Header=BB172_3 Depth=1
	v_add_co_u32 v3, vcc_lo, v55, v3
	v_add_co_ci_u32_e64 v4, null, 0, v56, vcc_lo
	v_mov_b32_e32 v57, 0
	v_add_co_u32 v3, vcc_lo, 0xffffff81, v3
	v_add_co_ci_u32_e64 v4, null, -1, v4, vcc_lo
	s_mov_b32 s28, exec_lo
	v_cmpx_gt_i64_e64 s[8:9], v[3:4]
	s_cbranch_execz .LBB172_29
; %bb.28:                               ;   in Loop: Header=BB172_3 Depth=1
	v_lshlrev_b64 v[3:4], 2, v[3:4]
	v_add_co_u32 v3, vcc_lo, s2, v3
	v_add_co_ci_u32_e64 v4, null, s3, v4, vcc_lo
	global_load_dword v57, v[3:4], off
.LBB172_29:                             ;   in Loop: Header=BB172_3 Depth=1
	s_or_b32 exec_lo, exec_lo, s28
.LBB172_30:                             ;   in Loop: Header=BB172_3 Depth=1
	s_or_b32 exec_lo, exec_lo, s1
	v_mov_b32_e32 v9, v2
	v_mov_b32_e32 v3, v2
	;; [unrolled: 1-line block ×23, first 2 shown]
	s_and_saveexec_b32 s1, s0
	s_cbranch_execnz .LBB172_42
; %bb.31:                               ;   in Loop: Header=BB172_3 Depth=1
	s_or_b32 exec_lo, exec_lo, s1
	s_and_saveexec_b32 s1, s0
	s_cbranch_execnz .LBB172_43
.LBB172_32:                             ;   in Loop: Header=BB172_3 Depth=1
	s_or_b32 exec_lo, exec_lo, s1
	s_and_saveexec_b32 s1, s0
	s_cbranch_execnz .LBB172_44
.LBB172_33:                             ;   in Loop: Header=BB172_3 Depth=1
	s_or_b32 exec_lo, exec_lo, s1
	s_and_saveexec_b32 s1, s0
	s_cbranch_execnz .LBB172_45
.LBB172_34:                             ;   in Loop: Header=BB172_3 Depth=1
	s_or_b32 exec_lo, exec_lo, s1
	s_and_saveexec_b32 s1, s0
	s_cbranch_execnz .LBB172_46
.LBB172_35:                             ;   in Loop: Header=BB172_3 Depth=1
	s_or_b32 exec_lo, exec_lo, s1
	s_and_saveexec_b32 s1, s0
	s_cbranch_execnz .LBB172_47
.LBB172_36:                             ;   in Loop: Header=BB172_3 Depth=1
	s_or_b32 exec_lo, exec_lo, s1
	s_and_saveexec_b32 s1, s0
	s_cbranch_execnz .LBB172_48
.LBB172_37:                             ;   in Loop: Header=BB172_3 Depth=1
	s_or_b32 exec_lo, exec_lo, s1
	s_and_saveexec_b32 s1, s0
	s_cbranch_execz .LBB172_39
.LBB172_38:                             ;   in Loop: Header=BB172_3 Depth=1
	v_add_co_u32 v55, vcc_lo, v26, v19
	v_add_co_ci_u32_e64 v56, null, v27, v20, vcc_lo
	v_add_co_u32 v58, vcc_lo, v28, v19
	v_add_co_ci_u32_e64 v59, null, v29, v20, vcc_lo
	global_load_ushort v10, v[55:56], off
	global_load_ushort v18, v[58:59], off
	s_waitcnt vmcnt(1)
	v_cvt_f32_f16_e32 v10, v10
	s_waitcnt vmcnt(0)
	v_cvt_f32_f16_e32 v18, v18
.LBB172_39:                             ;   in Loop: Header=BB172_3 Depth=1
	s_or_b32 exec_lo, exec_lo, s1
	s_waitcnt vmcnt(0)
	ds_bpermute_b32 v55, v2, v57
	ds_bpermute_b32 v56, v2, v57 offset:4
	ds_bpermute_b32 v58, v2, v57 offset:8
	v_mul_f32_e32 v3, v11, v3
	ds_bpermute_b32 v11, v2, v57 offset:12
	v_mul_f32_e32 v4, v12, v4
	ds_bpermute_b32 v12, v2, v57 offset:16
	s_waitcnt lgkmcnt(4)
	v_fmac_f32_e32 v54, v3, v55
	v_mul_f32_e32 v3, v13, v5
	ds_bpermute_b32 v5, v2, v57 offset:20
	s_waitcnt lgkmcnt(4)
	v_fmac_f32_e32 v54, v4, v56
	v_mul_f32_e32 v4, v14, v6
	ds_bpermute_b32 v6, v2, v57 offset:24
	s_waitcnt lgkmcnt(4)
	v_fmac_f32_e32 v54, v3, v58
	v_mul_f32_e32 v3, v15, v7
	s_waitcnt lgkmcnt(3)
	v_fmac_f32_e32 v54, v4, v11
	v_mul_f32_e32 v4, v16, v8
	s_waitcnt lgkmcnt(2)
	v_fmac_f32_e32 v54, v3, v12
	ds_bpermute_b32 v3, v2, v57 offset:28
	s_waitcnt lgkmcnt(2)
	v_fmac_f32_e32 v54, v4, v5
	v_mul_f32_e32 v4, v17, v9
	s_waitcnt lgkmcnt(1)
	v_fmac_f32_e32 v54, v4, v6
	v_mov_b32_e32 v85, v54
.LBB172_40:                             ;   in Loop: Header=BB172_3 Depth=1
	v_add_co_u32 v22, vcc_lo, v22, s20
	v_add_co_ci_u32_e64 v23, null, s21, v23, vcc_lo
	v_add_co_u32 v24, vcc_lo, v24, s20
	v_add_co_ci_u32_e64 v25, null, s21, v25, vcc_lo
	;; [unrolled: 2-line block ×12, first 2 shown]
	v_add_co_u32 v46, vcc_lo, v46, s20
	s_add_u32 s24, s24, s27
	v_add_co_ci_u32_e64 v47, null, s21, v47, vcc_lo
	v_add_co_u32 v48, vcc_lo, v48, s20
	v_mul_f32_e32 v4, v10, v18
	s_addc_u32 s25, s25, 0
	v_add_co_ci_u32_e64 v49, null, s21, v49, vcc_lo
	v_add_co_u32 v50, vcc_lo, v50, s20
	v_cmp_lt_i64_e64 s1, s[24:25], s[8:9]
	v_add_co_ci_u32_e64 v51, null, s21, v51, vcc_lo
	v_add_co_u32 v52, vcc_lo, v52, s20
	s_waitcnt lgkmcnt(0)
	v_fmac_f32_e32 v85, v4, v3
	v_add_co_ci_u32_e64 v53, null, s21, v53, vcc_lo
	s_add_u32 s22, s22, s27
	s_addc_u32 s23, s23, 0
	s_and_b32 vcc_lo, exec_lo, s1
	s_cbranch_vccz .LBB172_50
; %bb.41:                               ;   in Loop: Header=BB172_3 Depth=1
	v_mov_b32_e32 v54, v85
	s_branch .LBB172_3
.LBB172_42:                             ;   in Loop: Header=BB172_3 Depth=1
	v_add_co_u32 v3, vcc_lo, v22, v19
	v_add_co_ci_u32_e64 v4, null, v23, v20, vcc_lo
	v_add_co_u32 v5, vcc_lo, v24, v19
	v_add_co_ci_u32_e64 v6, null, v25, v20, vcc_lo
	global_load_ushort v3, v[3:4], off
	global_load_ushort v11, v[5:6], off
	v_mov_b32_e32 v4, v2
	v_mov_b32_e32 v5, v2
	;; [unrolled: 1-line block ×14, first 2 shown]
	s_waitcnt vmcnt(1)
	v_cvt_f32_f16_e32 v3, v3
	s_waitcnt vmcnt(0)
	v_cvt_f32_f16_e32 v11, v11
	s_or_b32 exec_lo, exec_lo, s1
	s_and_saveexec_b32 s1, s0
	s_cbranch_execz .LBB172_32
.LBB172_43:                             ;   in Loop: Header=BB172_3 Depth=1
	v_add_co_u32 v55, vcc_lo, v50, v19
	v_add_co_ci_u32_e64 v56, null, v51, v20, vcc_lo
	v_add_co_u32 v58, vcc_lo, v52, v19
	v_add_co_ci_u32_e64 v59, null, v53, v20, vcc_lo
	global_load_ushort v4, v[55:56], off
	global_load_ushort v12, v[58:59], off
	s_waitcnt vmcnt(1)
	v_cvt_f32_f16_e32 v4, v4
	s_waitcnt vmcnt(0)
	v_cvt_f32_f16_e32 v12, v12
	s_or_b32 exec_lo, exec_lo, s1
	s_and_saveexec_b32 s1, s0
	s_cbranch_execz .LBB172_33
.LBB172_44:                             ;   in Loop: Header=BB172_3 Depth=1
	v_add_co_u32 v55, vcc_lo, v46, v19
	v_add_co_ci_u32_e64 v56, null, v47, v20, vcc_lo
	v_add_co_u32 v58, vcc_lo, v48, v19
	v_add_co_ci_u32_e64 v59, null, v49, v20, vcc_lo
	global_load_ushort v5, v[55:56], off
	global_load_ushort v13, v[58:59], off
	s_waitcnt vmcnt(1)
	v_cvt_f32_f16_e32 v5, v5
	s_waitcnt vmcnt(0)
	v_cvt_f32_f16_e32 v13, v13
	s_or_b32 exec_lo, exec_lo, s1
	s_and_saveexec_b32 s1, s0
	s_cbranch_execz .LBB172_34
.LBB172_45:                             ;   in Loop: Header=BB172_3 Depth=1
	v_add_co_u32 v55, vcc_lo, v42, v19
	v_add_co_ci_u32_e64 v56, null, v43, v20, vcc_lo
	v_add_co_u32 v58, vcc_lo, v44, v19
	v_add_co_ci_u32_e64 v59, null, v45, v20, vcc_lo
	global_load_ushort v6, v[55:56], off
	global_load_ushort v14, v[58:59], off
	s_waitcnt vmcnt(1)
	v_cvt_f32_f16_e32 v6, v6
	s_waitcnt vmcnt(0)
	v_cvt_f32_f16_e32 v14, v14
	s_or_b32 exec_lo, exec_lo, s1
	s_and_saveexec_b32 s1, s0
	s_cbranch_execz .LBB172_35
.LBB172_46:                             ;   in Loop: Header=BB172_3 Depth=1
	v_add_co_u32 v55, vcc_lo, v38, v19
	v_add_co_ci_u32_e64 v56, null, v39, v20, vcc_lo
	v_add_co_u32 v58, vcc_lo, v40, v19
	v_add_co_ci_u32_e64 v59, null, v41, v20, vcc_lo
	global_load_ushort v7, v[55:56], off
	global_load_ushort v15, v[58:59], off
	s_waitcnt vmcnt(1)
	v_cvt_f32_f16_e32 v7, v7
	s_waitcnt vmcnt(0)
	v_cvt_f32_f16_e32 v15, v15
	s_or_b32 exec_lo, exec_lo, s1
	s_and_saveexec_b32 s1, s0
	s_cbranch_execz .LBB172_36
.LBB172_47:                             ;   in Loop: Header=BB172_3 Depth=1
	v_add_co_u32 v55, vcc_lo, v34, v19
	v_add_co_ci_u32_e64 v56, null, v35, v20, vcc_lo
	v_add_co_u32 v58, vcc_lo, v36, v19
	v_add_co_ci_u32_e64 v59, null, v37, v20, vcc_lo
	global_load_ushort v8, v[55:56], off
	global_load_ushort v16, v[58:59], off
	s_waitcnt vmcnt(1)
	v_cvt_f32_f16_e32 v8, v8
	s_waitcnt vmcnt(0)
	v_cvt_f32_f16_e32 v16, v16
	s_or_b32 exec_lo, exec_lo, s1
	s_and_saveexec_b32 s1, s0
	s_cbranch_execz .LBB172_37
.LBB172_48:                             ;   in Loop: Header=BB172_3 Depth=1
	v_add_co_u32 v55, vcc_lo, v30, v19
	v_add_co_ci_u32_e64 v56, null, v31, v20, vcc_lo
	v_add_co_u32 v58, vcc_lo, v32, v19
	v_add_co_ci_u32_e64 v59, null, v33, v20, vcc_lo
	global_load_ushort v9, v[55:56], off
	global_load_ushort v17, v[58:59], off
	s_waitcnt vmcnt(1)
	v_cvt_f32_f16_e32 v9, v9
	s_waitcnt vmcnt(0)
	v_cvt_f32_f16_e32 v17, v17
	s_or_b32 exec_lo, exec_lo, s1
	s_and_saveexec_b32 s1, s0
	s_cbranch_execnz .LBB172_38
	s_branch .LBB172_39
.LBB172_49:
                                        ; implicit-def: $vgpr85
	s_branch .LBB172_51
.LBB172_50:
	s_cbranch_execnz .LBB172_83
.LBB172_51:
	v_mov_b32_e32 v85, 0
	s_andn2_b32 vcc_lo, exec_lo, s7
	s_cbranch_vccnz .LBB172_83
; %bb.52:
	s_load_dword s7, s[4:5], 0x44
	v_lshlrev_b32_e32 v49, 3, v1
	v_lshlrev_b32_e32 v8, 4, v1
	v_mov_b32_e32 v82, 0
	v_add_co_u32 v4, s0, v49, s16
	v_add_co_ci_u32_e64 v5, null, 0, 0, s0
	s_add_u32 s0, s4, 64
	v_mul_lo_u32 v6, s11, v4
	v_mad_u64_u32 v[2:3], null, s10, v4, 0
	v_mul_lo_u32 v7, s10, v5
	s_addc_u32 s1, s5, 0
	s_waitcnt lgkmcnt(0)
	s_lshl_b32 s7, s7, 7
	v_add3_u32 v3, v3, v7, v6
	s_mul_i32 s19, s11, s7
	s_mul_hi_u32 s20, s10, s7
	s_mul_i32 s18, s10, s7
	s_add_i32 s19, s20, s19
	v_lshlrev_b64 v[6:7], 1, v[2:3]
	s_lshl_b64 s[18:19], s[18:19], 1
	s_add_u32 s20, s16, 0x7f
	s_addc_u32 s21, 0, 0
	s_lshl_b64 s[22:23], s[16:17], 1
	v_add_co_u32 v8, s22, v8, s22
	v_add_co_ci_u32_e64 v9, null, 0, s23, s22
	v_add_co_u32 v10, vcc_lo, v8, 2
	v_add_co_ci_u32_e64 v11, null, 0, v9, vcc_lo
	v_add_co_u32 v50, vcc_lo, s12, v6
	v_add_co_ci_u32_e64 v51, null, s13, v7, vcc_lo
	;; [unrolled: 2-line block ×6, first 2 shown]
	v_add_co_u32 v41, vcc_lo, v8, 10
	v_mad_u64_u32 v[21:22], null, s10, v6, s[12:13]
	v_mul_lo_u32 v7, s10, v7
	v_mul_lo_u32 v15, s11, v6
	v_mad_u64_u32 v[35:36], null, s10, v6, s[14:15]
	v_add_co_ci_u32_e64 v29, null, 0, v9, vcc_lo
	v_add_co_u32 v43, vcc_lo, v8, 12
	v_add_co_ci_u32_e64 v31, null, 0, v9, vcc_lo
	v_add_co_u32 v8, vcc_lo, v8, 14
	v_mad_u64_u32 v[19:20], null, s10, v10, s[12:13]
	v_mul_lo_u32 v11, s10, v11
	v_mul_lo_u32 v12, s11, v10
	v_mad_u64_u32 v[33:34], null, s10, v10, s[14:15]
	v_add_co_ci_u32_e64 v9, null, 0, v9, vcc_lo
	v_add_co_u32 v6, vcc_lo, v4, 7
	v_add3_u32 v22, v15, v22, v7
	v_add3_u32 v36, v15, v36, v7
	v_add_co_ci_u32_e64 v7, null, 0, v5, vcc_lo
	v_mul_lo_u32 v57, s10, v9
	v_add_co_u32 v9, vcc_lo, v4, 6
	v_add3_u32 v20, v12, v20, v11
	v_add3_u32 v34, v12, v34, v11
	v_add_co_ci_u32_e64 v12, null, 0, v5, vcc_lo
	v_mul_lo_u32 v10, s11, v6
	v_mul_lo_u32 v11, s10, v7
	v_mad_u64_u32 v[6:7], null, s10, v6, 0
	v_mad_u64_u32 v[23:24], null, s10, v13, s[12:13]
	v_mul_lo_u32 v17, s11, v13
	v_mul_lo_u32 v55, s10, v31
	v_mad_u64_u32 v[31:32], null, s10, v8, s[12:13]
	v_mul_lo_u32 v58, s11, v8
	v_mad_u64_u32 v[37:38], null, s10, v13, s[14:15]
	v_mad_u64_u32 v[45:46], null, s10, v8, s[14:15]
	v_mul_lo_u32 v13, s11, v9
	v_mul_lo_u32 v12, s10, v12
	v_mad_u64_u32 v[8:9], null, s10, v9, 0
	v_add3_u32 v7, v7, v11, v10
	v_add_co_u32 v10, vcc_lo, v4, 5
	v_mad_u64_u32 v[27:28], null, s10, v41, s[12:13]
	v_mul_lo_u32 v48, s10, v29
	v_mul_lo_u32 v54, s11, v41
	v_mad_u64_u32 v[41:42], null, s10, v41, s[14:15]
	v_add3_u32 v9, v9, v12, v13
	v_add_co_ci_u32_e64 v11, null, 0, v5, vcc_lo
	v_mad_u64_u32 v[29:30], null, s10, v43, s[12:13]
	v_mul_lo_u32 v56, s11, v43
	v_mad_u64_u32 v[43:44], null, s10, v43, s[14:15]
	v_lshlrev_b64 v[6:7], 1, v[6:7]
	v_lshlrev_b64 v[8:9], 1, v[8:9]
	v_mul_lo_u32 v12, s11, v10
	v_mul_lo_u32 v13, s10, v11
	v_mad_u64_u32 v[10:11], null, s10, v10, 0
	v_add3_u32 v28, v54, v28, v48
	v_add3_u32 v42, v54, v42, v48
	v_add_co_u32 v54, vcc_lo, s12, v6
	v_add3_u32 v30, v56, v30, v55
	v_add3_u32 v44, v56, v44, v55
	v_add_co_ci_u32_e64 v55, null, s13, v7, vcc_lo
	v_add_co_u32 v56, vcc_lo, s14, v6
	v_add3_u32 v32, v58, v32, v57
	v_add3_u32 v46, v58, v46, v57
	v_add_co_ci_u32_e64 v57, null, s15, v7, vcc_lo
	v_add_co_u32 v58, vcc_lo, s12, v8
	v_add_co_ci_u32_e64 v59, null, s13, v9, vcc_lo
	v_add3_u32 v11, v11, v13, v12
	v_add_co_u32 v12, vcc_lo, v4, 4
	v_add_co_ci_u32_e64 v13, null, 0, v5, vcc_lo
	v_add_co_u32 v60, vcc_lo, s14, v8
	v_mul_lo_u32 v14, s10, v14
	v_add_co_ci_u32_e64 v61, null, s15, v9, vcc_lo
	v_lshlrev_b64 v[6:7], 1, v[10:11]
	v_mul_lo_u32 v10, s11, v12
	v_mul_lo_u32 v11, s10, v13
	v_mad_u64_u32 v[8:9], null, s10, v12, 0
	v_add_co_u32 v12, vcc_lo, v4, 3
	v_add_co_ci_u32_e64 v13, null, 0, v5, vcc_lo
	v_add_co_u32 v62, vcc_lo, s12, v6
	v_add3_u32 v24, v17, v24, v14
	v_add3_u32 v38, v17, v38, v14
	v_add_co_ci_u32_e64 v63, null, s13, v7, vcc_lo
	v_add3_u32 v9, v9, v11, v10
	v_mul_lo_u32 v14, s11, v12
	v_mad_u64_u32 v[10:11], null, s10, v12, 0
	v_add_co_u32 v12, vcc_lo, v4, 2
	v_mul_lo_u32 v13, s10, v13
	v_add_co_ci_u32_e64 v15, null, 0, v5, vcc_lo
	v_add_co_u32 v64, vcc_lo, s14, v6
	v_lshlrev_b64 v[4:5], 1, v[8:9]
	v_add_co_ci_u32_e64 v65, null, s15, v7, vcc_lo
	v_mul_lo_u32 v8, s11, v12
	v_mul_lo_u32 v9, s10, v15
	v_mad_u64_u32 v[6:7], null, s10, v12, 0
	v_add3_u32 v11, v11, v13, v14
	v_add_co_u32 v66, vcc_lo, s12, v4
	v_add_co_ci_u32_e64 v67, null, s13, v5, vcc_lo
	v_add_co_u32 v68, vcc_lo, s14, v4
	v_add_co_ci_u32_e64 v69, null, s15, v5, vcc_lo
	v_lshlrev_b64 v[4:5], 1, v[10:11]
	v_add3_u32 v7, v7, v9, v8
	v_add_co_u32 v2, vcc_lo, v2, s10
	v_add_co_ci_u32_e64 v3, null, s11, v3, vcc_lo
	v_lshlrev_b64 v[6:7], 1, v[6:7]
	v_add_co_u32 v70, vcc_lo, s12, v4
	v_add_co_ci_u32_e64 v71, null, s13, v5, vcc_lo
	v_add_co_u32 v72, vcc_lo, s14, v4
	v_lshlrev_b64 v[3:4], 1, v[2:3]
	v_mov_b32_e32 v2, 0
	v_mad_u64_u32 v[25:26], null, s10, v16, s[12:13]
	v_mul_lo_u32 v18, s10, v18
	v_mul_lo_u32 v47, s11, v16
	v_mad_u64_u32 v[39:40], null, s10, v16, s[14:15]
	v_add_co_ci_u32_e64 v73, null, s15, v5, vcc_lo
	v_add_co_u32 v74, vcc_lo, s12, v6
	v_add_co_ci_u32_e64 v75, null, s13, v7, vcc_lo
	v_add_co_u32 v76, vcc_lo, s14, v6
	v_add_nc_u32_e32 v5, s26, v0
	v_mov_b32_e32 v6, v2
	v_add_co_ci_u32_e64 v77, null, s15, v7, vcc_lo
	v_add_co_u32 v78, vcc_lo, s12, v3
	v_add_co_ci_u32_e64 v79, null, s13, v4, vcc_lo
	v_add_co_u32 v80, vcc_lo, s14, v3
	v_add3_u32 v26, v47, v26, v18
	v_add3_u32 v40, v47, v40, v18
	v_lshlrev_b64 v[47:48], 1, v[5:6]
	v_add_co_ci_u32_e64 v81, null, s15, v4, vcc_lo
.LBB172_53:                             ; =>This Inner Loop Header: Depth=1
	v_cmp_ge_i64_e64 s12, s[20:21], s[8:9]
	v_add_co_u32 v83, s13, v49, s20
	v_add_co_ci_u32_e64 v84, null, 0, s21, s13
                                        ; implicit-def: $vgpr85
	s_and_b32 vcc_lo, exec_lo, s12
	s_mov_b32 s12, -1
	s_cbranch_vccz .LBB172_75
; %bb.54:                               ;   in Loop: Header=BB172_53 Depth=1
	s_load_dword s12, s[0:1], 0xc
	v_mov_b32_e32 v86, 0
	s_waitcnt lgkmcnt(0)
	s_and_b32 s12, s12, 0xffff
	v_mad_u32_u24 v3, v1, s12, v0
	s_mov_b32 s12, exec_lo
	v_and_b32_e32 v3, 31, v3
	v_cmpx_gt_u32_e32 8, v3
	s_cbranch_execz .LBB172_58
; %bb.55:                               ;   in Loop: Header=BB172_53 Depth=1
	v_add_co_u32 v3, vcc_lo, v83, v3
	v_add_co_ci_u32_e64 v4, null, 0, v84, vcc_lo
	v_mov_b32_e32 v86, 0
	v_add_co_u32 v3, vcc_lo, 0xffffff81, v3
	v_add_co_ci_u32_e64 v4, null, -1, v4, vcc_lo
	s_mov_b32 s13, exec_lo
	v_cmpx_gt_i64_e64 s[8:9], v[3:4]
	s_cbranch_execz .LBB172_57
; %bb.56:                               ;   in Loop: Header=BB172_53 Depth=1
	v_lshlrev_b64 v[3:4], 2, v[3:4]
	v_add_co_u32 v3, vcc_lo, s2, v3
	v_add_co_ci_u32_e64 v4, null, s3, v4, vcc_lo
	global_load_dword v86, v[3:4], off
.LBB172_57:                             ;   in Loop: Header=BB172_53 Depth=1
	s_or_b32 exec_lo, exec_lo, s13
.LBB172_58:                             ;   in Loop: Header=BB172_53 Depth=1
	s_or_b32 exec_lo, exec_lo, s12
	v_add_co_u32 v10, vcc_lo, 0xffffff81, v83
	v_add_co_ci_u32_e64 v11, null, -1, v84, vcc_lo
	v_mov_b32_e32 v9, v2
	v_mov_b32_e32 v3, v2
	;; [unrolled: 1-line block ×7, first 2 shown]
	v_cmp_gt_i64_e32 vcc_lo, s[8:9], v[10:11]
	v_mov_b32_e32 v18, v9
	v_mov_b32_e32 v15, v6
	;; [unrolled: 1-line block ×16, first 2 shown]
	s_and_saveexec_b32 s12, vcc_lo
	s_cbranch_execz .LBB172_60
; %bb.59:                               ;   in Loop: Header=BB172_53 Depth=1
	v_add_co_u32 v3, vcc_lo, v50, v47
	v_add_co_ci_u32_e64 v4, null, v51, v48, vcc_lo
	v_add_co_u32 v5, vcc_lo, v52, v47
	v_add_co_ci_u32_e64 v6, null, v53, v48, vcc_lo
	global_load_ushort v3, v[3:4], off
	global_load_ushort v11, v[5:6], off
	v_mov_b32_e32 v4, v2
	v_mov_b32_e32 v5, v2
	;; [unrolled: 1-line block ×14, first 2 shown]
	s_waitcnt vmcnt(1)
	v_cvt_f32_f16_e32 v3, v3
	s_waitcnt vmcnt(0)
	v_cvt_f32_f16_e32 v11, v11
.LBB172_60:                             ;   in Loop: Header=BB172_53 Depth=1
	s_or_b32 exec_lo, exec_lo, s12
	v_add_co_u32 v87, vcc_lo, 0xffffff82, v83
	v_add_co_ci_u32_e64 v88, null, -1, v84, vcc_lo
	s_mov_b32 s12, exec_lo
	v_cmpx_gt_i64_e64 s[8:9], v[87:88]
	s_cbranch_execz .LBB172_62
; %bb.61:                               ;   in Loop: Header=BB172_53 Depth=1
	v_add_co_u32 v87, vcc_lo, v78, v47
	v_add_co_ci_u32_e64 v88, null, v79, v48, vcc_lo
	v_add_co_u32 v89, vcc_lo, v80, v47
	v_add_co_ci_u32_e64 v90, null, v81, v48, vcc_lo
	global_load_ushort v4, v[87:88], off
	global_load_ushort v12, v[89:90], off
	s_waitcnt vmcnt(1)
	v_cvt_f32_f16_e32 v4, v4
	s_waitcnt vmcnt(0)
	v_cvt_f32_f16_e32 v12, v12
.LBB172_62:                             ;   in Loop: Header=BB172_53 Depth=1
	s_or_b32 exec_lo, exec_lo, s12
	v_add_co_u32 v87, vcc_lo, 0xffffff83, v83
	v_add_co_ci_u32_e64 v88, null, -1, v84, vcc_lo
	s_mov_b32 s12, exec_lo
	v_cmpx_gt_i64_e64 s[8:9], v[87:88]
	s_cbranch_execz .LBB172_64
; %bb.63:                               ;   in Loop: Header=BB172_53 Depth=1
	v_add_co_u32 v87, vcc_lo, v74, v47
	v_add_co_ci_u32_e64 v88, null, v75, v48, vcc_lo
	v_add_co_u32 v89, vcc_lo, v76, v47
	v_add_co_ci_u32_e64 v90, null, v77, v48, vcc_lo
	global_load_ushort v5, v[87:88], off
	global_load_ushort v13, v[89:90], off
	s_waitcnt vmcnt(1)
	v_cvt_f32_f16_e32 v5, v5
	s_waitcnt vmcnt(0)
	v_cvt_f32_f16_e32 v13, v13
.LBB172_64:                             ;   in Loop: Header=BB172_53 Depth=1
	;; [unrolled: 18-line block ×7, first 2 shown]
	s_or_b32 exec_lo, exec_lo, s12
	s_waitcnt vmcnt(0)
	ds_bpermute_b32 v85, v2, v86
	ds_bpermute_b32 v87, v2, v86 offset:4
	ds_bpermute_b32 v88, v2, v86 offset:8
	v_mul_f32_e32 v3, v11, v3
	ds_bpermute_b32 v11, v2, v86 offset:12
	v_mul_f32_e32 v4, v12, v4
	ds_bpermute_b32 v12, v2, v86 offset:16
	s_mov_b32 s12, 0
	s_waitcnt lgkmcnt(4)
	v_fma_f32 v85, v3, v85, v82
	v_mul_f32_e32 v3, v13, v5
	ds_bpermute_b32 v5, v2, v86 offset:20
	s_waitcnt lgkmcnt(4)
	v_fmac_f32_e32 v85, v4, v87
	v_mul_f32_e32 v4, v14, v6
	ds_bpermute_b32 v6, v2, v86 offset:24
	s_waitcnt lgkmcnt(4)
	v_fmac_f32_e32 v85, v3, v88
	v_mul_f32_e32 v3, v15, v7
	v_mul_f32_e32 v7, v16, v8
	s_waitcnt lgkmcnt(3)
	v_fmac_f32_e32 v85, v4, v11
	ds_bpermute_b32 v4, v2, v86 offset:28
	s_waitcnt lgkmcnt(3)
	v_fmac_f32_e32 v85, v3, v12
	v_mul_f32_e32 v3, v17, v9
	s_waitcnt lgkmcnt(2)
	v_fmac_f32_e32 v85, v7, v5
	s_waitcnt lgkmcnt(1)
	v_fmac_f32_e32 v85, v3, v6
	v_mul_f32_e32 v3, v18, v10
	s_waitcnt lgkmcnt(0)
	v_fmac_f32_e32 v85, v3, v4
.LBB172_75:                             ;   in Loop: Header=BB172_53 Depth=1
	s_and_b32 vcc_lo, exec_lo, s12
	s_cbranch_vccz .LBB172_81
; %bb.76:                               ;   in Loop: Header=BB172_53 Depth=1
	s_load_dword s12, s[0:1], 0x0
	v_mov_b32_e32 v5, 0
	s_waitcnt lgkmcnt(0)
	s_cmp_lt_u32 s6, s12
	s_cselect_b32 s12, 12, 18
	s_add_u32 s12, s0, s12
	s_addc_u32 s13, s1, 0
	global_load_ushort v3, v2, s[12:13]
	s_mov_b32 s12, exec_lo
	s_waitcnt vmcnt(0)
	v_mad_u32_u24 v3, v1, v3, v0
	v_and_b32_e32 v3, 31, v3
	v_cmpx_gt_u32_e32 8, v3
	s_cbranch_execz .LBB172_80
; %bb.77:                               ;   in Loop: Header=BB172_53 Depth=1
	v_add_co_u32 v3, vcc_lo, v83, v3
	v_add_co_ci_u32_e64 v4, null, 0, v84, vcc_lo
	v_mov_b32_e32 v5, 0
	v_add_co_u32 v3, vcc_lo, 0xffffff81, v3
	v_add_co_ci_u32_e64 v4, null, -1, v4, vcc_lo
	s_mov_b32 s13, exec_lo
	v_cmpx_gt_i64_e64 s[8:9], v[3:4]
	s_cbranch_execz .LBB172_79
; %bb.78:                               ;   in Loop: Header=BB172_53 Depth=1
	v_lshlrev_b64 v[3:4], 2, v[3:4]
	v_add_co_u32 v3, vcc_lo, s2, v3
	v_add_co_ci_u32_e64 v4, null, s3, v4, vcc_lo
	global_load_dword v5, v[3:4], off
.LBB172_79:                             ;   in Loop: Header=BB172_53 Depth=1
	s_or_b32 exec_lo, exec_lo, s13
.LBB172_80:                             ;   in Loop: Header=BB172_53 Depth=1
	s_or_b32 exec_lo, exec_lo, s12
	v_add_co_u32 v3, vcc_lo, v50, v47
	v_add_co_ci_u32_e64 v4, null, v51, v48, vcc_lo
	v_add_co_u32 v6, vcc_lo, v52, v47
	v_add_co_ci_u32_e64 v7, null, v53, v48, vcc_lo
	;; [unrolled: 2-line block ×5, first 2 shown]
	global_load_ushort v14, v[3:4], off
	global_load_ushort v15, v[6:7], off
	;; [unrolled: 1-line block ×5, first 2 shown]
	v_add_co_u32 v3, vcc_lo, v35, v47
	v_add_co_ci_u32_e64 v4, null, v36, v48, vcc_lo
	v_add_co_u32 v6, vcc_lo, v23, v47
	v_add_co_ci_u32_e64 v7, null, v24, v48, vcc_lo
	;; [unrolled: 2-line block ×5, first 2 shown]
	global_load_ushort v83, v[3:4], off
	global_load_ushort v84, v[6:7], off
	;; [unrolled: 1-line block ×5, first 2 shown]
	v_add_co_u32 v3, vcc_lo, v27, v47
	v_add_co_ci_u32_e64 v4, null, v28, v48, vcc_lo
	v_add_co_u32 v6, vcc_lo, v41, v47
	v_add_co_ci_u32_e64 v7, null, v42, v48, vcc_lo
	;; [unrolled: 2-line block ×4, first 2 shown]
	global_load_ushort v13, v[3:4], off
	global_load_ushort v87, v[6:7], off
	;; [unrolled: 1-line block ×4, first 2 shown]
	v_add_co_u32 v3, vcc_lo, v31, v47
	v_add_co_ci_u32_e64 v4, null, v32, v48, vcc_lo
	v_add_co_u32 v6, vcc_lo, v45, v47
	v_add_co_ci_u32_e64 v7, null, v46, v48, vcc_lo
	global_load_ushort v3, v[3:4], off
	global_load_ushort v4, v[6:7], off
	s_waitcnt vmcnt(16)
	ds_bpermute_b32 v6, v2, v5
	ds_bpermute_b32 v7, v2, v5 offset:4
	ds_bpermute_b32 v10, v2, v5 offset:8
	s_waitcnt vmcnt(15)
	v_cvt_f32_f16_e32 v11, v14
	s_waitcnt vmcnt(14)
	v_cvt_f32_f16_e32 v14, v15
	ds_bpermute_b32 v15, v2, v5 offset:12
	s_waitcnt vmcnt(13)
	v_cvt_f32_f16_e32 v16, v16
	s_waitcnt vmcnt(12)
	v_cvt_f32_f16_e32 v17, v17
	;; [unrolled: 2-line block ×3, first 2 shown]
	v_mul_f32_e32 v11, v11, v14
	ds_bpermute_b32 v14, v2, v5 offset:16
	v_mul_f32_e32 v16, v16, v17
	s_waitcnt lgkmcnt(4)
	v_fmac_f32_e32 v82, v11, v6
	ds_bpermute_b32 v6, v2, v5 offset:20
	s_waitcnt lgkmcnt(4)
	v_fmac_f32_e32 v82, v16, v7
	ds_bpermute_b32 v7, v2, v5 offset:24
	ds_bpermute_b32 v5, v2, v5 offset:28
	s_waitcnt vmcnt(10)
	v_cvt_f32_f16_e32 v83, v83
	s_waitcnt vmcnt(9)
	v_cvt_f32_f16_e32 v11, v84
	;; [unrolled: 2-line block ×5, first 2 shown]
	v_mul_f32_e32 v18, v18, v83
	v_mul_f32_e32 v11, v11, v17
	;; [unrolled: 1-line block ×3, first 2 shown]
	s_waitcnt lgkmcnt(5)
	v_fmac_f32_e32 v82, v18, v10
	s_waitcnt lgkmcnt(4)
	v_fmac_f32_e32 v82, v11, v15
	s_waitcnt vmcnt(5)
	v_cvt_f32_f16_e32 v10, v13
	s_waitcnt vmcnt(4)
	v_cvt_f32_f16_e32 v13, v87
	;; [unrolled: 2-line block ×4, first 2 shown]
	s_waitcnt lgkmcnt(3)
	v_fmac_f32_e32 v82, v12, v14
	v_mul_f32_e32 v10, v10, v13
	v_mul_f32_e32 v8, v8, v9
	s_waitcnt lgkmcnt(2)
	v_fmac_f32_e32 v82, v10, v6
	s_waitcnt vmcnt(1)
	v_cvt_f32_f16_e32 v3, v3
	s_waitcnt vmcnt(0)
	v_cvt_f32_f16_e32 v4, v4
	s_waitcnt lgkmcnt(1)
	v_fmac_f32_e32 v82, v8, v7
	v_mul_f32_e32 v3, v3, v4
	s_waitcnt lgkmcnt(0)
	v_fmac_f32_e32 v82, v3, v5
	v_mov_b32_e32 v85, v82
.LBB172_81:                             ;   in Loop: Header=BB172_53 Depth=1
	v_add_co_u32 v50, vcc_lo, v50, s18
	v_add_co_ci_u32_e64 v51, null, s19, v51, vcc_lo
	v_add_co_u32 v52, vcc_lo, v52, s18
	v_add_co_ci_u32_e64 v53, null, s19, v53, vcc_lo
	;; [unrolled: 2-line block ×26, first 2 shown]
	v_add_co_u32 v74, vcc_lo, v74, s18
	s_add_u32 s16, s16, s7
	v_add_co_ci_u32_e64 v75, null, s19, v75, vcc_lo
	v_add_co_u32 v76, vcc_lo, v76, s18
	s_addc_u32 s17, s17, 0
	v_add_co_ci_u32_e64 v77, null, s19, v77, vcc_lo
	v_add_co_u32 v78, vcc_lo, v78, s18
	v_cmp_ge_i64_e64 s12, s[16:17], s[8:9]
	v_add_co_ci_u32_e64 v79, null, s19, v79, vcc_lo
	v_add_co_u32 v80, vcc_lo, v80, s18
	v_add_co_ci_u32_e64 v81, null, s19, v81, vcc_lo
	s_add_u32 s20, s20, s7
	s_addc_u32 s21, s21, 0
	s_and_b32 vcc_lo, exec_lo, s12
	s_cbranch_vccnz .LBB172_83
; %bb.82:                               ;   in Loop: Header=BB172_53 Depth=1
	v_mov_b32_e32 v82, v85
	s_branch .LBB172_53
.LBB172_83:
	v_mad_u32_u24 v2, 0x41, v1, v0
	s_mov_b32 s0, exec_lo
	v_lshl_add_u32 v3, v2, 2, 0
	v_sub_nc_u32_e32 v4, v2, v1
	v_mov_b32_e32 v1, 0
	ds_write_b32 v3, v85
	ds_write_b32 v3, v1 offset:4160
	s_waitcnt lgkmcnt(0)
	s_barrier
	buffer_gl0_inv
	v_cmpx_gt_u32_e32 0x800, v4
	s_cbranch_execz .LBB172_93
; %bb.84:
	s_load_dwordx2 s[2:3], s[4:5], 0x30
	v_and_b32_e32 v1, 31, v0
	v_lshrrev_b32_e32 v3, 5, v4
	v_cmp_gt_u32_e32 vcc_lo, 16, v1
	v_mul_u32_u24_e32 v5, 0x41, v1
                                        ; implicit-def: $vgpr1
	s_and_saveexec_b32 s0, vcc_lo
	s_cbranch_execz .LBB172_86
; %bb.85:
	v_lshlrev_b32_e32 v1, 2, v3
	v_lshlrev_b32_e32 v2, 2, v5
	v_add3_u32 v1, 0, v1, v2
	ds_read_b32 v1, v1
.LBB172_86:
	s_or_b32 exec_lo, exec_lo, s0
	v_mbcnt_lo_u32_b32 v2, -1, 0
	s_mov_b32 s7, 0
	s_lshl_b64 s[4:5], s[6:7], 6
	s_waitcnt lgkmcnt(0)
	s_cmp_eq_u64 s[2:3], 0
	v_xor_b32_e32 v6, 8, v2
	v_xor_b32_e32 v7, 4, v2
	;; [unrolled: 1-line block ×3, first 2 shown]
	s_cselect_b32 s6, -1, 0
	v_cmp_gt_i32_e64 s0, 32, v6
	v_cndmask_b32_e64 v6, v2, v6, s0
	v_cmp_gt_i32_e64 s0, 32, v7
	v_lshlrev_b32_e32 v6, 2, v6
	v_cndmask_b32_e64 v7, v2, v7, s0
	ds_bpermute_b32 v8, v6, v1
	v_lshlrev_b32_e32 v7, 2, v7
	s_waitcnt lgkmcnt(0)
	v_add_f32_e32 v1, v1, v8
	v_xor_b32_e32 v8, 2, v2
	ds_bpermute_b32 v9, v7, v1
	v_cmp_gt_i32_e64 s0, 32, v8
	v_cndmask_b32_e64 v8, v2, v8, s0
	v_cmp_gt_i32_e64 s0, 32, v10
	v_lshlrev_b32_e32 v8, 2, v8
	v_cndmask_b32_e64 v2, v2, v10, s0
	v_cmp_ne_u32_e64 s0, 0, v0
	s_waitcnt lgkmcnt(0)
	v_add_f32_e32 v1, v1, v9
	ds_bpermute_b32 v9, v8, v1
	s_waitcnt lgkmcnt(0)
	v_add_f32_e32 v10, v1, v9
	v_lshlrev_b32_e32 v9, 2, v2
	v_or_b32_e32 v1, s4, v3
	v_mov_b32_e32 v2, s5
	ds_bpermute_b32 v11, v9, v10
	v_cmp_le_i64_e64 s1, s[10:11], v[1:2]
	s_or_b32 s1, s0, s1
	s_nor_b32 s1, s6, s1
	s_waitcnt lgkmcnt(0)
	v_add_f32_e32 v0, v10, v11
	s_and_saveexec_b32 s7, s1
	s_cbranch_execz .LBB172_88
; %bb.87:
	v_lshlrev_b64 v[1:2], 1, v[1:2]
	v_cvt_f16_f32_e32 v10, v0
	v_add_co_u32 v1, s1, s2, v1
	v_add_co_ci_u32_e64 v2, null, s3, v2, s1
	global_store_short v[1:2], v10, off
.LBB172_88:
	s_or_b32 exec_lo, exec_lo, s7
	v_cmp_gt_u32_e64 s1, 0x400, v4
	s_and_b32 exec_lo, exec_lo, s1
	s_cbranch_execz .LBB172_93
; %bb.89:
	s_and_saveexec_b32 s1, vcc_lo
	s_cbranch_execz .LBB172_91
; %bb.90:
	v_lshlrev_b32_e32 v0, 2, v3
	v_lshlrev_b32_e32 v1, 2, v5
	v_add3_u32 v0, 0, v0, v1
	ds_read_b32 v0, v0 offset:128
.LBB172_91:
	s_or_b32 exec_lo, exec_lo, s1
	s_waitcnt lgkmcnt(0)
	ds_bpermute_b32 v1, v6, v0
	v_add_nc_u32_e32 v2, 32, v3
	v_mov_b32_e32 v5, s5
	v_or_b32_e32 v4, s4, v2
	v_cmp_le_i64_e32 vcc_lo, s[10:11], v[4:5]
	s_or_b32 s0, s0, vcc_lo
	s_nor_b32 s0, s6, s0
	s_waitcnt lgkmcnt(0)
	v_add_f32_e32 v0, v0, v1
	ds_bpermute_b32 v1, v7, v0
	s_waitcnt lgkmcnt(0)
	v_add_f32_e32 v0, v0, v1
	ds_bpermute_b32 v1, v8, v0
	s_waitcnt lgkmcnt(0)
	v_add_f32_e32 v0, v0, v1
	ds_bpermute_b32 v1, v9, v0
	s_and_saveexec_b32 s1, s0
	s_xor_b32 s1, exec_lo, s1
	s_cbranch_execz .LBB172_93
; %bb.92:
	v_add_co_u32 v2, s0, s4, v3
	v_add_co_ci_u32_e64 v3, null, s5, 0, s0
	s_waitcnt lgkmcnt(0)
	v_add_f32_e32 v4, v0, v1
	v_lshlrev_b64 v[2:3], 1, v[2:3]
	v_add_co_u32 v0, vcc_lo, s2, v2
	v_add_co_ci_u32_e64 v1, null, s3, v3, vcc_lo
	v_cvt_f16_f32_e32 v2, v4
	global_store_short v[0:1], v2, off offset:64
.LBB172_93:
	s_endpgm
	.section	.rodata,"a",@progbits
	.p2align	6, 0x0
	.amdhsa_kernel _ZN2at6native12_GLOBAL__N_135GammaBetaBackwardCUDAKernelTemplateIN3c104HalfEfLj64ELj16ELj128ELb0ELb0ELb1EEEvllPKT_S7_PKT0_SA_PS5_SB_
		.amdhsa_group_segment_fixed_size 0
		.amdhsa_private_segment_fixed_size 0
		.amdhsa_kernarg_size 320
		.amdhsa_user_sgpr_count 6
		.amdhsa_user_sgpr_private_segment_buffer 1
		.amdhsa_user_sgpr_dispatch_ptr 0
		.amdhsa_user_sgpr_queue_ptr 0
		.amdhsa_user_sgpr_kernarg_segment_ptr 1
		.amdhsa_user_sgpr_dispatch_id 0
		.amdhsa_user_sgpr_flat_scratch_init 0
		.amdhsa_user_sgpr_private_segment_size 0
		.amdhsa_wavefront_size32 1
		.amdhsa_uses_dynamic_stack 0
		.amdhsa_system_sgpr_private_segment_wavefront_offset 0
		.amdhsa_system_sgpr_workgroup_id_x 1
		.amdhsa_system_sgpr_workgroup_id_y 1
		.amdhsa_system_sgpr_workgroup_id_z 0
		.amdhsa_system_sgpr_workgroup_info 0
		.amdhsa_system_vgpr_workitem_id 1
		.amdhsa_next_free_vgpr 91
		.amdhsa_next_free_sgpr 30
		.amdhsa_reserve_vcc 1
		.amdhsa_reserve_flat_scratch 0
		.amdhsa_float_round_mode_32 0
		.amdhsa_float_round_mode_16_64 0
		.amdhsa_float_denorm_mode_32 3
		.amdhsa_float_denorm_mode_16_64 3
		.amdhsa_dx10_clamp 1
		.amdhsa_ieee_mode 1
		.amdhsa_fp16_overflow 0
		.amdhsa_workgroup_processor_mode 1
		.amdhsa_memory_ordered 1
		.amdhsa_forward_progress 1
		.amdhsa_shared_vgpr_count 0
		.amdhsa_exception_fp_ieee_invalid_op 0
		.amdhsa_exception_fp_denorm_src 0
		.amdhsa_exception_fp_ieee_div_zero 0
		.amdhsa_exception_fp_ieee_overflow 0
		.amdhsa_exception_fp_ieee_underflow 0
		.amdhsa_exception_fp_ieee_inexact 0
		.amdhsa_exception_int_div_zero 0
	.end_amdhsa_kernel
	.section	.text._ZN2at6native12_GLOBAL__N_135GammaBetaBackwardCUDAKernelTemplateIN3c104HalfEfLj64ELj16ELj128ELb0ELb0ELb1EEEvllPKT_S7_PKT0_SA_PS5_SB_,"axG",@progbits,_ZN2at6native12_GLOBAL__N_135GammaBetaBackwardCUDAKernelTemplateIN3c104HalfEfLj64ELj16ELj128ELb0ELb0ELb1EEEvllPKT_S7_PKT0_SA_PS5_SB_,comdat
.Lfunc_end172:
	.size	_ZN2at6native12_GLOBAL__N_135GammaBetaBackwardCUDAKernelTemplateIN3c104HalfEfLj64ELj16ELj128ELb0ELb0ELb1EEEvllPKT_S7_PKT0_SA_PS5_SB_, .Lfunc_end172-_ZN2at6native12_GLOBAL__N_135GammaBetaBackwardCUDAKernelTemplateIN3c104HalfEfLj64ELj16ELj128ELb0ELb0ELb1EEEvllPKT_S7_PKT0_SA_PS5_SB_
                                        ; -- End function
	.set _ZN2at6native12_GLOBAL__N_135GammaBetaBackwardCUDAKernelTemplateIN3c104HalfEfLj64ELj16ELj128ELb0ELb0ELb1EEEvllPKT_S7_PKT0_SA_PS5_SB_.num_vgpr, 91
	.set _ZN2at6native12_GLOBAL__N_135GammaBetaBackwardCUDAKernelTemplateIN3c104HalfEfLj64ELj16ELj128ELb0ELb0ELb1EEEvllPKT_S7_PKT0_SA_PS5_SB_.num_agpr, 0
	.set _ZN2at6native12_GLOBAL__N_135GammaBetaBackwardCUDAKernelTemplateIN3c104HalfEfLj64ELj16ELj128ELb0ELb0ELb1EEEvllPKT_S7_PKT0_SA_PS5_SB_.numbered_sgpr, 30
	.set _ZN2at6native12_GLOBAL__N_135GammaBetaBackwardCUDAKernelTemplateIN3c104HalfEfLj64ELj16ELj128ELb0ELb0ELb1EEEvllPKT_S7_PKT0_SA_PS5_SB_.num_named_barrier, 0
	.set _ZN2at6native12_GLOBAL__N_135GammaBetaBackwardCUDAKernelTemplateIN3c104HalfEfLj64ELj16ELj128ELb0ELb0ELb1EEEvllPKT_S7_PKT0_SA_PS5_SB_.private_seg_size, 0
	.set _ZN2at6native12_GLOBAL__N_135GammaBetaBackwardCUDAKernelTemplateIN3c104HalfEfLj64ELj16ELj128ELb0ELb0ELb1EEEvllPKT_S7_PKT0_SA_PS5_SB_.uses_vcc, 1
	.set _ZN2at6native12_GLOBAL__N_135GammaBetaBackwardCUDAKernelTemplateIN3c104HalfEfLj64ELj16ELj128ELb0ELb0ELb1EEEvllPKT_S7_PKT0_SA_PS5_SB_.uses_flat_scratch, 0
	.set _ZN2at6native12_GLOBAL__N_135GammaBetaBackwardCUDAKernelTemplateIN3c104HalfEfLj64ELj16ELj128ELb0ELb0ELb1EEEvllPKT_S7_PKT0_SA_PS5_SB_.has_dyn_sized_stack, 0
	.set _ZN2at6native12_GLOBAL__N_135GammaBetaBackwardCUDAKernelTemplateIN3c104HalfEfLj64ELj16ELj128ELb0ELb0ELb1EEEvllPKT_S7_PKT0_SA_PS5_SB_.has_recursion, 0
	.set _ZN2at6native12_GLOBAL__N_135GammaBetaBackwardCUDAKernelTemplateIN3c104HalfEfLj64ELj16ELj128ELb0ELb0ELb1EEEvllPKT_S7_PKT0_SA_PS5_SB_.has_indirect_call, 0
	.section	.AMDGPU.csdata,"",@progbits
; Kernel info:
; codeLenInByte = 8232
; TotalNumSgprs: 32
; NumVgprs: 91
; ScratchSize: 0
; MemoryBound: 0
; FloatMode: 240
; IeeeMode: 1
; LDSByteSize: 0 bytes/workgroup (compile time only)
; SGPRBlocks: 0
; VGPRBlocks: 11
; NumSGPRsForWavesPerEU: 32
; NumVGPRsForWavesPerEU: 91
; Occupancy: 10
; WaveLimiterHint : 0
; COMPUTE_PGM_RSRC2:SCRATCH_EN: 0
; COMPUTE_PGM_RSRC2:USER_SGPR: 6
; COMPUTE_PGM_RSRC2:TRAP_HANDLER: 0
; COMPUTE_PGM_RSRC2:TGID_X_EN: 1
; COMPUTE_PGM_RSRC2:TGID_Y_EN: 1
; COMPUTE_PGM_RSRC2:TGID_Z_EN: 0
; COMPUTE_PGM_RSRC2:TIDIG_COMP_CNT: 1
	.section	.text._ZN2at6native12_GLOBAL__N_135GammaBetaBackwardCUDAKernelTemplateIN3c104HalfEfLj64ELj16ELj256ELb0ELb1ELb1EEEvllPKT_S7_PKT0_SA_PS5_SB_,"axG",@progbits,_ZN2at6native12_GLOBAL__N_135GammaBetaBackwardCUDAKernelTemplateIN3c104HalfEfLj64ELj16ELj256ELb0ELb1ELb1EEEvllPKT_S7_PKT0_SA_PS5_SB_,comdat
	.globl	_ZN2at6native12_GLOBAL__N_135GammaBetaBackwardCUDAKernelTemplateIN3c104HalfEfLj64ELj16ELj256ELb0ELb1ELb1EEEvllPKT_S7_PKT0_SA_PS5_SB_ ; -- Begin function _ZN2at6native12_GLOBAL__N_135GammaBetaBackwardCUDAKernelTemplateIN3c104HalfEfLj64ELj16ELj256ELb0ELb1ELb1EEEvllPKT_S7_PKT0_SA_PS5_SB_
	.p2align	8
	.type	_ZN2at6native12_GLOBAL__N_135GammaBetaBackwardCUDAKernelTemplateIN3c104HalfEfLj64ELj16ELj256ELb0ELb1ELb1EEEvllPKT_S7_PKT0_SA_PS5_SB_,@function
_ZN2at6native12_GLOBAL__N_135GammaBetaBackwardCUDAKernelTemplateIN3c104HalfEfLj64ELj16ELj256ELb0ELb1ELb1EEEvllPKT_S7_PKT0_SA_PS5_SB_: ; @_ZN2at6native12_GLOBAL__N_135GammaBetaBackwardCUDAKernelTemplateIN3c104HalfEfLj64ELj16ELj256ELb0ELb1ELb1EEEvllPKT_S7_PKT0_SA_PS5_SB_
; %bb.0:
	s_load_dwordx4 s[8:11], s[4:5], 0x0
	s_lshl_b32 s16, s7, 8
	s_mov_b32 s17, 0
	s_waitcnt lgkmcnt(0)
	v_cmp_gt_i64_e64 s0, s[8:9], s[16:17]
	s_and_b32 vcc_lo, exec_lo, s0
	s_cbranch_vccnz .LBB173_2
; %bb.1:
	s_mov_b32 s0, s17
	s_load_dwordx2 s[2:3], s[4:5], 0x30
	v_mov_b32_e32 v2, 0
	s_andn2_b32 vcc_lo, exec_lo, s0
	s_cbranch_vccz .LBB173_3
	s_branch .LBB173_9
.LBB173_2:
	s_load_dwordx2 s[2:3], s[4:5], 0x30
	v_mov_b32_e32 v2, 0
.LBB173_3:
	s_clause 0x3
	s_load_dword s0, s[4:5], 0x4c
	s_load_dword s1, s[4:5], 0x44
	s_load_dwordx4 s[12:15], s[4:5], 0x10
	s_load_dwordx2 s[18:19], s[4:5], 0x28
	v_lshlrev_b32_e32 v4, 4, v1
	v_mov_b32_e32 v3, 0
	v_lshl_add_u32 v2, s6, 6, v0
	v_mov_b32_e32 v8, 16
	v_mov_b32_e32 v9, 4
	;; [unrolled: 1-line block ×4, first 2 shown]
	v_lshlrev_b64 v[27:28], 1, v[2:3]
	v_mov_b32_e32 v12, 20
	v_mov_b32_e32 v13, 24
	;; [unrolled: 1-line block ×8, first 2 shown]
	s_waitcnt lgkmcnt(0)
	s_and_b32 s0, s0, 0xffff
	s_lshl_b32 s4, s1, 8
	v_mad_u32_u24 v5, v1, s0, v0
	v_add_co_u32 v4, s0, v4, s16
	v_add_co_ci_u32_e64 v19, null, 0, 0, s0
	v_and_b32_e32 v5, 31, v5
	v_mul_lo_u32 v21, s11, v4
	v_mad_u64_u32 v[6:7], null, s10, v4, 0
	v_mul_lo_u32 v22, s10, v19
	v_add_co_u32 v4, vcc_lo, v4, v5
	v_cmp_gt_u32_e64 s0, 16, v5
	v_add_co_ci_u32_e64 v5, null, 0, v19, vcc_lo
	s_mul_i32 s1, s11, s4
	s_mul_hi_u32 s7, s10, s4
	v_add3_u32 v7, v7, v22, v21
	v_lshlrev_b64 v[23:24], 2, v[4:5]
	v_mov_b32_e32 v19, 48
	v_mov_b32_e32 v21, 56
	;; [unrolled: 1-line block ×3, first 2 shown]
	v_lshlrev_b64 v[25:26], 1, v[6:7]
	v_mov_b32_e32 v2, 0
	v_add_co_u32 v6, vcc_lo, s18, v23
	v_add_co_ci_u32_e64 v7, null, s19, v24, vcc_lo
	v_add_co_u32 v23, vcc_lo, v25, v27
	v_add_co_ci_u32_e64 v24, null, v26, v28, vcc_lo
	s_mov_b32 s5, 0
	s_add_i32 s21, s7, s1
	s_mul_i32 s20, s10, s4
	s_lshl_b64 s[18:19], s[4:5], 2
	s_lshl_b64 s[20:21], s[20:21], 1
	;; [unrolled: 1-line block ×3, first 2 shown]
	s_branch .LBB173_6
.LBB173_4:                              ;   in Loop: Header=BB173_6 Depth=1
	s_or_b32 exec_lo, exec_lo, s5
.LBB173_5:                              ;   in Loop: Header=BB173_6 Depth=1
	s_or_b32 exec_lo, exec_lo, s1
	v_add_co_u32 v26, vcc_lo, s12, v23
	v_add_co_ci_u32_e64 v27, null, s13, v24, vcc_lo
	v_add_co_u32 v28, vcc_lo, s14, v23
	v_add_co_ci_u32_e64 v29, null, s15, v24, vcc_lo
	;; [unrolled: 2-line block ×4, first 2 shown]
	global_load_ushort v36, v[26:27], off
	global_load_ushort v37, v[28:29], off
	global_load_ushort v38, v[30:31], off
	global_load_ushort v39, v[32:33], off
	v_add_co_u32 v26, vcc_lo, v30, s10
	v_add_co_ci_u32_e64 v27, null, s11, v31, vcc_lo
	v_add_co_u32 v28, vcc_lo, v32, s10
	v_add_co_ci_u32_e64 v29, null, s11, v33, vcc_lo
	v_add_co_u32 v30, vcc_lo, v26, s10
	v_add_co_ci_u32_e64 v31, null, s11, v27, vcc_lo
	v_add_co_u32 v32, vcc_lo, v28, s10
	v_add_co_ci_u32_e64 v33, null, s11, v29, vcc_lo
	v_add_co_u32 v34, vcc_lo, v30, s10
	v_add_co_ci_u32_e64 v35, null, s11, v31, vcc_lo
	global_load_ushort v40, v[26:27], off
	global_load_ushort v41, v[28:29], off
	global_load_ushort v42, v[30:31], off
	global_load_ushort v43, v[32:33], off
	global_load_ushort v44, v[34:35], off
	v_add_co_u32 v26, vcc_lo, v32, s10
	v_add_co_ci_u32_e64 v27, null, s11, v33, vcc_lo
	v_add_co_u32 v28, vcc_lo, v34, s10
	v_add_co_ci_u32_e64 v29, null, s11, v35, vcc_lo
	v_add_co_u32 v30, vcc_lo, v26, s10
	v_add_co_ci_u32_e64 v31, null, s11, v27, vcc_lo
	v_add_co_u32 v32, vcc_lo, v28, s10
	v_add_co_ci_u32_e64 v33, null, s11, v29, vcc_lo
	v_add_co_u32 v34, vcc_lo, v30, s10
	v_add_co_ci_u32_e64 v35, null, s11, v31, vcc_lo
	global_load_ushort v45, v[26:27], off
	;; [unrolled: 15-line block ×5, first 2 shown]
	global_load_ushort v61, v[28:29], off
	global_load_ushort v62, v[30:31], off
	;; [unrolled: 1-line block ×4, first 2 shown]
	v_add_co_u32 v26, vcc_lo, v32, s10
	v_add_co_ci_u32_e64 v27, null, s11, v33, vcc_lo
	v_add_co_u32 v28, vcc_lo, v34, s10
	v_add_co_ci_u32_e64 v29, null, s11, v35, vcc_lo
	;; [unrolled: 2-line block ×3, first 2 shown]
	global_load_ushort v26, v[26:27], off
	global_load_ushort v27, v[28:29], off
	;; [unrolled: 1-line block ×3, first 2 shown]
	s_waitcnt vmcnt(32)
	ds_bpermute_b32 v29, v3, v25
	ds_bpermute_b32 v30, v9, v25
	;; [unrolled: 1-line block ×4, first 2 shown]
	s_add_u32 s16, s16, s4
	v_add_co_u32 v6, vcc_lo, v6, s18
	s_addc_u32 s17, s17, 0
	v_add_co_ci_u32_e64 v7, null, s19, v7, vcc_lo
	v_add_co_u32 v4, vcc_lo, v4, s4
	v_cmp_lt_i64_e64 s1, s[16:17], s[8:9]
	v_add_co_ci_u32_e64 v5, null, 0, v5, vcc_lo
	v_add_co_u32 v23, vcc_lo, v23, s20
	v_add_co_ci_u32_e64 v24, null, s21, v24, vcc_lo
	s_and_b32 vcc_lo, exec_lo, s1
	s_waitcnt vmcnt(31)
	v_cvt_f32_f16_e32 v31, v36
	s_waitcnt vmcnt(30)
	v_cvt_f32_f16_e32 v32, v37
	;; [unrolled: 2-line block ×3, first 2 shown]
	v_mul_f32_e32 v31, v31, v32
	s_waitcnt vmcnt(28)
	v_cvt_f32_f16_e32 v32, v39
	s_waitcnt lgkmcnt(3)
	v_fmac_f32_e32 v2, v31, v29
	v_mul_f32_e32 v29, v34, v32
	ds_bpermute_b32 v32, v8, v25
	s_waitcnt lgkmcnt(3)
	v_fmac_f32_e32 v2, v29, v30
	s_waitcnt vmcnt(27)
	v_cvt_f32_f16_e32 v36, v40
	s_waitcnt vmcnt(26)
	v_cvt_f32_f16_e32 v31, v41
	;; [unrolled: 2-line block ×4, first 2 shown]
	v_mul_f32_e32 v29, v36, v31
	ds_bpermute_b32 v31, v12, v25
	s_waitcnt vmcnt(23)
	v_cvt_f32_f16_e32 v36, v44
	s_waitcnt lgkmcnt(3)
	v_fmac_f32_e32 v2, v29, v33
	v_mul_f32_e32 v29, v34, v30
	ds_bpermute_b32 v33, v13, v25
	s_waitcnt lgkmcnt(3)
	v_fmac_f32_e32 v2, v29, v35
	ds_bpermute_b32 v35, v14, v25
	s_waitcnt vmcnt(22)
	v_cvt_f32_f16_e32 v30, v45
	s_waitcnt vmcnt(21)
	v_cvt_f32_f16_e32 v34, v46
	v_mul_f32_e32 v29, v36, v30
	s_waitcnt vmcnt(20)
	v_cvt_f32_f16_e32 v30, v47
	s_waitcnt vmcnt(19)
	v_cvt_f32_f16_e32 v36, v48
	s_waitcnt lgkmcnt(3)
	v_fmac_f32_e32 v2, v29, v32
	v_mul_f32_e32 v29, v34, v30
	s_waitcnt vmcnt(18)
	v_cvt_f32_f16_e32 v30, v49
	ds_bpermute_b32 v32, v15, v25
	s_waitcnt lgkmcnt(3)
	v_fmac_f32_e32 v2, v29, v31
	v_mul_f32_e32 v29, v36, v30
	ds_bpermute_b32 v31, v16, v25
	s_waitcnt vmcnt(17)
	v_cvt_f32_f16_e32 v34, v50
	s_waitcnt vmcnt(16)
	v_cvt_f32_f16_e32 v30, v51
	;; [unrolled: 2-line block ×3, first 2 shown]
	s_waitcnt lgkmcnt(3)
	v_fmac_f32_e32 v2, v29, v33
	ds_bpermute_b32 v33, v17, v25
	v_mul_f32_e32 v29, v34, v30
	s_waitcnt vmcnt(14)
	v_cvt_f32_f16_e32 v30, v53
	s_waitcnt vmcnt(13)
	v_cvt_f32_f16_e32 v34, v54
	s_waitcnt lgkmcnt(3)
	v_fmac_f32_e32 v2, v29, v35
	v_mul_f32_e32 v29, v36, v30
	ds_bpermute_b32 v35, v18, v25
	s_waitcnt lgkmcnt(3)
	v_fmac_f32_e32 v2, v29, v32
	ds_bpermute_b32 v32, v19, v25
	s_waitcnt vmcnt(12)
	v_cvt_f32_f16_e32 v30, v55
	s_waitcnt vmcnt(11)
	v_cvt_f32_f16_e32 v36, v56
	;; [unrolled: 2-line block ×3, first 2 shown]
	v_mul_f32_e32 v29, v34, v30
	v_cvt_f32_f16_e32 v30, v57
	ds_bpermute_b32 v34, v20, v25
	s_waitcnt lgkmcnt(4)
	v_fmac_f32_e32 v2, v29, v31
	v_mul_f32_e32 v29, v36, v30
	s_waitcnt vmcnt(8)
	v_cvt_f32_f16_e32 v30, v59
	ds_bpermute_b32 v31, v21, v25
	ds_bpermute_b32 v25, v22, v25
	s_waitcnt lgkmcnt(5)
	v_fmac_f32_e32 v2, v29, v33
	v_mul_f32_e32 v29, v37, v30
	s_waitcnt vmcnt(7)
	v_cvt_f32_f16_e32 v36, v60
	s_waitcnt vmcnt(6)
	v_cvt_f32_f16_e32 v30, v61
	;; [unrolled: 2-line block ×4, first 2 shown]
	s_waitcnt lgkmcnt(4)
	v_fmac_f32_e32 v2, v29, v35
	v_mul_f32_e32 v29, v36, v30
	s_waitcnt vmcnt(3)
	v_cvt_f32_f16_e32 v30, v64
	s_waitcnt lgkmcnt(3)
	v_fmac_f32_e32 v2, v29, v32
	v_mul_f32_e32 v29, v33, v37
	s_waitcnt vmcnt(2)
	v_cvt_f32_f16_e32 v26, v26
	s_waitcnt vmcnt(1)
	v_cvt_f32_f16_e32 v27, v27
	;; [unrolled: 2-line block ×3, first 2 shown]
	s_waitcnt lgkmcnt(2)
	v_fmac_f32_e32 v2, v29, v34
	v_mul_f32_e32 v26, v30, v26
	s_waitcnt lgkmcnt(1)
	v_fmac_f32_e32 v2, v26, v31
	v_mul_f32_e32 v26, v27, v28
	s_waitcnt lgkmcnt(0)
	v_fmac_f32_e32 v2, v26, v25
	s_cbranch_vccz .LBB173_9
.LBB173_6:                              ; =>This Inner Loop Header: Depth=1
	v_mov_b32_e32 v25, 0
	s_and_saveexec_b32 s1, s0
	s_cbranch_execz .LBB173_5
; %bb.7:                                ;   in Loop: Header=BB173_6 Depth=1
	v_mov_b32_e32 v25, 0
	s_mov_b32 s5, exec_lo
	v_cmpx_gt_i64_e64 s[8:9], v[4:5]
	s_cbranch_execz .LBB173_4
; %bb.8:                                ;   in Loop: Header=BB173_6 Depth=1
	global_load_dword v25, v[6:7], off
	s_branch .LBB173_4
.LBB173_9:
	v_mad_u32_u24 v3, 0x41, v1, v0
	s_mov_b32 s0, exec_lo
	v_lshl_add_u32 v4, v3, 2, 0
	v_sub_nc_u32_e32 v3, v3, v1
	v_mov_b32_e32 v1, 0
	ds_write_b32 v4, v2
	ds_write_b32 v4, v1 offset:4160
	s_waitcnt lgkmcnt(0)
	s_barrier
	buffer_gl0_inv
	v_cmpx_gt_u32_e32 0x800, v3
	s_cbranch_execz .LBB173_19
; %bb.10:
	v_and_b32_e32 v2, 31, v0
	v_lshrrev_b32_e32 v1, 5, v3
                                        ; implicit-def: $vgpr6
	v_cmp_gt_u32_e32 vcc_lo, 16, v2
	v_mul_u32_u24_e32 v2, 0x41, v2
	s_and_saveexec_b32 s0, vcc_lo
	s_cbranch_execz .LBB173_12
; %bb.11:
	v_lshlrev_b32_e32 v4, 2, v1
	v_lshlrev_b32_e32 v5, 2, v2
	v_add3_u32 v4, 0, v4, v5
	ds_read_b32 v6, v4
.LBB173_12:
	s_or_b32 exec_lo, exec_lo, s0
	v_mbcnt_lo_u32_b32 v7, -1, 0
	s_cmp_lg_u64 s[2:3], 0
	s_mov_b32 s7, 0
	s_cselect_b32 s1, -1, 0
	s_lshl_b64 s[4:5], s[6:7], 7
	v_xor_b32_e32 v4, 8, v7
	v_xor_b32_e32 v5, 4, v7
	;; [unrolled: 1-line block ×3, first 2 shown]
	v_cmp_gt_i32_e64 s0, 32, v4
	v_cndmask_b32_e64 v4, v7, v4, s0
	v_cmp_gt_i32_e64 s0, 32, v5
	v_lshlrev_b32_e32 v4, 2, v4
	v_cndmask_b32_e64 v5, v7, v5, s0
	s_waitcnt lgkmcnt(0)
	ds_bpermute_b32 v8, v4, v6
	v_lshlrev_b32_e32 v5, 2, v5
	s_waitcnt lgkmcnt(0)
	v_add_f32_e32 v8, v6, v8
	v_xor_b32_e32 v6, 2, v7
	ds_bpermute_b32 v9, v5, v8
	v_cmp_gt_i32_e64 s0, 32, v6
	v_cndmask_b32_e64 v6, v7, v6, s0
	v_cmp_gt_i32_e64 s0, 32, v10
	v_lshlrev_b32_e32 v6, 2, v6
	v_cndmask_b32_e64 v7, v7, v10, s0
	v_cmp_eq_u32_e64 s0, 0, v0
	v_lshlrev_b32_e32 v7, 2, v7
	s_and_b32 s1, s0, s1
	s_add_u32 s2, s2, s4
	s_waitcnt lgkmcnt(0)
	v_add_f32_e32 v8, v8, v9
	s_addc_u32 s3, s3, s5
	ds_bpermute_b32 v9, v6, v8
	s_waitcnt lgkmcnt(0)
	v_add_f32_e32 v8, v8, v9
	ds_bpermute_b32 v9, v7, v8
	s_waitcnt lgkmcnt(0)
	v_add_f32_e32 v0, v8, v9
	s_and_saveexec_b32 s0, s1
	s_cbranch_execz .LBB173_14
; %bb.13:
	v_cvt_f16_f32_e32 v8, v0
	v_lshlrev_b32_e32 v9, 1, v1
	global_store_short v9, v8, s[2:3]
.LBB173_14:
	s_or_b32 exec_lo, exec_lo, s0
	v_cmp_gt_u32_e64 s0, 0x400, v3
	s_and_b32 exec_lo, exec_lo, s0
	s_cbranch_execz .LBB173_19
; %bb.15:
	s_and_saveexec_b32 s0, vcc_lo
	s_cbranch_execz .LBB173_17
; %bb.16:
	v_lshlrev_b32_e32 v0, 2, v1
	v_lshlrev_b32_e32 v2, 2, v2
	v_add3_u32 v0, 0, v0, v2
	ds_read_b32 v0, v0 offset:128
.LBB173_17:
	s_or_b32 exec_lo, exec_lo, s0
	s_waitcnt lgkmcnt(0)
	ds_bpermute_b32 v2, v4, v0
	s_waitcnt lgkmcnt(0)
	v_add_f32_e32 v0, v0, v2
	ds_bpermute_b32 v2, v5, v0
	s_waitcnt lgkmcnt(0)
	v_add_f32_e32 v0, v0, v2
	;; [unrolled: 3-line block ×3, first 2 shown]
	ds_bpermute_b32 v2, v7, v0
	s_and_saveexec_b32 s0, s1
	s_xor_b32 s0, exec_lo, s0
	s_cbranch_execz .LBB173_19
; %bb.18:
	s_waitcnt lgkmcnt(0)
	v_add_f32_e32 v0, v0, v2
	v_lshlrev_b32_e32 v1, 1, v1
	v_cvt_f16_f32_e32 v0, v0
	global_store_short v1, v0, s[2:3] offset:64
.LBB173_19:
	s_endpgm
	.section	.rodata,"a",@progbits
	.p2align	6, 0x0
	.amdhsa_kernel _ZN2at6native12_GLOBAL__N_135GammaBetaBackwardCUDAKernelTemplateIN3c104HalfEfLj64ELj16ELj256ELb0ELb1ELb1EEEvllPKT_S7_PKT0_SA_PS5_SB_
		.amdhsa_group_segment_fixed_size 0
		.amdhsa_private_segment_fixed_size 0
		.amdhsa_kernarg_size 320
		.amdhsa_user_sgpr_count 6
		.amdhsa_user_sgpr_private_segment_buffer 1
		.amdhsa_user_sgpr_dispatch_ptr 0
		.amdhsa_user_sgpr_queue_ptr 0
		.amdhsa_user_sgpr_kernarg_segment_ptr 1
		.amdhsa_user_sgpr_dispatch_id 0
		.amdhsa_user_sgpr_flat_scratch_init 0
		.amdhsa_user_sgpr_private_segment_size 0
		.amdhsa_wavefront_size32 1
		.amdhsa_uses_dynamic_stack 0
		.amdhsa_system_sgpr_private_segment_wavefront_offset 0
		.amdhsa_system_sgpr_workgroup_id_x 1
		.amdhsa_system_sgpr_workgroup_id_y 1
		.amdhsa_system_sgpr_workgroup_id_z 0
		.amdhsa_system_sgpr_workgroup_info 0
		.amdhsa_system_vgpr_workitem_id 1
		.amdhsa_next_free_vgpr 65
		.amdhsa_next_free_sgpr 22
		.amdhsa_reserve_vcc 1
		.amdhsa_reserve_flat_scratch 0
		.amdhsa_float_round_mode_32 0
		.amdhsa_float_round_mode_16_64 0
		.amdhsa_float_denorm_mode_32 3
		.amdhsa_float_denorm_mode_16_64 3
		.amdhsa_dx10_clamp 1
		.amdhsa_ieee_mode 1
		.amdhsa_fp16_overflow 0
		.amdhsa_workgroup_processor_mode 1
		.amdhsa_memory_ordered 1
		.amdhsa_forward_progress 1
		.amdhsa_shared_vgpr_count 0
		.amdhsa_exception_fp_ieee_invalid_op 0
		.amdhsa_exception_fp_denorm_src 0
		.amdhsa_exception_fp_ieee_div_zero 0
		.amdhsa_exception_fp_ieee_overflow 0
		.amdhsa_exception_fp_ieee_underflow 0
		.amdhsa_exception_fp_ieee_inexact 0
		.amdhsa_exception_int_div_zero 0
	.end_amdhsa_kernel
	.section	.text._ZN2at6native12_GLOBAL__N_135GammaBetaBackwardCUDAKernelTemplateIN3c104HalfEfLj64ELj16ELj256ELb0ELb1ELb1EEEvllPKT_S7_PKT0_SA_PS5_SB_,"axG",@progbits,_ZN2at6native12_GLOBAL__N_135GammaBetaBackwardCUDAKernelTemplateIN3c104HalfEfLj64ELj16ELj256ELb0ELb1ELb1EEEvllPKT_S7_PKT0_SA_PS5_SB_,comdat
.Lfunc_end173:
	.size	_ZN2at6native12_GLOBAL__N_135GammaBetaBackwardCUDAKernelTemplateIN3c104HalfEfLj64ELj16ELj256ELb0ELb1ELb1EEEvllPKT_S7_PKT0_SA_PS5_SB_, .Lfunc_end173-_ZN2at6native12_GLOBAL__N_135GammaBetaBackwardCUDAKernelTemplateIN3c104HalfEfLj64ELj16ELj256ELb0ELb1ELb1EEEvllPKT_S7_PKT0_SA_PS5_SB_
                                        ; -- End function
	.set _ZN2at6native12_GLOBAL__N_135GammaBetaBackwardCUDAKernelTemplateIN3c104HalfEfLj64ELj16ELj256ELb0ELb1ELb1EEEvllPKT_S7_PKT0_SA_PS5_SB_.num_vgpr, 65
	.set _ZN2at6native12_GLOBAL__N_135GammaBetaBackwardCUDAKernelTemplateIN3c104HalfEfLj64ELj16ELj256ELb0ELb1ELb1EEEvllPKT_S7_PKT0_SA_PS5_SB_.num_agpr, 0
	.set _ZN2at6native12_GLOBAL__N_135GammaBetaBackwardCUDAKernelTemplateIN3c104HalfEfLj64ELj16ELj256ELb0ELb1ELb1EEEvllPKT_S7_PKT0_SA_PS5_SB_.numbered_sgpr, 22
	.set _ZN2at6native12_GLOBAL__N_135GammaBetaBackwardCUDAKernelTemplateIN3c104HalfEfLj64ELj16ELj256ELb0ELb1ELb1EEEvllPKT_S7_PKT0_SA_PS5_SB_.num_named_barrier, 0
	.set _ZN2at6native12_GLOBAL__N_135GammaBetaBackwardCUDAKernelTemplateIN3c104HalfEfLj64ELj16ELj256ELb0ELb1ELb1EEEvllPKT_S7_PKT0_SA_PS5_SB_.private_seg_size, 0
	.set _ZN2at6native12_GLOBAL__N_135GammaBetaBackwardCUDAKernelTemplateIN3c104HalfEfLj64ELj16ELj256ELb0ELb1ELb1EEEvllPKT_S7_PKT0_SA_PS5_SB_.uses_vcc, 1
	.set _ZN2at6native12_GLOBAL__N_135GammaBetaBackwardCUDAKernelTemplateIN3c104HalfEfLj64ELj16ELj256ELb0ELb1ELb1EEEvllPKT_S7_PKT0_SA_PS5_SB_.uses_flat_scratch, 0
	.set _ZN2at6native12_GLOBAL__N_135GammaBetaBackwardCUDAKernelTemplateIN3c104HalfEfLj64ELj16ELj256ELb0ELb1ELb1EEEvllPKT_S7_PKT0_SA_PS5_SB_.has_dyn_sized_stack, 0
	.set _ZN2at6native12_GLOBAL__N_135GammaBetaBackwardCUDAKernelTemplateIN3c104HalfEfLj64ELj16ELj256ELb0ELb1ELb1EEEvllPKT_S7_PKT0_SA_PS5_SB_.has_recursion, 0
	.set _ZN2at6native12_GLOBAL__N_135GammaBetaBackwardCUDAKernelTemplateIN3c104HalfEfLj64ELj16ELj256ELb0ELb1ELb1EEEvllPKT_S7_PKT0_SA_PS5_SB_.has_indirect_call, 0
	.section	.AMDGPU.csdata,"",@progbits
; Kernel info:
; codeLenInByte = 2376
; TotalNumSgprs: 24
; NumVgprs: 65
; ScratchSize: 0
; MemoryBound: 0
; FloatMode: 240
; IeeeMode: 1
; LDSByteSize: 0 bytes/workgroup (compile time only)
; SGPRBlocks: 0
; VGPRBlocks: 8
; NumSGPRsForWavesPerEU: 24
; NumVGPRsForWavesPerEU: 65
; Occupancy: 12
; WaveLimiterHint : 0
; COMPUTE_PGM_RSRC2:SCRATCH_EN: 0
; COMPUTE_PGM_RSRC2:USER_SGPR: 6
; COMPUTE_PGM_RSRC2:TRAP_HANDLER: 0
; COMPUTE_PGM_RSRC2:TGID_X_EN: 1
; COMPUTE_PGM_RSRC2:TGID_Y_EN: 1
; COMPUTE_PGM_RSRC2:TGID_Z_EN: 0
; COMPUTE_PGM_RSRC2:TIDIG_COMP_CNT: 1
	.section	.text._ZN2at6native12_GLOBAL__N_135GammaBetaBackwardCUDAKernelTemplateIN3c104HalfEfLj64ELj16ELj256ELb0ELb0ELb1EEEvllPKT_S7_PKT0_SA_PS5_SB_,"axG",@progbits,_ZN2at6native12_GLOBAL__N_135GammaBetaBackwardCUDAKernelTemplateIN3c104HalfEfLj64ELj16ELj256ELb0ELb0ELb1EEEvllPKT_S7_PKT0_SA_PS5_SB_,comdat
	.globl	_ZN2at6native12_GLOBAL__N_135GammaBetaBackwardCUDAKernelTemplateIN3c104HalfEfLj64ELj16ELj256ELb0ELb0ELb1EEEvllPKT_S7_PKT0_SA_PS5_SB_ ; -- Begin function _ZN2at6native12_GLOBAL__N_135GammaBetaBackwardCUDAKernelTemplateIN3c104HalfEfLj64ELj16ELj256ELb0ELb0ELb1EEEvllPKT_S7_PKT0_SA_PS5_SB_
	.p2align	8
	.type	_ZN2at6native12_GLOBAL__N_135GammaBetaBackwardCUDAKernelTemplateIN3c104HalfEfLj64ELj16ELj256ELb0ELb0ELb1EEEvllPKT_S7_PKT0_SA_PS5_SB_,@function
_ZN2at6native12_GLOBAL__N_135GammaBetaBackwardCUDAKernelTemplateIN3c104HalfEfLj64ELj16ELj256ELb0ELb0ELb1EEEvllPKT_S7_PKT0_SA_PS5_SB_: ; @_ZN2at6native12_GLOBAL__N_135GammaBetaBackwardCUDAKernelTemplateIN3c104HalfEfLj64ELj16ELj256ELb0ELb0ELb1EEEvllPKT_S7_PKT0_SA_PS5_SB_
; %bb.0:
	s_mov_b64 s[38:39], s[2:3]
	s_mov_b64 s[36:37], s[0:1]
	s_mov_b32 s17, 0
	s_add_u32 s36, s36, s8
	s_clause 0x1
	s_load_dwordx8 s[8:15], s[4:5], 0x0
	s_load_dwordx2 s[2:3], s[4:5], 0x28
	s_addc_u32 s37, s37, 0
	s_lshl_b32 s26, s6, 6
	s_or_b32 s16, s26, 63
	s_waitcnt lgkmcnt(0)
	v_cmp_le_i64_e64 s0, s[10:11], s[16:17]
	s_lshl_b32 s16, s7, 8
	v_cmp_gt_i64_e64 s7, s[8:9], s[16:17]
	s_and_b32 vcc_lo, exec_lo, s0
	v_cndmask_b32_e64 v2, 0, 1, s7
	v_cmp_ne_u32_e64 s0, 1, v2
	s_cbranch_vccz .LBB174_81
; %bb.1:
	v_mov_b32_e32 v98, 0
	s_and_b32 vcc_lo, exec_lo, s0
	s_cbranch_vccnz .LBB174_82
; %bb.2:
	v_lshlrev_b32_e32 v109, 4, v1
	v_mov_b32_e32 v2, 0
	s_load_dword s1, s[4:5], 0x44
	v_add_nc_u32_e32 v7, s26, v0
	s_add_u32 s18, s4, 64
	v_add_co_u32 v5, s0, v109, s16
	v_add_co_ci_u32_e64 v6, null, 0, 0, s0
	v_mov_b32_e32 v8, v2
	v_mul_lo_u32 v12, s11, v5
	v_mad_u64_u32 v[3:4], null, s10, v5, 0
	v_mul_lo_u32 v9, s10, v6
	v_add_co_u32 v10, vcc_lo, v5, 15
	v_add_co_ci_u32_e64 v11, null, 0, v6, vcc_lo
	v_cmp_gt_i64_e64 s0, s[10:11], v[7:8]
	v_lshlrev_b64 v[35:36], 1, v[7:8]
	s_addc_u32 s19, s5, 0
	v_add3_u32 v4, v4, v9, v12
	v_mul_lo_u32 v12, s11, v10
	v_mul_lo_u32 v11, s10, v11
	v_mad_u64_u32 v[9:10], null, s10, v10, 0
	v_lshlrev_b64 v[7:8], 1, v[3:4]
	s_waitcnt lgkmcnt(0)
	s_lshl_b32 s27, s1, 8
	v_mov_b32_e32 v100, 0
	s_mul_i32 s1, s11, s27
	s_mul_hi_u32 s20, s10, s27
	s_mov_b64 s[24:25], s[16:17]
	v_add3_u32 v10, v10, v11, v12
	v_add_co_u32 v11, vcc_lo, v5, 14
	v_add_co_ci_u32_e64 v12, null, 0, v6, vcc_lo
	v_lshlrev_b64 v[9:10], 1, v[9:10]
	v_mul_lo_u32 v13, s11, v11
	v_add_co_u32 v110, vcc_lo, s12, v7
	v_mul_lo_u32 v14, s10, v12
	v_mad_u64_u32 v[11:12], null, s10, v11, 0
	v_add_co_ci_u32_e64 v37, null, s13, v8, vcc_lo
	v_add_co_u32 v38, vcc_lo, s14, v7
	v_add_co_ci_u32_e64 v39, null, s15, v8, vcc_lo
	v_add3_u32 v12, v12, v14, v13
	v_add_co_u32 v40, vcc_lo, s12, v9
	v_add_co_ci_u32_e64 v41, null, s13, v10, vcc_lo
	v_add_co_u32 v13, vcc_lo, v5, 13
	s_add_i32 s21, s20, s1
	v_add_co_u32 v42, s1, s14, v9
	v_lshlrev_b64 v[7:8], 1, v[11:12]
	v_add_co_ci_u32_e64 v9, null, 0, v6, vcc_lo
	v_add_co_u32 v11, vcc_lo, v5, 12
	v_add_co_ci_u32_e64 v12, null, 0, v6, vcc_lo
	v_add_co_ci_u32_e64 v43, null, s15, v10, s1
	v_mul_lo_u32 v14, s11, v13
	v_mul_lo_u32 v15, s10, v9
	v_mad_u64_u32 v[9:10], null, s10, v13, 0
	v_mul_lo_u32 v13, s11, v11
	v_mul_lo_u32 v16, s10, v12
	v_mad_u64_u32 v[11:12], null, s10, v11, 0
	v_add_co_u32 v44, vcc_lo, s12, v7
	v_add_co_ci_u32_e64 v45, null, s13, v8, vcc_lo
	v_add_co_u32 v46, vcc_lo, s14, v7
	v_add_co_ci_u32_e64 v47, null, s15, v8, vcc_lo
	v_add3_u32 v12, v12, v16, v13
	v_add_co_u32 v13, vcc_lo, v5, 11
	v_add3_u32 v10, v10, v15, v14
	v_add_co_ci_u32_e64 v14, null, 0, v6, vcc_lo
	v_mul_lo_u32 v15, s11, v13
	s_mul_i32 s20, s10, s27
	v_lshlrev_b64 v[7:8], 1, v[9:10]
	v_lshlrev_b64 v[9:10], 1, v[11:12]
	v_mul_lo_u32 v14, s10, v14
	v_mad_u64_u32 v[11:12], null, s10, v13, 0
	s_lshl_b64 s[20:21], s[20:21], 1
	v_add_co_u32 v48, vcc_lo, s12, v7
	v_add_co_ci_u32_e64 v49, null, s13, v8, vcc_lo
	v_add_co_u32 v50, vcc_lo, s14, v7
	v_add3_u32 v12, v12, v14, v15
	v_add_co_ci_u32_e64 v51, null, s15, v8, vcc_lo
	v_add_co_u32 v52, vcc_lo, s12, v9
	v_add_co_ci_u32_e64 v53, null, s13, v10, vcc_lo
	v_add_co_u32 v13, vcc_lo, v5, 10
	v_add_co_u32 v54, s1, s14, v9
	v_lshlrev_b64 v[7:8], 1, v[11:12]
	v_add_co_ci_u32_e64 v9, null, 0, v6, vcc_lo
	v_add_co_u32 v11, vcc_lo, v5, 9
	v_add_co_ci_u32_e64 v12, null, 0, v6, vcc_lo
	v_add_co_ci_u32_e64 v55, null, s15, v10, s1
	v_mul_lo_u32 v14, s11, v13
	v_mul_lo_u32 v15, s10, v9
	v_mad_u64_u32 v[9:10], null, s10, v13, 0
	v_mul_lo_u32 v13, s11, v11
	v_mul_lo_u32 v16, s10, v12
	v_mad_u64_u32 v[11:12], null, s10, v11, 0
	v_add_co_u32 v56, vcc_lo, s12, v7
	v_add_co_ci_u32_e64 v57, null, s13, v8, vcc_lo
	v_add_co_u32 v58, vcc_lo, s14, v7
	v_add3_u32 v10, v10, v15, v14
	v_add_co_ci_u32_e64 v59, null, s15, v8, vcc_lo
	v_add3_u32 v12, v12, v16, v13
	v_add_co_u32 v13, vcc_lo, v5, 8
	v_add_co_ci_u32_e64 v14, null, 0, v6, vcc_lo
	v_lshlrev_b64 v[7:8], 1, v[9:10]
	v_lshlrev_b64 v[9:10], 1, v[11:12]
	v_mul_lo_u32 v15, s11, v13
	v_mul_lo_u32 v14, s10, v14
	v_mad_u64_u32 v[11:12], null, s10, v13, 0
	v_add_co_u32 v60, vcc_lo, s12, v7
	v_add_co_ci_u32_e64 v61, null, s13, v8, vcc_lo
	v_add_co_u32 v62, vcc_lo, s14, v7
	v_add_co_ci_u32_e64 v63, null, s15, v8, vcc_lo
	v_add_co_u32 v64, vcc_lo, s12, v9
	v_add3_u32 v12, v12, v14, v15
	v_add_co_ci_u32_e64 v65, null, s13, v10, vcc_lo
	v_add_co_u32 v13, vcc_lo, v5, 7
	v_add_co_u32 v66, s1, s14, v9
	v_add_co_ci_u32_e64 v9, null, 0, v6, vcc_lo
	v_lshlrev_b64 v[7:8], 1, v[11:12]
	v_add_co_u32 v11, vcc_lo, v5, 6
	v_add_co_ci_u32_e64 v12, null, 0, v6, vcc_lo
	v_add_co_ci_u32_e64 v67, null, s15, v10, s1
	v_mul_lo_u32 v14, s11, v13
	v_mul_lo_u32 v15, s10, v9
	v_mad_u64_u32 v[9:10], null, s10, v13, 0
	v_mul_lo_u32 v13, s11, v11
	v_mul_lo_u32 v16, s10, v12
	v_mad_u64_u32 v[11:12], null, s10, v11, 0
	v_add_co_u32 v68, vcc_lo, s12, v7
	v_add3_u32 v10, v10, v15, v14
	v_add_co_ci_u32_e64 v69, null, s13, v8, vcc_lo
	v_add_co_u32 v70, vcc_lo, s14, v7
	v_add_co_ci_u32_e64 v71, null, s15, v8, vcc_lo
	v_add3_u32 v12, v12, v16, v13
	v_add_co_u32 v13, vcc_lo, v5, 5
	v_lshlrev_b64 v[7:8], 1, v[9:10]
	v_add_co_ci_u32_e64 v14, null, 0, v6, vcc_lo
	v_lshlrev_b64 v[9:10], 1, v[11:12]
	v_mul_lo_u32 v15, s11, v13
	v_mad_u64_u32 v[11:12], null, s10, v13, 0
	v_add_co_u32 v72, vcc_lo, s12, v7
	v_mul_lo_u32 v14, s10, v14
	v_add_co_ci_u32_e64 v73, null, s13, v8, vcc_lo
	v_add_co_u32 v74, vcc_lo, s14, v7
	v_add_co_ci_u32_e64 v75, null, s15, v8, vcc_lo
	v_add_co_u32 v76, vcc_lo, s12, v9
	;; [unrolled: 2-line block ×3, first 2 shown]
	v_add3_u32 v12, v12, v14, v15
	v_add_co_u32 v78, s1, s14, v9
	v_add_co_ci_u32_e64 v9, null, 0, v6, vcc_lo
	v_add_co_ci_u32_e64 v79, null, s15, v10, s1
	v_lshlrev_b64 v[7:8], 1, v[11:12]
	v_mul_lo_u32 v14, s11, v13
	v_add_co_u32 v11, vcc_lo, v5, 3
	v_mul_lo_u32 v15, s10, v9
	v_mad_u64_u32 v[9:10], null, s10, v13, 0
	v_add_co_ci_u32_e64 v12, null, 0, v6, vcc_lo
	v_mul_lo_u32 v13, s11, v11
	v_add_co_u32 v80, vcc_lo, s12, v7
	v_mul_lo_u32 v16, s10, v12
	v_mad_u64_u32 v[11:12], null, s10, v11, 0
	v_add3_u32 v10, v10, v15, v14
	v_add_co_ci_u32_e64 v81, null, s13, v8, vcc_lo
	v_add_co_u32 v82, vcc_lo, s14, v7
	v_add_co_ci_u32_e64 v83, null, s15, v8, vcc_lo
	v_lshlrev_b64 v[7:8], 1, v[9:10]
	v_add_co_u32 v9, vcc_lo, v5, 2
	v_add3_u32 v12, v12, v16, v13
	v_add_co_ci_u32_e64 v10, null, 0, v6, vcc_lo
	v_add_co_u32 v84, vcc_lo, s12, v7
	v_lshlrev_b64 v[5:6], 1, v[11:12]
	v_mul_lo_u32 v11, s11, v9
	v_mul_lo_u32 v12, s10, v10
	v_mad_u64_u32 v[9:10], null, s10, v9, 0
	v_add_co_ci_u32_e64 v85, null, s13, v8, vcc_lo
	v_add_co_u32 v86, vcc_lo, s14, v7
	v_add_co_ci_u32_e64 v87, null, s15, v8, vcc_lo
	v_add_co_u32 v88, vcc_lo, s12, v5
	v_add_co_ci_u32_e64 v89, null, s13, v6, vcc_lo
	v_add3_u32 v10, v10, v12, v11
	v_add_co_u32 v90, vcc_lo, s14, v5
	v_add_co_ci_u32_e64 v91, null, s15, v6, vcc_lo
	v_add_co_u32 v3, vcc_lo, v3, s10
	v_add_co_ci_u32_e64 v4, null, s11, v4, vcc_lo
	v_lshlrev_b64 v[5:6], 1, v[9:10]
	s_add_u32 s22, s16, 0xff
	s_addc_u32 s23, 0, 0
	v_lshlrev_b64 v[3:4], 1, v[3:4]
	v_add_co_u32 v92, vcc_lo, s12, v5
	v_add_co_ci_u32_e64 v93, null, s13, v6, vcc_lo
	v_add_co_u32 v94, vcc_lo, s14, v5
	v_add_co_ci_u32_e64 v95, null, s15, v6, vcc_lo
	;; [unrolled: 2-line block ×4, first 2 shown]
.LBB174_3:                              ; =>This Inner Loop Header: Depth=1
	v_cmp_ge_i64_e64 s1, s[22:23], s[8:9]
	v_add_co_u32 v101, s28, v109, s22
	v_add_co_ci_u32_e64 v102, null, 0, s23, s28
                                        ; implicit-def: $vgpr3_vgpr4_vgpr5_vgpr6_vgpr7_vgpr8_vgpr9_vgpr10_vgpr11_vgpr12_vgpr13_vgpr14_vgpr15_vgpr16_vgpr17_vgpr18
                                        ; implicit-def: $vgpr98
                                        ; implicit-def: $vgpr19_vgpr20_vgpr21_vgpr22_vgpr23_vgpr24_vgpr25_vgpr26_vgpr27_vgpr28_vgpr29_vgpr30_vgpr31_vgpr32_vgpr33_vgpr34
                                        ; implicit-def: $vgpr3
	s_and_b32 vcc_lo, exec_lo, s1
	s_mov_b32 s1, -1
	s_cbranch_vccz .LBB174_41
; %bb.4:                                ;   in Loop: Header=BB174_3 Depth=1
	s_load_dword s1, s[18:19], 0xc
	v_mov_b32_e32 v103, 0
	s_waitcnt lgkmcnt(0)
	s_and_b32 s1, s1, 0xffff
	v_mad_u32_u24 v3, v1, s1, v0
	s_mov_b32 s1, exec_lo
	v_and_b32_e32 v3, 31, v3
	v_cmpx_gt_u32_e32 16, v3
	s_cbranch_execz .LBB174_8
; %bb.5:                                ;   in Loop: Header=BB174_3 Depth=1
	v_add_co_u32 v3, vcc_lo, v101, v3
	v_add_co_ci_u32_e64 v4, null, 0, v102, vcc_lo
	v_mov_b32_e32 v103, 0
	v_add_co_u32 v3, vcc_lo, 0xffffff01, v3
	v_add_co_ci_u32_e64 v4, null, -1, v4, vcc_lo
	s_mov_b32 s28, exec_lo
	v_cmpx_gt_i64_e64 s[8:9], v[3:4]
	s_cbranch_execz .LBB174_7
; %bb.6:                                ;   in Loop: Header=BB174_3 Depth=1
	v_lshlrev_b64 v[3:4], 2, v[3:4]
	v_add_co_u32 v3, vcc_lo, s2, v3
	v_add_co_ci_u32_e64 v4, null, s3, v4, vcc_lo
	global_load_dword v103, v[3:4], off
.LBB174_7:                              ;   in Loop: Header=BB174_3 Depth=1
	s_or_b32 exec_lo, exec_lo, s28
.LBB174_8:                              ;   in Loop: Header=BB174_3 Depth=1
	s_or_b32 exec_lo, exec_lo, s1
	v_add_co_u32 v18, vcc_lo, 0xffffff01, v101
	v_add_co_ci_u32_e64 v19, null, -1, v102, vcc_lo
	v_mov_b32_e32 v17, v2
	v_mov_b32_e32 v3, v2
	;; [unrolled: 1-line block ×15, first 2 shown]
	v_cmp_gt_i64_e32 vcc_lo, s[8:9], v[18:19]
	v_mov_b32_e32 v34, v17
	v_mov_b32_e32 v31, v14
	;; [unrolled: 1-line block ×32, first 2 shown]
	s_and_b32 s28, s0, vcc_lo
	s_and_saveexec_b32 s1, s28
	s_cbranch_execz .LBB174_10
; %bb.9:                                ;   in Loop: Header=BB174_3 Depth=1
	v_add_co_u32 v3, vcc_lo, v110, v35
	v_add_co_ci_u32_e64 v4, null, v37, v36, vcc_lo
	v_add_co_u32 v5, vcc_lo, v38, v35
	v_add_co_ci_u32_e64 v6, null, v39, v36, vcc_lo
	global_load_ushort v3, v[3:4], off
	global_load_ushort v19, v[5:6], off
	v_mov_b32_e32 v4, v2
	v_mov_b32_e32 v5, v2
	;; [unrolled: 1-line block ×30, first 2 shown]
	s_waitcnt vmcnt(1)
	v_cvt_f32_f16_e32 v3, v3
	s_waitcnt vmcnt(0)
	v_cvt_f32_f16_e32 v19, v19
.LBB174_10:                             ;   in Loop: Header=BB174_3 Depth=1
	s_or_b32 exec_lo, exec_lo, s1
	v_add_co_u32 v105, vcc_lo, 0xffffff02, v101
	v_add_co_ci_u32_e64 v106, null, -1, v102, vcc_lo
	v_cmp_gt_i64_e32 vcc_lo, s[8:9], v[105:106]
	s_and_b32 s28, s0, vcc_lo
	s_and_saveexec_b32 s1, s28
	s_cbranch_execz .LBB174_12
; %bb.11:                               ;   in Loop: Header=BB174_3 Depth=1
	v_add_co_u32 v105, vcc_lo, v96, v35
	v_add_co_ci_u32_e64 v106, null, v97, v36, vcc_lo
	v_add_co_u32 v107, vcc_lo, v104, v35
	v_add_co_ci_u32_e64 v108, null, v99, v36, vcc_lo
	global_load_ushort v4, v[105:106], off
	global_load_ushort v20, v[107:108], off
	s_waitcnt vmcnt(1)
	v_cvt_f32_f16_e32 v4, v4
	s_waitcnt vmcnt(0)
	v_cvt_f32_f16_e32 v20, v20
.LBB174_12:                             ;   in Loop: Header=BB174_3 Depth=1
	s_or_b32 exec_lo, exec_lo, s1
	v_add_co_u32 v105, vcc_lo, 0xffffff03, v101
	v_add_co_ci_u32_e64 v106, null, -1, v102, vcc_lo
	v_cmp_gt_i64_e32 vcc_lo, s[8:9], v[105:106]
	s_and_b32 s28, s0, vcc_lo
	s_and_saveexec_b32 s1, s28
	s_cbranch_execz .LBB174_14
; %bb.13:                               ;   in Loop: Header=BB174_3 Depth=1
	v_add_co_u32 v105, vcc_lo, v92, v35
	v_add_co_ci_u32_e64 v106, null, v93, v36, vcc_lo
	v_add_co_u32 v107, vcc_lo, v94, v35
	v_add_co_ci_u32_e64 v108, null, v95, v36, vcc_lo
	global_load_ushort v5, v[105:106], off
	global_load_ushort v21, v[107:108], off
	s_waitcnt vmcnt(1)
	v_cvt_f32_f16_e32 v5, v5
	s_waitcnt vmcnt(0)
	v_cvt_f32_f16_e32 v21, v21
.LBB174_14:                             ;   in Loop: Header=BB174_3 Depth=1
	;; [unrolled: 19-line block ×15, first 2 shown]
	s_or_b32 exec_lo, exec_lo, s1
	s_waitcnt vmcnt(0)
	ds_bpermute_b32 v98, v2, v103
	ds_bpermute_b32 v105, v2, v103 offset:4
	ds_bpermute_b32 v106, v2, v103 offset:8
	v_mul_f32_e32 v3, v19, v3
	ds_bpermute_b32 v19, v2, v103 offset:12
	v_mul_f32_e32 v4, v20, v4
	ds_bpermute_b32 v20, v2, v103 offset:16
	s_mov_b32 s1, 0
	s_waitcnt lgkmcnt(4)
	v_fma_f32 v98, v3, v98, v100
	v_mul_f32_e32 v3, v21, v5
	ds_bpermute_b32 v5, v2, v103 offset:20
	s_waitcnt lgkmcnt(4)
	v_fmac_f32_e32 v98, v4, v105
	v_mul_f32_e32 v4, v22, v6
	ds_bpermute_b32 v6, v2, v103 offset:24
	s_waitcnt lgkmcnt(4)
	v_fmac_f32_e32 v98, v3, v106
	;; [unrolled: 4-line block ×9, first 2 shown]
	v_mul_f32_e32 v4, v30, v14
	v_mul_f32_e32 v9, v31, v15
	s_waitcnt lgkmcnt(3)
	v_fmac_f32_e32 v98, v3, v5
	ds_bpermute_b32 v5, v2, v103 offset:56
	ds_bpermute_b32 v3, v2, v103 offset:60
	s_waitcnt lgkmcnt(4)
	v_fmac_f32_e32 v98, v4, v6
	v_mul_f32_e32 v4, v32, v16
	s_waitcnt lgkmcnt(3)
	v_fmac_f32_e32 v98, v9, v7
	s_waitcnt lgkmcnt(2)
	v_fmac_f32_e32 v98, v4, v8
	v_mul_f32_e32 v4, v33, v17
	s_waitcnt lgkmcnt(1)
	v_fmac_f32_e32 v98, v4, v5
.LBB174_41:                             ;   in Loop: Header=BB174_3 Depth=1
	s_and_b32 vcc_lo, exec_lo, s1
	s_cbranch_vccz .LBB174_64
; %bb.42:                               ;   in Loop: Header=BB174_3 Depth=1
	s_load_dword s1, s[18:19], 0x0
	v_mov_b32_e32 v98, 0
	s_waitcnt lgkmcnt(0)
	s_cmp_lt_u32 s6, s1
	s_cselect_b32 s1, 12, 18
	s_add_u32 s28, s18, s1
	s_addc_u32 s29, s19, 0
	s_mov_b32 s1, exec_lo
	global_load_ushort v3, v2, s[28:29]
	s_waitcnt vmcnt(0)
	v_mad_u32_u24 v3, v1, v3, v0
	v_and_b32_e32 v3, 31, v3
	v_cmpx_gt_u32_e32 16, v3
	s_cbranch_execz .LBB174_46
; %bb.43:                               ;   in Loop: Header=BB174_3 Depth=1
	v_add_co_u32 v3, vcc_lo, v101, v3
	v_add_co_ci_u32_e64 v4, null, 0, v102, vcc_lo
	v_mov_b32_e32 v98, 0
	v_add_co_u32 v3, vcc_lo, 0xffffff01, v3
	v_add_co_ci_u32_e64 v4, null, -1, v4, vcc_lo
	s_mov_b32 s28, exec_lo
	v_cmpx_gt_i64_e64 s[8:9], v[3:4]
	s_cbranch_execz .LBB174_45
; %bb.44:                               ;   in Loop: Header=BB174_3 Depth=1
	v_lshlrev_b64 v[3:4], 2, v[3:4]
	v_add_co_u32 v3, vcc_lo, s2, v3
	v_add_co_ci_u32_e64 v4, null, s3, v4, vcc_lo
	global_load_dword v98, v[3:4], off
.LBB174_45:                             ;   in Loop: Header=BB174_3 Depth=1
	s_or_b32 exec_lo, exec_lo, s28
.LBB174_46:                             ;   in Loop: Header=BB174_3 Depth=1
	s_or_b32 exec_lo, exec_lo, s1
	v_mov_b32_e32 v17, v2
	v_mov_b32_e32 v3, v2
	;; [unrolled: 1-line block ×47, first 2 shown]
	s_and_saveexec_b32 s1, s0
	s_cbranch_execnz .LBB174_66
; %bb.47:                               ;   in Loop: Header=BB174_3 Depth=1
	s_or_b32 exec_lo, exec_lo, s1
	s_and_saveexec_b32 s1, s0
	s_cbranch_execnz .LBB174_67
.LBB174_48:                             ;   in Loop: Header=BB174_3 Depth=1
	s_or_b32 exec_lo, exec_lo, s1
	s_and_saveexec_b32 s1, s0
	s_cbranch_execnz .LBB174_68
.LBB174_49:                             ;   in Loop: Header=BB174_3 Depth=1
	s_or_b32 exec_lo, exec_lo, s1
	s_and_saveexec_b32 s1, s0
	s_cbranch_execnz .LBB174_69
.LBB174_50:                             ;   in Loop: Header=BB174_3 Depth=1
	s_or_b32 exec_lo, exec_lo, s1
	s_and_saveexec_b32 s1, s0
	s_cbranch_execnz .LBB174_70
.LBB174_51:                             ;   in Loop: Header=BB174_3 Depth=1
	s_or_b32 exec_lo, exec_lo, s1
	s_and_saveexec_b32 s1, s0
	s_cbranch_execnz .LBB174_71
.LBB174_52:                             ;   in Loop: Header=BB174_3 Depth=1
	s_or_b32 exec_lo, exec_lo, s1
	s_and_saveexec_b32 s1, s0
	s_cbranch_execnz .LBB174_72
.LBB174_53:                             ;   in Loop: Header=BB174_3 Depth=1
	s_or_b32 exec_lo, exec_lo, s1
	s_and_saveexec_b32 s1, s0
	s_cbranch_execnz .LBB174_73
.LBB174_54:                             ;   in Loop: Header=BB174_3 Depth=1
	s_or_b32 exec_lo, exec_lo, s1
	s_and_saveexec_b32 s1, s0
	s_cbranch_execnz .LBB174_74
.LBB174_55:                             ;   in Loop: Header=BB174_3 Depth=1
	s_or_b32 exec_lo, exec_lo, s1
	s_and_saveexec_b32 s1, s0
	s_cbranch_execnz .LBB174_75
.LBB174_56:                             ;   in Loop: Header=BB174_3 Depth=1
	s_or_b32 exec_lo, exec_lo, s1
	s_and_saveexec_b32 s1, s0
	s_cbranch_execnz .LBB174_76
.LBB174_57:                             ;   in Loop: Header=BB174_3 Depth=1
	s_or_b32 exec_lo, exec_lo, s1
	s_and_saveexec_b32 s1, s0
	s_cbranch_execnz .LBB174_77
.LBB174_58:                             ;   in Loop: Header=BB174_3 Depth=1
	s_or_b32 exec_lo, exec_lo, s1
	s_and_saveexec_b32 s1, s0
	s_cbranch_execnz .LBB174_78
.LBB174_59:                             ;   in Loop: Header=BB174_3 Depth=1
	s_or_b32 exec_lo, exec_lo, s1
	s_and_saveexec_b32 s1, s0
	s_cbranch_execnz .LBB174_79
.LBB174_60:                             ;   in Loop: Header=BB174_3 Depth=1
	s_or_b32 exec_lo, exec_lo, s1
	s_and_saveexec_b32 s1, s0
	s_cbranch_execnz .LBB174_80
.LBB174_61:                             ;   in Loop: Header=BB174_3 Depth=1
	s_or_b32 exec_lo, exec_lo, s1
	s_and_saveexec_b32 s1, s0
	s_cbranch_execz .LBB174_63
.LBB174_62:                             ;   in Loop: Header=BB174_3 Depth=1
	v_add_co_u32 v101, vcc_lo, v40, v35
	v_add_co_ci_u32_e64 v102, null, v41, v36, vcc_lo
	v_add_co_u32 v105, vcc_lo, v42, v35
	v_add_co_ci_u32_e64 v106, null, v43, v36, vcc_lo
	global_load_ushort v18, v[101:102], off
	global_load_ushort v34, v[105:106], off
	s_waitcnt vmcnt(1)
	v_cvt_f32_f16_e32 v18, v18
	s_waitcnt vmcnt(0)
	v_cvt_f32_f16_e32 v34, v34
.LBB174_63:                             ;   in Loop: Header=BB174_3 Depth=1
	s_or_b32 exec_lo, exec_lo, s1
	s_waitcnt vmcnt(0)
	ds_bpermute_b32 v101, v2, v98
	ds_bpermute_b32 v102, v2, v98 offset:4
	ds_bpermute_b32 v103, v2, v98 offset:8
	v_mul_f32_e32 v3, v19, v3
	ds_bpermute_b32 v19, v2, v98 offset:12
	v_mul_f32_e32 v4, v20, v4
	ds_bpermute_b32 v20, v2, v98 offset:16
	s_waitcnt lgkmcnt(4)
	v_fmac_f32_e32 v100, v3, v101
	v_mul_f32_e32 v3, v21, v5
	ds_bpermute_b32 v5, v2, v98 offset:20
	s_waitcnt lgkmcnt(4)
	v_fmac_f32_e32 v100, v4, v102
	;; [unrolled: 4-line block ×10, first 2 shown]
	v_mul_f32_e32 v4, v30, v14
	s_waitcnt lgkmcnt(3)
	v_fmac_f32_e32 v100, v3, v5
	ds_bpermute_b32 v5, v2, v98 offset:56
	v_mul_f32_e32 v3, v31, v15
	s_waitcnt lgkmcnt(3)
	v_fmac_f32_e32 v100, v4, v6
	v_mul_f32_e32 v4, v32, v16
	s_waitcnt lgkmcnt(2)
	v_fmac_f32_e32 v100, v3, v7
	ds_bpermute_b32 v3, v2, v98 offset:60
	s_waitcnt lgkmcnt(2)
	v_fmac_f32_e32 v100, v4, v8
	v_mul_f32_e32 v4, v33, v17
	s_waitcnt lgkmcnt(1)
	v_fmac_f32_e32 v100, v4, v5
	v_mov_b32_e32 v98, v100
.LBB174_64:                             ;   in Loop: Header=BB174_3 Depth=1
	v_add_co_u32 v110, vcc_lo, v110, s20
	v_add_co_ci_u32_e64 v37, null, s21, v37, vcc_lo
	v_add_co_u32 v38, vcc_lo, v38, s20
	v_add_co_ci_u32_e64 v39, null, s21, v39, vcc_lo
	;; [unrolled: 2-line block ×28, first 2 shown]
	v_add_co_u32 v92, vcc_lo, v92, s20
	s_add_u32 s24, s24, s27
	v_add_co_ci_u32_e64 v93, null, s21, v93, vcc_lo
	v_add_co_u32 v94, vcc_lo, v94, s20
	v_mul_f32_e32 v4, v18, v34
	s_addc_u32 s25, s25, 0
	v_add_co_ci_u32_e64 v95, null, s21, v95, vcc_lo
	v_add_co_u32 v96, vcc_lo, v96, s20
	v_cmp_lt_i64_e64 s1, s[24:25], s[8:9]
	v_add_co_ci_u32_e64 v97, null, s21, v97, vcc_lo
	v_add_co_u32 v104, vcc_lo, v104, s20
	s_waitcnt lgkmcnt(0)
	v_fmac_f32_e32 v98, v4, v3
	v_add_co_ci_u32_e64 v99, null, s21, v99, vcc_lo
	s_add_u32 s22, s22, s27
	s_addc_u32 s23, s23, 0
	s_and_b32 vcc_lo, exec_lo, s1
	s_cbranch_vccz .LBB174_82
; %bb.65:                               ;   in Loop: Header=BB174_3 Depth=1
	v_mov_b32_e32 v100, v98
	s_branch .LBB174_3
.LBB174_66:                             ;   in Loop: Header=BB174_3 Depth=1
	v_add_co_u32 v3, vcc_lo, v110, v35
	v_add_co_ci_u32_e64 v4, null, v37, v36, vcc_lo
	v_add_co_u32 v5, vcc_lo, v38, v35
	v_add_co_ci_u32_e64 v6, null, v39, v36, vcc_lo
	global_load_ushort v3, v[3:4], off
	global_load_ushort v19, v[5:6], off
	v_mov_b32_e32 v4, v2
	v_mov_b32_e32 v5, v2
	;; [unrolled: 1-line block ×30, first 2 shown]
	s_waitcnt vmcnt(1)
	v_cvt_f32_f16_e32 v3, v3
	s_waitcnt vmcnt(0)
	v_cvt_f32_f16_e32 v19, v19
	s_or_b32 exec_lo, exec_lo, s1
	s_and_saveexec_b32 s1, s0
	s_cbranch_execz .LBB174_48
.LBB174_67:                             ;   in Loop: Header=BB174_3 Depth=1
	v_add_co_u32 v101, vcc_lo, v96, v35
	v_add_co_ci_u32_e64 v102, null, v97, v36, vcc_lo
	v_add_co_u32 v105, vcc_lo, v104, v35
	v_add_co_ci_u32_e64 v106, null, v99, v36, vcc_lo
	global_load_ushort v4, v[101:102], off
	global_load_ushort v20, v[105:106], off
	s_waitcnt vmcnt(1)
	v_cvt_f32_f16_e32 v4, v4
	s_waitcnt vmcnt(0)
	v_cvt_f32_f16_e32 v20, v20
	s_or_b32 exec_lo, exec_lo, s1
	s_and_saveexec_b32 s1, s0
	s_cbranch_execz .LBB174_49
.LBB174_68:                             ;   in Loop: Header=BB174_3 Depth=1
	v_add_co_u32 v101, vcc_lo, v92, v35
	v_add_co_ci_u32_e64 v102, null, v93, v36, vcc_lo
	v_add_co_u32 v105, vcc_lo, v94, v35
	v_add_co_ci_u32_e64 v106, null, v95, v36, vcc_lo
	global_load_ushort v5, v[101:102], off
	global_load_ushort v21, v[105:106], off
	s_waitcnt vmcnt(1)
	v_cvt_f32_f16_e32 v5, v5
	s_waitcnt vmcnt(0)
	v_cvt_f32_f16_e32 v21, v21
	s_or_b32 exec_lo, exec_lo, s1
	s_and_saveexec_b32 s1, s0
	s_cbranch_execz .LBB174_50
.LBB174_69:                             ;   in Loop: Header=BB174_3 Depth=1
	v_add_co_u32 v101, vcc_lo, v88, v35
	v_add_co_ci_u32_e64 v102, null, v89, v36, vcc_lo
	v_add_co_u32 v105, vcc_lo, v90, v35
	v_add_co_ci_u32_e64 v106, null, v91, v36, vcc_lo
	global_load_ushort v6, v[101:102], off
	global_load_ushort v22, v[105:106], off
	s_waitcnt vmcnt(1)
	v_cvt_f32_f16_e32 v6, v6
	s_waitcnt vmcnt(0)
	v_cvt_f32_f16_e32 v22, v22
	s_or_b32 exec_lo, exec_lo, s1
	s_and_saveexec_b32 s1, s0
	s_cbranch_execz .LBB174_51
.LBB174_70:                             ;   in Loop: Header=BB174_3 Depth=1
	v_add_co_u32 v101, vcc_lo, v84, v35
	v_add_co_ci_u32_e64 v102, null, v85, v36, vcc_lo
	v_add_co_u32 v105, vcc_lo, v86, v35
	v_add_co_ci_u32_e64 v106, null, v87, v36, vcc_lo
	global_load_ushort v7, v[101:102], off
	global_load_ushort v23, v[105:106], off
	s_waitcnt vmcnt(1)
	v_cvt_f32_f16_e32 v7, v7
	s_waitcnt vmcnt(0)
	v_cvt_f32_f16_e32 v23, v23
	s_or_b32 exec_lo, exec_lo, s1
	s_and_saveexec_b32 s1, s0
	s_cbranch_execz .LBB174_52
.LBB174_71:                             ;   in Loop: Header=BB174_3 Depth=1
	v_add_co_u32 v101, vcc_lo, v80, v35
	v_add_co_ci_u32_e64 v102, null, v81, v36, vcc_lo
	v_add_co_u32 v105, vcc_lo, v82, v35
	v_add_co_ci_u32_e64 v106, null, v83, v36, vcc_lo
	global_load_ushort v8, v[101:102], off
	global_load_ushort v24, v[105:106], off
	s_waitcnt vmcnt(1)
	v_cvt_f32_f16_e32 v8, v8
	s_waitcnt vmcnt(0)
	v_cvt_f32_f16_e32 v24, v24
	s_or_b32 exec_lo, exec_lo, s1
	s_and_saveexec_b32 s1, s0
	s_cbranch_execz .LBB174_53
.LBB174_72:                             ;   in Loop: Header=BB174_3 Depth=1
	v_add_co_u32 v101, vcc_lo, v76, v35
	v_add_co_ci_u32_e64 v102, null, v77, v36, vcc_lo
	v_add_co_u32 v105, vcc_lo, v78, v35
	v_add_co_ci_u32_e64 v106, null, v79, v36, vcc_lo
	global_load_ushort v9, v[101:102], off
	global_load_ushort v25, v[105:106], off
	s_waitcnt vmcnt(1)
	v_cvt_f32_f16_e32 v9, v9
	s_waitcnt vmcnt(0)
	v_cvt_f32_f16_e32 v25, v25
	s_or_b32 exec_lo, exec_lo, s1
	s_and_saveexec_b32 s1, s0
	s_cbranch_execz .LBB174_54
.LBB174_73:                             ;   in Loop: Header=BB174_3 Depth=1
	v_add_co_u32 v101, vcc_lo, v72, v35
	v_add_co_ci_u32_e64 v102, null, v73, v36, vcc_lo
	v_add_co_u32 v105, vcc_lo, v74, v35
	v_add_co_ci_u32_e64 v106, null, v75, v36, vcc_lo
	global_load_ushort v10, v[101:102], off
	global_load_ushort v26, v[105:106], off
	s_waitcnt vmcnt(1)
	v_cvt_f32_f16_e32 v10, v10
	s_waitcnt vmcnt(0)
	v_cvt_f32_f16_e32 v26, v26
	s_or_b32 exec_lo, exec_lo, s1
	s_and_saveexec_b32 s1, s0
	s_cbranch_execz .LBB174_55
.LBB174_74:                             ;   in Loop: Header=BB174_3 Depth=1
	v_add_co_u32 v101, vcc_lo, v68, v35
	v_add_co_ci_u32_e64 v102, null, v69, v36, vcc_lo
	v_add_co_u32 v105, vcc_lo, v70, v35
	v_add_co_ci_u32_e64 v106, null, v71, v36, vcc_lo
	global_load_ushort v11, v[101:102], off
	global_load_ushort v27, v[105:106], off
	s_waitcnt vmcnt(1)
	v_cvt_f32_f16_e32 v11, v11
	s_waitcnt vmcnt(0)
	v_cvt_f32_f16_e32 v27, v27
	s_or_b32 exec_lo, exec_lo, s1
	s_and_saveexec_b32 s1, s0
	s_cbranch_execz .LBB174_56
.LBB174_75:                             ;   in Loop: Header=BB174_3 Depth=1
	v_add_co_u32 v101, vcc_lo, v64, v35
	v_add_co_ci_u32_e64 v102, null, v65, v36, vcc_lo
	v_add_co_u32 v105, vcc_lo, v66, v35
	v_add_co_ci_u32_e64 v106, null, v67, v36, vcc_lo
	global_load_ushort v12, v[101:102], off
	global_load_ushort v28, v[105:106], off
	s_waitcnt vmcnt(1)
	v_cvt_f32_f16_e32 v12, v12
	s_waitcnt vmcnt(0)
	v_cvt_f32_f16_e32 v28, v28
	s_or_b32 exec_lo, exec_lo, s1
	s_and_saveexec_b32 s1, s0
	s_cbranch_execz .LBB174_57
.LBB174_76:                             ;   in Loop: Header=BB174_3 Depth=1
	v_add_co_u32 v101, vcc_lo, v60, v35
	v_add_co_ci_u32_e64 v102, null, v61, v36, vcc_lo
	v_add_co_u32 v105, vcc_lo, v62, v35
	v_add_co_ci_u32_e64 v106, null, v63, v36, vcc_lo
	global_load_ushort v13, v[101:102], off
	global_load_ushort v29, v[105:106], off
	s_waitcnt vmcnt(1)
	v_cvt_f32_f16_e32 v13, v13
	s_waitcnt vmcnt(0)
	v_cvt_f32_f16_e32 v29, v29
	s_or_b32 exec_lo, exec_lo, s1
	s_and_saveexec_b32 s1, s0
	s_cbranch_execz .LBB174_58
.LBB174_77:                             ;   in Loop: Header=BB174_3 Depth=1
	v_add_co_u32 v101, vcc_lo, v56, v35
	v_add_co_ci_u32_e64 v102, null, v57, v36, vcc_lo
	v_add_co_u32 v105, vcc_lo, v58, v35
	v_add_co_ci_u32_e64 v106, null, v59, v36, vcc_lo
	global_load_ushort v14, v[101:102], off
	global_load_ushort v30, v[105:106], off
	s_waitcnt vmcnt(1)
	v_cvt_f32_f16_e32 v14, v14
	s_waitcnt vmcnt(0)
	v_cvt_f32_f16_e32 v30, v30
	s_or_b32 exec_lo, exec_lo, s1
	s_and_saveexec_b32 s1, s0
	s_cbranch_execz .LBB174_59
.LBB174_78:                             ;   in Loop: Header=BB174_3 Depth=1
	v_add_co_u32 v101, vcc_lo, v52, v35
	v_add_co_ci_u32_e64 v102, null, v53, v36, vcc_lo
	v_add_co_u32 v105, vcc_lo, v54, v35
	v_add_co_ci_u32_e64 v106, null, v55, v36, vcc_lo
	global_load_ushort v15, v[101:102], off
	global_load_ushort v31, v[105:106], off
	s_waitcnt vmcnt(1)
	v_cvt_f32_f16_e32 v15, v15
	s_waitcnt vmcnt(0)
	v_cvt_f32_f16_e32 v31, v31
	s_or_b32 exec_lo, exec_lo, s1
	s_and_saveexec_b32 s1, s0
	s_cbranch_execz .LBB174_60
.LBB174_79:                             ;   in Loop: Header=BB174_3 Depth=1
	v_add_co_u32 v101, vcc_lo, v48, v35
	v_add_co_ci_u32_e64 v102, null, v49, v36, vcc_lo
	v_add_co_u32 v105, vcc_lo, v50, v35
	v_add_co_ci_u32_e64 v106, null, v51, v36, vcc_lo
	global_load_ushort v16, v[101:102], off
	global_load_ushort v32, v[105:106], off
	s_waitcnt vmcnt(1)
	v_cvt_f32_f16_e32 v16, v16
	s_waitcnt vmcnt(0)
	v_cvt_f32_f16_e32 v32, v32
	s_or_b32 exec_lo, exec_lo, s1
	s_and_saveexec_b32 s1, s0
	s_cbranch_execz .LBB174_61
.LBB174_80:                             ;   in Loop: Header=BB174_3 Depth=1
	v_add_co_u32 v101, vcc_lo, v44, v35
	v_add_co_ci_u32_e64 v102, null, v45, v36, vcc_lo
	v_add_co_u32 v105, vcc_lo, v46, v35
	v_add_co_ci_u32_e64 v106, null, v47, v36, vcc_lo
	global_load_ushort v17, v[101:102], off
	global_load_ushort v33, v[105:106], off
	s_waitcnt vmcnt(1)
	v_cvt_f32_f16_e32 v17, v17
	s_waitcnt vmcnt(0)
	v_cvt_f32_f16_e32 v33, v33
	s_or_b32 exec_lo, exec_lo, s1
	s_and_saveexec_b32 s1, s0
	s_cbranch_execnz .LBB174_62
	s_branch .LBB174_63
.LBB174_81:
                                        ; implicit-def: $vgpr98
	s_branch .LBB174_83
.LBB174_82:
	s_cbranch_execnz .LBB174_132
.LBB174_83:
	v_mov_b32_e32 v98, 0
	s_andn2_b32 vcc_lo, exec_lo, s7
	s_cbranch_vccnz .LBB174_132
; %bb.84:
	buffer_store_dword v0, off, s[36:39], 0 offset:152 ; 4-byte Folded Spill
	v_add_nc_u32_e32 v3, s26, v0
	v_lshlrev_b32_e32 v0, 4, v1
	v_mov_b32_e32 v2, 0
	s_load_dword s7, s[4:5], 0x44
	s_add_u32 s0, s4, 64
	s_addc_u32 s1, s5, 0
	v_add_co_u32 v5, s18, v0, s16
	v_mov_b32_e32 v4, v2
	v_add_co_ci_u32_e64 v6, null, 0, 0, s18
	buffer_store_dword v0, off, s[36:39], 0 offset:160 ; 4-byte Folded Spill
	v_mul_lo_u32 v0, s11, v5
	v_lshlrev_b64 v[35:36], 1, v[3:4]
	v_mul_lo_u32 v7, s10, v6
	v_mad_u64_u32 v[3:4], null, s10, v5, 0
	buffer_store_dword v1, off, s[36:39], 0 offset:156 ; 4-byte Folded Spill
	v_mov_b32_e32 v100, 0
	v_add3_u32 v4, v4, v7, v0
	s_waitcnt lgkmcnt(0)
	s_lshl_b32 s7, s7, 8
	s_mul_i32 s18, s11, s7
	s_mul_hi_u32 s19, s10, s7
	v_lshlrev_b64 v[7:8], 1, v[3:4]
	s_add_i32 s19, s19, s18
	s_mul_i32 s18, s10, s7
	s_lshl_b64 s[18:19], s[18:19], 1
	s_add_u32 s20, s16, 0xff
	v_add_co_u32 v0, vcc_lo, s12, v7
	s_addc_u32 s21, 0, 0
	s_lshl_b64 s[22:23], s[16:17], 1
	buffer_store_dword v0, off, s[36:39], 0 ; 4-byte Folded Spill
	v_add_co_ci_u32_e64 v0, null, s13, v8, vcc_lo
	buffer_store_dword v0, off, s[36:39], 0 offset:4 ; 4-byte Folded Spill
	v_add_co_u32 v0, vcc_lo, s14, v7
	buffer_store_dword v0, off, s[36:39], 0 offset:8 ; 4-byte Folded Spill
	v_add_co_ci_u32_e64 v0, null, s15, v8, vcc_lo
	buffer_store_dword v0, off, s[36:39], 0 offset:12 ; 4-byte Folded Spill
	v_lshlrev_b32_e32 v0, 5, v1
	v_add_co_u32 v0, s22, v0, s22
	v_add_co_ci_u32_e64 v1, null, 0, s23, s22
	v_add_co_u32 v67, vcc_lo, v0, 2
	v_add_co_ci_u32_e64 v7, null, 0, v1, vcc_lo
	v_add_co_u32 v70, vcc_lo, v0, 4
	v_mad_u64_u32 v[37:38], null, s10, v67, s[12:13]
	v_mul_lo_u32 v69, s10, v7
	v_add_co_ci_u32_e64 v7, null, 0, v1, vcc_lo
	v_add_co_u32 v71, vcc_lo, v0, 6
	v_mul_lo_u32 v72, s11, v67
	v_mul_lo_u32 v81, s10, v7
	v_add_co_ci_u32_e64 v7, null, 0, v1, vcc_lo
	v_add_co_u32 v73, vcc_lo, v0, 8
	v_mad_u64_u32 v[67:68], null, s10, v67, s[14:15]
	v_mul_lo_u32 v74, s10, v7
	v_add_co_ci_u32_e64 v7, null, 0, v1, vcc_lo
	v_add_co_u32 v75, vcc_lo, v0, 10
	v_add3_u32 v38, v72, v38, v69
	v_mul_lo_u32 v76, s10, v7
	v_add_co_ci_u32_e64 v7, null, 0, v1, vcc_lo
	v_add_co_u32 v32, vcc_lo, v0, 12
	v_mad_u64_u32 v[41:42], null, s10, v71, s[12:13]
	v_mul_lo_u32 v77, s10, v7
	v_add_co_ci_u32_e64 v7, null, 0, v1, vcc_lo
	v_add_co_u32 v31, vcc_lo, v0, 14
	v_mul_lo_u32 v80, s11, v71
	v_mul_lo_u32 v33, s10, v7
	v_add_co_ci_u32_e64 v7, null, 0, v1, vcc_lo
	v_add_co_u32 v26, vcc_lo, v0, 16
	v_add3_u32 v68, v72, v68, v69
	v_mul_lo_u32 v29, s10, v7
	v_add_co_ci_u32_e64 v7, null, 0, v1, vcc_lo
	v_add_co_u32 v25, vcc_lo, v0, 18
	v_mad_u64_u32 v[71:72], null, s10, v71, s[14:15]
	v_mul_lo_u32 v27, s10, v7
	v_add_co_ci_u32_e64 v7, null, 0, v1, vcc_lo
	v_add_co_u32 v20, vcc_lo, v0, 20
	v_add3_u32 v42, v80, v42, v74
	v_mul_lo_u32 v23, s10, v7
	v_add_co_ci_u32_e64 v7, null, 0, v1, vcc_lo
	v_add_co_u32 v19, vcc_lo, v0, 22
	v_mad_u64_u32 v[43:44], null, s10, v73, s[12:13]
	v_mul_lo_u32 v21, s10, v7
	v_add_co_ci_u32_e64 v7, null, 0, v1, vcc_lo
	v_add_co_u32 v14, vcc_lo, v0, 24
	v_mul_lo_u32 v79, s11, v73
	v_mul_lo_u32 v17, s10, v7
	v_add_co_ci_u32_e64 v7, null, 0, v1, vcc_lo
	v_add_co_u32 v11, vcc_lo, v0, 26
	v_add3_u32 v72, v80, v72, v74
	v_mul_lo_u32 v15, s10, v7
	v_add_co_ci_u32_e64 v7, null, 0, v1, vcc_lo
	v_add_co_u32 v8, vcc_lo, v0, 28
	v_mad_u64_u32 v[73:74], null, s10, v73, s[14:15]
	v_mul_lo_u32 v12, s10, v7
	v_add_co_ci_u32_e64 v7, null, 0, v1, vcc_lo
	v_add_co_u32 v0, vcc_lo, v0, 30
	v_add_co_ci_u32_e64 v1, null, 0, v1, vcc_lo
	v_mul_lo_u32 v9, s10, v7
	v_mad_u64_u32 v[65:66], null, s10, v0, s[12:13]
	v_mul_lo_u32 v1, s10, v1
	v_mul_lo_u32 v7, s11, v0
	v_mad_u64_u32 v[95:96], null, s10, v0, s[14:15]
	v_add_co_u32 v0, vcc_lo, v5, 15
	v_mad_u64_u32 v[63:64], null, s10, v8, s[12:13]
	v_mul_lo_u32 v10, s11, v8
	v_add3_u32 v66, v7, v66, v1
	v_add3_u32 v96, v7, v96, v1
	v_add_co_ci_u32_e64 v1, null, 0, v6, vcc_lo
	v_mad_u64_u32 v[93:94], null, s10, v8, s[14:15]
	v_mul_lo_u32 v7, s11, v0
	v_mul_lo_u32 v8, s10, v1
	v_mad_u64_u32 v[0:1], null, s10, v0, 0
	v_mad_u64_u32 v[39:40], null, s10, v70, s[12:13]
	v_mul_lo_u32 v82, s11, v70
	v_add3_u32 v44, v79, v44, v76
	v_mad_u64_u32 v[45:46], null, s10, v75, s[12:13]
	v_add3_u32 v1, v1, v8, v7
	v_mul_lo_u32 v78, s11, v75
	v_mad_u64_u32 v[69:70], null, s10, v70, s[14:15]
	v_add3_u32 v74, v79, v74, v76
	v_lshlrev_b64 v[0:1], 1, v[0:1]
	v_mad_u64_u32 v[75:76], null, s10, v75, s[14:15]
	v_add3_u32 v40, v82, v40, v81
	v_add3_u32 v46, v78, v46, v77
	v_mad_u64_u32 v[47:48], null, s10, v32, s[12:13]
	v_add_co_u32 v7, vcc_lo, s12, v0
	v_mul_lo_u32 v34, s11, v32
	v_mad_u64_u32 v[49:50], null, s10, v31, s[12:13]
	buffer_store_dword v7, off, s[36:39], 0 offset:16 ; 4-byte Folded Spill
	v_add_co_ci_u32_e64 v7, null, s13, v1, vcc_lo
	v_add_co_u32 v0, vcc_lo, s14, v0
	v_mul_lo_u32 v30, s11, v31
	buffer_store_dword v7, off, s[36:39], 0 offset:20 ; 4-byte Folded Spill
	v_mad_u64_u32 v[51:52], null, s10, v26, s[12:13]
	buffer_store_dword v0, off, s[36:39], 0 offset:24 ; 4-byte Folded Spill
	v_add_co_ci_u32_e64 v0, null, s15, v1, vcc_lo
	v_mul_lo_u32 v28, s11, v26
	v_mad_u64_u32 v[53:54], null, s10, v25, s[12:13]
	buffer_store_dword v0, off, s[36:39], 0 offset:28 ; 4-byte Folded Spill
	v_add_co_u32 v0, vcc_lo, v5, 14
	v_add_co_ci_u32_e64 v1, null, 0, v6, vcc_lo
	v_mul_lo_u32 v24, s11, v25
	v_mul_lo_u32 v7, s11, v0
	v_mad_u64_u32 v[55:56], null, s10, v20, s[12:13]
	v_mul_lo_u32 v8, s10, v1
	v_mad_u64_u32 v[0:1], null, s10, v0, 0
	v_mul_lo_u32 v22, s11, v20
	v_mad_u64_u32 v[57:58], null, s10, v19, s[12:13]
	v_mul_lo_u32 v18, s11, v19
	v_mad_u64_u32 v[59:60], null, s10, v14, s[12:13]
	v_add3_u32 v1, v1, v8, v7
	v_mul_lo_u32 v16, s11, v14
	v_mad_u64_u32 v[61:62], null, s10, v11, s[12:13]
	v_mul_lo_u32 v13, s11, v11
	v_lshlrev_b64 v[0:1], 1, v[0:1]
	v_add3_u32 v70, v82, v70, v81
	v_add3_u32 v76, v78, v76, v77
	v_mad_u64_u32 v[77:78], null, s10, v32, s[14:15]
	v_mad_u64_u32 v[79:80], null, s10, v31, s[14:15]
	v_add_co_u32 v7, vcc_lo, s12, v0
	v_mad_u64_u32 v[81:82], null, s10, v26, s[14:15]
	v_mad_u64_u32 v[83:84], null, s10, v25, s[14:15]
	buffer_store_dword v7, off, s[36:39], 0 offset:32 ; 4-byte Folded Spill
	v_add_co_ci_u32_e64 v7, null, s13, v1, vcc_lo
	v_add_co_u32 v0, vcc_lo, s14, v0
	v_mad_u64_u32 v[85:86], null, s10, v20, s[14:15]
	buffer_store_dword v7, off, s[36:39], 0 offset:36 ; 4-byte Folded Spill
	buffer_store_dword v0, off, s[36:39], 0 offset:40 ; 4-byte Folded Spill
	v_add_co_ci_u32_e64 v0, null, s15, v1, vcc_lo
	v_mad_u64_u32 v[87:88], null, s10, v19, s[14:15]
	v_mad_u64_u32 v[89:90], null, s10, v14, s[14:15]
	buffer_store_dword v0, off, s[36:39], 0 offset:44 ; 4-byte Folded Spill
	v_add_co_u32 v0, vcc_lo, v5, 13
	v_add_co_ci_u32_e64 v1, null, 0, v6, vcc_lo
	v_mad_u64_u32 v[91:92], null, s10, v11, s[14:15]
	v_mul_lo_u32 v7, s11, v0
	v_mul_lo_u32 v8, s10, v1
	v_mad_u64_u32 v[0:1], null, s10, v0, 0
	v_add3_u32 v48, v34, v48, v33
	v_add3_u32 v50, v30, v50, v29
	;; [unrolled: 1-line block ×11, first 2 shown]
	v_lshlrev_b64 v[0:1], 1, v[0:1]
	v_add3_u32 v80, v30, v80, v29
	v_add3_u32 v82, v28, v82, v27
	;; [unrolled: 1-line block ×5, first 2 shown]
	v_add_co_u32 v7, vcc_lo, s12, v0
	v_add3_u32 v90, v16, v90, v15
	v_add3_u32 v92, v13, v92, v12
	;; [unrolled: 1-line block ×3, first 2 shown]
	buffer_store_dword v7, off, s[36:39], 0 offset:48 ; 4-byte Folded Spill
	v_add_co_ci_u32_e64 v7, null, s13, v1, vcc_lo
	v_add_co_u32 v0, vcc_lo, s14, v0
	buffer_store_dword v7, off, s[36:39], 0 offset:52 ; 4-byte Folded Spill
	buffer_store_dword v0, off, s[36:39], 0 offset:56 ; 4-byte Folded Spill
	v_add_co_ci_u32_e64 v0, null, s15, v1, vcc_lo
	buffer_store_dword v0, off, s[36:39], 0 offset:60 ; 4-byte Folded Spill
	v_add_co_u32 v0, vcc_lo, v5, 12
	v_add_co_ci_u32_e64 v1, null, 0, v6, vcc_lo
	v_mul_lo_u32 v7, s11, v0
	v_mul_lo_u32 v8, s10, v1
	v_mad_u64_u32 v[0:1], null, s10, v0, 0
	v_add3_u32 v1, v1, v8, v7
	v_lshlrev_b64 v[0:1], 1, v[0:1]
	v_add_co_u32 v7, vcc_lo, s12, v0
	buffer_store_dword v7, off, s[36:39], 0 offset:64 ; 4-byte Folded Spill
	v_add_co_ci_u32_e64 v7, null, s13, v1, vcc_lo
	v_add_co_u32 v0, vcc_lo, s14, v0
	buffer_store_dword v7, off, s[36:39], 0 offset:68 ; 4-byte Folded Spill
	buffer_store_dword v0, off, s[36:39], 0 offset:72 ; 4-byte Folded Spill
	v_add_co_ci_u32_e64 v0, null, s15, v1, vcc_lo
	buffer_store_dword v0, off, s[36:39], 0 offset:76 ; 4-byte Folded Spill
	v_add_co_u32 v0, vcc_lo, v5, 11
	v_add_co_ci_u32_e64 v1, null, 0, v6, vcc_lo
	v_mul_lo_u32 v7, s11, v0
	v_mul_lo_u32 v8, s10, v1
	v_mad_u64_u32 v[0:1], null, s10, v0, 0
	v_add3_u32 v1, v1, v8, v7
	v_lshlrev_b64 v[0:1], 1, v[0:1]
	v_add_co_u32 v7, vcc_lo, s12, v0
	;; [unrolled: 15-line block ×6, first 2 shown]
	buffer_store_dword v7, off, s[36:39], 0 offset:144 ; 4-byte Folded Spill
	v_add_co_ci_u32_e64 v7, null, s13, v1, vcc_lo
	v_add_co_u32 v103, vcc_lo, s14, v0
	v_add_co_ci_u32_e64 v104, null, s15, v1, vcc_lo
	v_add_co_u32 v0, vcc_lo, v5, 6
	v_add_co_ci_u32_e64 v1, null, 0, v6, vcc_lo
	buffer_store_dword v7, off, s[36:39], 0 offset:148 ; 4-byte Folded Spill
	v_mul_lo_u32 v7, s11, v0
	v_mul_lo_u32 v8, s10, v1
	v_mad_u64_u32 v[0:1], null, s10, v0, 0
	v_add3_u32 v1, v1, v8, v7
	v_lshlrev_b64 v[0:1], 1, v[0:1]
	v_add_co_u32 v105, vcc_lo, s12, v0
	v_add_co_ci_u32_e64 v106, null, s13, v1, vcc_lo
	v_add_co_u32 v107, vcc_lo, s14, v0
	v_add_co_ci_u32_e64 v108, null, s15, v1, vcc_lo
	v_add_co_u32 v0, vcc_lo, v5, 5
	v_add_co_ci_u32_e64 v1, null, 0, v6, vcc_lo
	v_mul_lo_u32 v7, s11, v0
	v_mul_lo_u32 v8, s10, v1
	v_mad_u64_u32 v[0:1], null, s10, v0, 0
	v_add3_u32 v1, v1, v8, v7
	v_lshlrev_b64 v[0:1], 1, v[0:1]
	v_add_co_u32 v109, vcc_lo, s12, v0
	v_add_co_ci_u32_e64 v110, null, s13, v1, vcc_lo
	v_add_co_u32 v111, vcc_lo, s14, v0
	v_add_co_ci_u32_e64 v112, null, s15, v1, vcc_lo
	v_add_co_u32 v0, vcc_lo, v5, 4
	v_add_co_ci_u32_e64 v1, null, 0, v6, vcc_lo
	;; [unrolled: 11-line block ×5, first 2 shown]
	v_lshlrev_b64 v[0:1], 1, v[0:1]
	v_add_co_u32 v125, vcc_lo, s12, v0
	v_add_co_ci_u32_e64 v126, null, s13, v1, vcc_lo
	v_add_co_u32 v127, vcc_lo, s14, v0
	v_add_co_ci_u32_e64 v97, null, s15, v1, vcc_lo
.LBB174_85:                             ; =>This Inner Loop Header: Depth=1
	buffer_load_dword v0, off, s[36:39], 0 offset:160 ; 4-byte Folded Reload
	v_cmp_ge_i64_e64 s13, s[20:21], s[8:9]
                                        ; implicit-def: $vgpr98
	s_and_b32 vcc_lo, exec_lo, s13
	s_waitcnt vmcnt(0)
	v_add_co_u32 v0, s12, v0, s20
	v_add_co_ci_u32_e64 v1, null, 0, s21, s12
	s_mov_b32 s12, -1
	s_cbranch_vccz .LBB174_123
; %bb.86:                               ;   in Loop: Header=BB174_85 Depth=1
	s_load_dword s12, s[0:1], 0xc
	s_clause 0x1
	buffer_load_dword v3, off, s[36:39], 0 offset:152
	buffer_load_dword v4, off, s[36:39], 0 offset:156
	v_mov_b32_e32 v99, 0
	s_waitcnt lgkmcnt(0)
	s_and_b32 s12, s12, 0xffff
	s_waitcnt vmcnt(0)
	v_mad_u32_u24 v3, v4, s12, v3
	s_mov_b32 s12, exec_lo
	v_and_b32_e32 v3, 31, v3
	v_cmpx_gt_u32_e32 16, v3
	s_cbranch_execz .LBB174_90
; %bb.87:                               ;   in Loop: Header=BB174_85 Depth=1
	v_add_co_u32 v3, vcc_lo, v0, v3
	v_add_co_ci_u32_e64 v4, null, 0, v1, vcc_lo
	v_mov_b32_e32 v99, 0
	v_add_co_u32 v3, vcc_lo, 0xffffff01, v3
	v_add_co_ci_u32_e64 v4, null, -1, v4, vcc_lo
	s_mov_b32 s13, exec_lo
	v_cmpx_gt_i64_e64 s[8:9], v[3:4]
	s_cbranch_execz .LBB174_89
; %bb.88:                               ;   in Loop: Header=BB174_85 Depth=1
	v_lshlrev_b64 v[3:4], 2, v[3:4]
	v_add_co_u32 v3, vcc_lo, s2, v3
	v_add_co_ci_u32_e64 v4, null, s3, v4, vcc_lo
	global_load_dword v99, v[3:4], off
.LBB174_89:                             ;   in Loop: Header=BB174_85 Depth=1
	s_or_b32 exec_lo, exec_lo, s13
.LBB174_90:                             ;   in Loop: Header=BB174_85 Depth=1
	s_or_b32 exec_lo, exec_lo, s12
	v_add_co_u32 v18, vcc_lo, 0xffffff01, v0
	v_add_co_ci_u32_e64 v19, null, -1, v1, vcc_lo
	v_mov_b32_e32 v17, v2
	v_mov_b32_e32 v3, v2
	;; [unrolled: 1-line block ×15, first 2 shown]
	v_cmp_gt_i64_e32 vcc_lo, s[8:9], v[18:19]
	v_mov_b32_e32 v34, v17
	v_mov_b32_e32 v31, v14
	;; [unrolled: 1-line block ×32, first 2 shown]
	s_and_saveexec_b32 s12, vcc_lo
	s_cbranch_execz .LBB174_92
; %bb.91:                               ;   in Loop: Header=BB174_85 Depth=1
	s_clause 0x3
	buffer_load_dword v3, off, s[36:39], 0
	buffer_load_dword v4, off, s[36:39], 0 offset:4
	buffer_load_dword v5, off, s[36:39], 0 offset:8
	;; [unrolled: 1-line block ×3, first 2 shown]
	v_mov_b32_e32 v7, v2
	v_mov_b32_e32 v8, v2
	;; [unrolled: 1-line block ×27, first 2 shown]
	s_waitcnt vmcnt(3)
	v_add_co_u32 v3, vcc_lo, v3, v35
	s_waitcnt vmcnt(2)
	v_add_co_ci_u32_e64 v4, null, v4, v36, vcc_lo
	s_waitcnt vmcnt(1)
	v_add_co_u32 v5, vcc_lo, v5, v35
	s_waitcnt vmcnt(0)
	v_add_co_ci_u32_e64 v6, null, v6, v36, vcc_lo
	global_load_ushort v3, v[3:4], off
	global_load_ushort v19, v[5:6], off
	v_mov_b32_e32 v4, v2
	v_mov_b32_e32 v5, v2
	;; [unrolled: 1-line block ×3, first 2 shown]
	s_waitcnt vmcnt(1)
	v_cvt_f32_f16_e32 v3, v3
	s_waitcnt vmcnt(0)
	v_cvt_f32_f16_e32 v19, v19
.LBB174_92:                             ;   in Loop: Header=BB174_85 Depth=1
	s_or_b32 exec_lo, exec_lo, s12
	v_add_co_u32 v101, vcc_lo, 0xffffff02, v0
	v_add_co_ci_u32_e64 v102, null, -1, v1, vcc_lo
	s_mov_b32 s12, exec_lo
	v_cmpx_gt_i64_e64 s[8:9], v[101:102]
	s_cbranch_execz .LBB174_94
; %bb.93:                               ;   in Loop: Header=BB174_85 Depth=1
	v_add_co_u32 v101, vcc_lo, v125, v35
	v_add_co_ci_u32_e64 v102, null, v126, v36, vcc_lo
	global_load_ushort v4, v[101:102], off
	v_add_co_u32 v101, vcc_lo, v127, v35
	v_add_co_ci_u32_e64 v102, null, v97, v36, vcc_lo
	global_load_ushort v20, v[101:102], off
	s_waitcnt vmcnt(1)
	v_cvt_f32_f16_e32 v4, v4
	s_waitcnt vmcnt(0)
	v_cvt_f32_f16_e32 v20, v20
.LBB174_94:                             ;   in Loop: Header=BB174_85 Depth=1
	s_or_b32 exec_lo, exec_lo, s12
	v_add_co_u32 v101, vcc_lo, 0xffffff03, v0
	v_add_co_ci_u32_e64 v102, null, -1, v1, vcc_lo
	s_mov_b32 s12, exec_lo
	v_cmpx_gt_i64_e64 s[8:9], v[101:102]
	s_cbranch_execz .LBB174_96
; %bb.95:                               ;   in Loop: Header=BB174_85 Depth=1
	v_add_co_u32 v101, vcc_lo, v121, v35
	v_add_co_ci_u32_e64 v102, null, v122, v36, vcc_lo
	global_load_ushort v5, v[101:102], off
	v_add_co_u32 v101, vcc_lo, v123, v35
	v_add_co_ci_u32_e64 v102, null, v124, v36, vcc_lo
	global_load_ushort v21, v[101:102], off
	s_waitcnt vmcnt(1)
	v_cvt_f32_f16_e32 v5, v5
	s_waitcnt vmcnt(0)
	v_cvt_f32_f16_e32 v21, v21
.LBB174_96:                             ;   in Loop: Header=BB174_85 Depth=1
	;; [unrolled: 18-line block ×3, first 2 shown]
	s_or_b32 exec_lo, exec_lo, s12
	v_add_co_u32 v101, vcc_lo, 0xffffff05, v0
	v_add_co_ci_u32_e64 v102, null, -1, v1, vcc_lo
	s_mov_b32 s12, exec_lo
	v_cmpx_gt_i64_e64 s[8:9], v[101:102]
	s_cbranch_execz .LBB174_100
; %bb.99:                               ;   in Loop: Header=BB174_85 Depth=1
	v_add_co_u32 v101, vcc_lo, v113, v35
	v_add_co_ci_u32_e64 v102, null, v114, v36, vcc_lo
	global_load_ushort v7, v[101:102], off
	v_add_co_u32 v101, vcc_lo, v115, v35
	v_add_co_ci_u32_e64 v102, null, v116, v36, vcc_lo
	global_load_ushort v23, v[101:102], off
	s_waitcnt vmcnt(1)
	v_cvt_f32_f16_e32 v7, v7
	s_waitcnt vmcnt(0)
	v_cvt_f32_f16_e32 v23, v23
.LBB174_100:                            ;   in Loop: Header=BB174_85 Depth=1
	s_or_b32 exec_lo, exec_lo, s12
	v_add_co_u32 v101, vcc_lo, 0xffffff06, v0
	v_add_co_ci_u32_e64 v102, null, -1, v1, vcc_lo
	s_mov_b32 s12, exec_lo
	v_cmpx_gt_i64_e64 s[8:9], v[101:102]
	s_cbranch_execz .LBB174_102
; %bb.101:                              ;   in Loop: Header=BB174_85 Depth=1
	v_add_co_u32 v101, vcc_lo, v109, v35
	v_add_co_ci_u32_e64 v102, null, v110, v36, vcc_lo
	global_load_ushort v8, v[101:102], off
	v_add_co_u32 v101, vcc_lo, v111, v35
	v_add_co_ci_u32_e64 v102, null, v112, v36, vcc_lo
	global_load_ushort v24, v[101:102], off
	s_waitcnt vmcnt(1)
	v_cvt_f32_f16_e32 v8, v8
	s_waitcnt vmcnt(0)
	v_cvt_f32_f16_e32 v24, v24
.LBB174_102:                            ;   in Loop: Header=BB174_85 Depth=1
	s_or_b32 exec_lo, exec_lo, s12
	v_add_co_u32 v101, vcc_lo, 0xffffff07, v0
	v_add_co_ci_u32_e64 v102, null, -1, v1, vcc_lo
	s_mov_b32 s12, exec_lo
	v_cmpx_gt_i64_e64 s[8:9], v[101:102]
	s_cbranch_execz .LBB174_104
; %bb.103:                              ;   in Loop: Header=BB174_85 Depth=1
	v_add_co_u32 v101, vcc_lo, v105, v35
	v_add_co_ci_u32_e64 v102, null, v106, v36, vcc_lo
	global_load_ushort v9, v[101:102], off
	v_add_co_u32 v101, vcc_lo, v107, v35
	v_add_co_ci_u32_e64 v102, null, v108, v36, vcc_lo
	global_load_ushort v25, v[101:102], off
	s_waitcnt vmcnt(1)
	v_cvt_f32_f16_e32 v9, v9
	s_waitcnt vmcnt(0)
	v_cvt_f32_f16_e32 v25, v25
.LBB174_104:                            ;   in Loop: Header=BB174_85 Depth=1
	s_or_b32 exec_lo, exec_lo, s12
	v_add_co_u32 v101, vcc_lo, 0xffffff08, v0
	v_add_co_ci_u32_e64 v102, null, -1, v1, vcc_lo
	s_mov_b32 s12, exec_lo
	v_cmpx_gt_i64_e64 s[8:9], v[101:102]
	s_cbranch_execz .LBB174_106
; %bb.105:                              ;   in Loop: Header=BB174_85 Depth=1
	buffer_load_dword v10, off, s[36:39], 0 offset:144 ; 4-byte Folded Reload
	s_waitcnt vmcnt(0)
	v_add_co_u32 v101, vcc_lo, v10, v35
	buffer_load_dword v10, off, s[36:39], 0 offset:148 ; 4-byte Folded Reload
	s_waitcnt vmcnt(0)
	v_add_co_ci_u32_e64 v102, null, v10, v36, vcc_lo
	global_load_ushort v10, v[101:102], off
	v_add_co_u32 v101, vcc_lo, v103, v35
	v_add_co_ci_u32_e64 v102, null, v104, v36, vcc_lo
	global_load_ushort v26, v[101:102], off
	s_waitcnt vmcnt(1)
	v_cvt_f32_f16_e32 v10, v10
	s_waitcnt vmcnt(0)
	v_cvt_f32_f16_e32 v26, v26
.LBB174_106:                            ;   in Loop: Header=BB174_85 Depth=1
	s_or_b32 exec_lo, exec_lo, s12
	v_add_co_u32 v101, vcc_lo, 0xffffff09, v0
	v_add_co_ci_u32_e64 v102, null, -1, v1, vcc_lo
	s_mov_b32 s12, exec_lo
	v_cmpx_gt_i64_e64 s[8:9], v[101:102]
	s_cbranch_execz .LBB174_108
; %bb.107:                              ;   in Loop: Header=BB174_85 Depth=1
	s_clause 0x1
	buffer_load_dword v11, off, s[36:39], 0 offset:128
	buffer_load_dword v27, off, s[36:39], 0 offset:136
	s_waitcnt vmcnt(1)
	v_add_co_u32 v101, vcc_lo, v11, v35
	buffer_load_dword v11, off, s[36:39], 0 offset:132 ; 4-byte Folded Reload
	s_waitcnt vmcnt(0)
	v_add_co_ci_u32_e64 v102, null, v11, v36, vcc_lo
	global_load_ushort v11, v[101:102], off
	v_add_co_u32 v101, vcc_lo, v27, v35
	buffer_load_dword v27, off, s[36:39], 0 offset:140 ; 4-byte Folded Reload
	s_waitcnt vmcnt(1)
	v_cvt_f32_f16_e32 v11, v11
	s_waitcnt vmcnt(0)
	v_add_co_ci_u32_e64 v102, null, v27, v36, vcc_lo
	global_load_ushort v27, v[101:102], off
	s_waitcnt vmcnt(0)
	v_cvt_f32_f16_e32 v27, v27
.LBB174_108:                            ;   in Loop: Header=BB174_85 Depth=1
	s_or_b32 exec_lo, exec_lo, s12
	v_add_co_u32 v101, vcc_lo, 0xffffff0a, v0
	v_add_co_ci_u32_e64 v102, null, -1, v1, vcc_lo
	s_mov_b32 s12, exec_lo
	v_cmpx_gt_i64_e64 s[8:9], v[101:102]
	s_cbranch_execz .LBB174_110
; %bb.109:                              ;   in Loop: Header=BB174_85 Depth=1
	s_clause 0x1
	buffer_load_dword v12, off, s[36:39], 0 offset:112
	buffer_load_dword v28, off, s[36:39], 0 offset:120
	s_waitcnt vmcnt(1)
	v_add_co_u32 v101, vcc_lo, v12, v35
	buffer_load_dword v12, off, s[36:39], 0 offset:116 ; 4-byte Folded Reload
	s_waitcnt vmcnt(0)
	v_add_co_ci_u32_e64 v102, null, v12, v36, vcc_lo
	global_load_ushort v12, v[101:102], off
	v_add_co_u32 v101, vcc_lo, v28, v35
	buffer_load_dword v28, off, s[36:39], 0 offset:124 ; 4-byte Folded Reload
	s_waitcnt vmcnt(1)
	v_cvt_f32_f16_e32 v12, v12
	s_waitcnt vmcnt(0)
	v_add_co_ci_u32_e64 v102, null, v28, v36, vcc_lo
	global_load_ushort v28, v[101:102], off
	s_waitcnt vmcnt(0)
	v_cvt_f32_f16_e32 v28, v28
.LBB174_110:                            ;   in Loop: Header=BB174_85 Depth=1
	;; [unrolled: 26-line block ×8, first 2 shown]
	s_or_b32 exec_lo, exec_lo, s12
	v_mul_f32_e32 v3, v19, v3
	s_waitcnt vmcnt(0)
	ds_bpermute_b32 v19, v2, v99
	v_mul_f32_e32 v4, v20, v4
	ds_bpermute_b32 v20, v2, v99 offset:4
	v_mul_f32_e32 v5, v21, v5
	ds_bpermute_b32 v21, v2, v99 offset:8
	;; [unrolled: 2-line block ×4, first 2 shown]
	v_mul_f32_e32 v8, v24, v8
	v_mul_f32_e32 v9, v25, v9
	;; [unrolled: 1-line block ×11, first 2 shown]
	s_waitcnt lgkmcnt(4)
	v_fma_f32 v98, v3, v19, v100
	ds_bpermute_b32 v3, v2, v99 offset:20
	s_mov_b32 s12, 0
	s_waitcnt lgkmcnt(4)
	v_fmac_f32_e32 v98, v4, v20
	ds_bpermute_b32 v4, v2, v99 offset:24
	s_waitcnt lgkmcnt(4)
	v_fmac_f32_e32 v98, v5, v21
	ds_bpermute_b32 v5, v2, v99 offset:28
	;; [unrolled: 3-line block ×8, first 2 shown]
	s_waitcnt lgkmcnt(4)
	v_fmac_f32_e32 v98, v12, v7
	s_waitcnt lgkmcnt(3)
	v_fmac_f32_e32 v98, v13, v3
	ds_bpermute_b32 v3, v2, v99 offset:56
	s_waitcnt lgkmcnt(3)
	v_fmac_f32_e32 v98, v14, v4
	ds_bpermute_b32 v4, v2, v99 offset:60
	s_waitcnt lgkmcnt(3)
	v_fmac_f32_e32 v98, v15, v5
	s_waitcnt lgkmcnt(2)
	v_fmac_f32_e32 v98, v16, v6
	;; [unrolled: 2-line block ×4, first 2 shown]
.LBB174_123:                            ;   in Loop: Header=BB174_85 Depth=1
	s_and_b32 vcc_lo, exec_lo, s12
	s_cbranch_vccz .LBB174_129
; %bb.124:                              ;   in Loop: Header=BB174_85 Depth=1
	s_load_dword s12, s[0:1], 0x0
	s_waitcnt lgkmcnt(0)
	s_cmp_lt_u32 s6, s12
	s_cselect_b32 s12, 12, 18
	s_add_u32 s12, s0, s12
	s_addc_u32 s13, s1, 0
	global_load_ushort v3, v2, s[12:13]
	s_clause 0x1
	buffer_load_dword v4, off, s[36:39], 0 offset:152
	buffer_load_dword v5, off, s[36:39], 0 offset:156
	s_mov_b32 s12, exec_lo
	s_waitcnt vmcnt(0)
	v_mad_u32_u24 v3, v5, v3, v4
	v_mov_b32_e32 v5, 0
	v_and_b32_e32 v3, 31, v3
	v_cmpx_gt_u32_e32 16, v3
	s_cbranch_execz .LBB174_128
; %bb.125:                              ;   in Loop: Header=BB174_85 Depth=1
	v_add_co_u32 v0, vcc_lo, v0, v3
	v_add_co_ci_u32_e64 v1, null, 0, v1, vcc_lo
	v_mov_b32_e32 v5, 0
	v_add_co_u32 v3, vcc_lo, 0xffffff01, v0
	v_add_co_ci_u32_e64 v4, null, -1, v1, vcc_lo
	s_mov_b32 s13, exec_lo
	v_cmpx_gt_i64_e64 s[8:9], v[3:4]
	s_cbranch_execz .LBB174_127
; %bb.126:                              ;   in Loop: Header=BB174_85 Depth=1
	v_lshlrev_b64 v[0:1], 2, v[3:4]
	v_add_co_u32 v0, vcc_lo, s2, v0
	v_add_co_ci_u32_e64 v1, null, s3, v1, vcc_lo
	global_load_dword v5, v[0:1], off
.LBB174_127:                            ;   in Loop: Header=BB174_85 Depth=1
	s_or_b32 exec_lo, exec_lo, s13
.LBB174_128:                            ;   in Loop: Header=BB174_85 Depth=1
	s_or_b32 exec_lo, exec_lo, s12
	s_clause 0x1
	buffer_load_dword v0, off, s[36:39], 0
	buffer_load_dword v1, off, s[36:39], 0 offset:4
	s_waitcnt vmcnt(1)
	v_add_co_u32 v0, vcc_lo, v0, v35
	s_waitcnt vmcnt(0)
	v_add_co_ci_u32_e64 v1, null, v1, v36, vcc_lo
	global_load_ushort v3, v[0:1], off
	s_clause 0x1
	buffer_load_dword v0, off, s[36:39], 0 offset:8
	buffer_load_dword v1, off, s[36:39], 0 offset:12
	s_waitcnt vmcnt(1)
	v_add_co_u32 v0, vcc_lo, v0, v35
	s_waitcnt vmcnt(0)
	v_add_co_ci_u32_e64 v1, null, v1, v36, vcc_lo
	global_load_ushort v1, v[0:1], off
	v_cvt_f32_f16_e32 v0, v3
	s_waitcnt vmcnt(0)
	v_cvt_f32_f16_e32 v1, v1
	v_mul_f32_e32 v0, v0, v1
	ds_bpermute_b32 v1, v2, v5
	s_waitcnt lgkmcnt(0)
	v_fmac_f32_e32 v100, v0, v1
	v_add_co_u32 v0, vcc_lo, v37, v35
	v_add_co_ci_u32_e64 v1, null, v38, v36, vcc_lo
	global_load_ushort v3, v[0:1], off
	v_add_co_u32 v0, vcc_lo, v67, v35
	v_add_co_ci_u32_e64 v1, null, v68, v36, vcc_lo
	global_load_ushort v0, v[0:1], off
	s_waitcnt vmcnt(1)
	v_cvt_f32_f16_e32 v1, v3
	s_waitcnt vmcnt(0)
	v_cvt_f32_f16_e32 v0, v0
	v_mul_f32_e32 v0, v1, v0
	ds_bpermute_b32 v1, v2, v5 offset:4
	s_waitcnt lgkmcnt(0)
	v_fmac_f32_e32 v100, v0, v1
	v_add_co_u32 v0, vcc_lo, v39, v35
	v_add_co_ci_u32_e64 v1, null, v40, v36, vcc_lo
	global_load_ushort v3, v[0:1], off
	v_add_co_u32 v0, vcc_lo, v69, v35
	v_add_co_ci_u32_e64 v1, null, v70, v36, vcc_lo
	global_load_ushort v0, v[0:1], off
	s_waitcnt vmcnt(1)
	v_cvt_f32_f16_e32 v1, v3
	s_waitcnt vmcnt(0)
	v_cvt_f32_f16_e32 v0, v0
	v_mul_f32_e32 v0, v1, v0
	ds_bpermute_b32 v1, v2, v5 offset:8
	;; [unrolled: 14-line block ×15, first 2 shown]
	s_waitcnt lgkmcnt(0)
	v_fmac_f32_e32 v100, v0, v1
	v_mov_b32_e32 v98, v100
.LBB174_129:                            ;   in Loop: Header=BB174_85 Depth=1
	buffer_load_dword v0, off, s[36:39], 0  ; 4-byte Folded Reload
	s_add_u32 s16, s16, s7
	s_addc_u32 s17, s17, 0
	s_add_u32 s20, s20, s7
	v_cmp_ge_i64_e64 s12, s[16:17], s[8:9]
	s_addc_u32 s21, s21, 0
	s_waitcnt vmcnt(0)
	v_add_co_u32 v0, vcc_lo, v0, s18
	buffer_store_dword v0, off, s[36:39], 0 ; 4-byte Folded Spill
	buffer_load_dword v0, off, s[36:39], 0 offset:4 ; 4-byte Folded Reload
	s_waitcnt vmcnt(0)
	v_add_co_ci_u32_e64 v0, null, s19, v0, vcc_lo
	buffer_store_dword v0, off, s[36:39], 0 offset:4 ; 4-byte Folded Spill
	buffer_load_dword v0, off, s[36:39], 0 offset:8 ; 4-byte Folded Reload
	s_waitcnt vmcnt(0)
	v_add_co_u32 v0, vcc_lo, v0, s18
	buffer_store_dword v0, off, s[36:39], 0 offset:8 ; 4-byte Folded Spill
	buffer_load_dword v0, off, s[36:39], 0 offset:12 ; 4-byte Folded Reload
	s_waitcnt vmcnt(0)
	v_add_co_ci_u32_e64 v0, null, s19, v0, vcc_lo
	v_add_co_u32 v37, vcc_lo, v37, s18
	v_add_co_ci_u32_e64 v38, null, s19, v38, vcc_lo
	buffer_store_dword v0, off, s[36:39], 0 offset:12 ; 4-byte Folded Spill
	buffer_load_dword v0, off, s[36:39], 0 offset:16 ; 4-byte Folded Reload
	v_add_co_u32 v39, vcc_lo, v39, s18
	v_add_co_ci_u32_e64 v40, null, s19, v40, vcc_lo
	v_add_co_u32 v41, vcc_lo, v41, s18
	v_add_co_ci_u32_e64 v42, null, s19, v42, vcc_lo
	v_add_co_u32 v43, vcc_lo, v43, s18
	v_add_co_ci_u32_e64 v44, null, s19, v44, vcc_lo
	v_add_co_u32 v45, vcc_lo, v45, s18
	v_add_co_ci_u32_e64 v46, null, s19, v46, vcc_lo
	v_add_co_u32 v47, vcc_lo, v47, s18
	v_add_co_ci_u32_e64 v48, null, s19, v48, vcc_lo
	v_add_co_u32 v49, vcc_lo, v49, s18
	v_add_co_ci_u32_e64 v50, null, s19, v50, vcc_lo
	v_add_co_u32 v51, vcc_lo, v51, s18
	v_add_co_ci_u32_e64 v52, null, s19, v52, vcc_lo
	v_add_co_u32 v53, vcc_lo, v53, s18
	v_add_co_ci_u32_e64 v54, null, s19, v54, vcc_lo
	v_add_co_u32 v55, vcc_lo, v55, s18
	v_add_co_ci_u32_e64 v56, null, s19, v56, vcc_lo
	v_add_co_u32 v57, vcc_lo, v57, s18
	v_add_co_ci_u32_e64 v58, null, s19, v58, vcc_lo
	v_add_co_u32 v59, vcc_lo, v59, s18
	v_add_co_ci_u32_e64 v60, null, s19, v60, vcc_lo
	v_add_co_u32 v61, vcc_lo, v61, s18
	v_add_co_ci_u32_e64 v62, null, s19, v62, vcc_lo
	v_add_co_u32 v63, vcc_lo, v63, s18
	v_add_co_ci_u32_e64 v64, null, s19, v64, vcc_lo
	v_add_co_u32 v65, vcc_lo, v65, s18
	v_add_co_ci_u32_e64 v66, null, s19, v66, vcc_lo
	v_add_co_u32 v67, vcc_lo, v67, s18
	v_add_co_ci_u32_e64 v68, null, s19, v68, vcc_lo
	v_add_co_u32 v69, vcc_lo, v69, s18
	v_add_co_ci_u32_e64 v70, null, s19, v70, vcc_lo
	v_add_co_u32 v71, vcc_lo, v71, s18
	v_add_co_ci_u32_e64 v72, null, s19, v72, vcc_lo
	v_add_co_u32 v73, vcc_lo, v73, s18
	v_add_co_ci_u32_e64 v74, null, s19, v74, vcc_lo
	v_add_co_u32 v75, vcc_lo, v75, s18
	v_add_co_ci_u32_e64 v76, null, s19, v76, vcc_lo
	v_add_co_u32 v77, vcc_lo, v77, s18
	v_add_co_ci_u32_e64 v78, null, s19, v78, vcc_lo
	v_add_co_u32 v79, vcc_lo, v79, s18
	v_add_co_ci_u32_e64 v80, null, s19, v80, vcc_lo
	v_add_co_u32 v81, vcc_lo, v81, s18
	v_add_co_ci_u32_e64 v82, null, s19, v82, vcc_lo
	v_add_co_u32 v83, vcc_lo, v83, s18
	v_add_co_ci_u32_e64 v84, null, s19, v84, vcc_lo
	v_add_co_u32 v85, vcc_lo, v85, s18
	v_add_co_ci_u32_e64 v86, null, s19, v86, vcc_lo
	v_add_co_u32 v87, vcc_lo, v87, s18
	v_add_co_ci_u32_e64 v88, null, s19, v88, vcc_lo
	v_add_co_u32 v89, vcc_lo, v89, s18
	v_add_co_ci_u32_e64 v90, null, s19, v90, vcc_lo
	v_add_co_u32 v91, vcc_lo, v91, s18
	v_add_co_ci_u32_e64 v92, null, s19, v92, vcc_lo
	v_add_co_u32 v93, vcc_lo, v93, s18
	v_add_co_ci_u32_e64 v94, null, s19, v94, vcc_lo
	v_add_co_u32 v95, vcc_lo, v95, s18
	v_add_co_ci_u32_e64 v96, null, s19, v96, vcc_lo
	s_waitcnt vmcnt(0)
	v_add_co_u32 v0, vcc_lo, v0, s18
	buffer_store_dword v0, off, s[36:39], 0 offset:16 ; 4-byte Folded Spill
	buffer_load_dword v0, off, s[36:39], 0 offset:20 ; 4-byte Folded Reload
	s_waitcnt vmcnt(0)
	v_add_co_ci_u32_e64 v0, null, s19, v0, vcc_lo
	buffer_store_dword v0, off, s[36:39], 0 offset:20 ; 4-byte Folded Spill
	buffer_load_dword v0, off, s[36:39], 0 offset:24 ; 4-byte Folded Reload
	s_waitcnt vmcnt(0)
	v_add_co_u32 v0, vcc_lo, v0, s18
	buffer_store_dword v0, off, s[36:39], 0 offset:24 ; 4-byte Folded Spill
	buffer_load_dword v0, off, s[36:39], 0 offset:28 ; 4-byte Folded Reload
	s_waitcnt vmcnt(0)
	v_add_co_ci_u32_e64 v0, null, s19, v0, vcc_lo
	buffer_store_dword v0, off, s[36:39], 0 offset:28 ; 4-byte Folded Spill
	buffer_load_dword v0, off, s[36:39], 0 offset:32 ; 4-byte Folded Reload
	;; [unrolled: 8-line block ×16, first 2 shown]
	s_waitcnt vmcnt(0)
	v_add_co_u32 v0, vcc_lo, v0, s18
	buffer_store_dword v0, off, s[36:39], 0 offset:144 ; 4-byte Folded Spill
	buffer_load_dword v0, off, s[36:39], 0 offset:148 ; 4-byte Folded Reload
	s_waitcnt vmcnt(0)
	v_add_co_ci_u32_e64 v0, null, s19, v0, vcc_lo
	v_add_co_u32 v103, vcc_lo, v103, s18
	v_add_co_ci_u32_e64 v104, null, s19, v104, vcc_lo
	v_add_co_u32 v105, vcc_lo, v105, s18
	;; [unrolled: 2-line block ×13, first 2 shown]
	v_add_co_ci_u32_e64 v97, null, s19, v97, vcc_lo
	s_and_b32 vcc_lo, exec_lo, s12
	buffer_store_dword v0, off, s[36:39], 0 offset:148 ; 4-byte Folded Spill
	s_cbranch_vccnz .LBB174_131
; %bb.130:                              ;   in Loop: Header=BB174_85 Depth=1
	v_mov_b32_e32 v100, v98
	s_branch .LBB174_85
.LBB174_131:
	s_clause 0x1
	buffer_load_dword v0, off, s[36:39], 0 offset:152
	buffer_load_dword v1, off, s[36:39], 0 offset:156
.LBB174_132:
	s_waitcnt vmcnt(0)
	v_mad_u32_u24 v2, 0x41, v1, v0
	s_mov_b32 s0, exec_lo
	v_lshl_add_u32 v4, v2, 2, 0
	v_sub_nc_u32_e32 v3, v2, v1
	v_mov_b32_e32 v2, 0
	ds_write_b32 v4, v98
	ds_write_b32 v4, v2 offset:4160
	s_waitcnt lgkmcnt(0)
	s_waitcnt_vscnt null, 0x0
	s_barrier
	buffer_gl0_inv
	v_cmpx_gt_u32_e32 0x800, v3
	s_cbranch_execz .LBB174_142
; %bb.133:
	s_load_dwordx2 s[2:3], s[4:5], 0x30
	v_and_b32_e32 v1, 31, v0
	v_lshrrev_b32_e32 v11, 5, v3
	v_cmp_gt_u32_e32 vcc_lo, 16, v1
	v_mul_u32_u24_e32 v4, 0x41, v1
                                        ; implicit-def: $vgpr1
	s_and_saveexec_b32 s0, vcc_lo
	s_cbranch_execz .LBB174_135
; %bb.134:
	v_lshlrev_b32_e32 v1, 2, v11
	v_lshlrev_b32_e32 v2, 2, v4
	v_add3_u32 v1, 0, v1, v2
	ds_read_b32 v1, v1
.LBB174_135:
	s_or_b32 exec_lo, exec_lo, s0
	v_mbcnt_lo_u32_b32 v2, -1, 0
	s_mov_b32 s7, 0
	s_lshl_b64 s[4:5], s[6:7], 6
	s_waitcnt lgkmcnt(0)
	s_cmp_eq_u64 s[2:3], 0
	v_xor_b32_e32 v5, 8, v2
	v_xor_b32_e32 v6, 4, v2
	v_xor_b32_e32 v9, 1, v2
	s_cselect_b32 s6, -1, 0
	v_cmp_gt_i32_e64 s0, 32, v5
	v_cndmask_b32_e64 v5, v2, v5, s0
	v_cmp_gt_i32_e64 s0, 32, v6
	v_lshlrev_b32_e32 v5, 2, v5
	v_cndmask_b32_e64 v6, v2, v6, s0
	ds_bpermute_b32 v7, v5, v1
	v_lshlrev_b32_e32 v6, 2, v6
	s_waitcnt lgkmcnt(0)
	v_add_f32_e32 v1, v1, v7
	v_xor_b32_e32 v7, 2, v2
	ds_bpermute_b32 v8, v6, v1
	v_cmp_gt_i32_e64 s0, 32, v7
	v_cndmask_b32_e64 v7, v2, v7, s0
	v_cmp_gt_i32_e64 s0, 32, v9
	v_lshlrev_b32_e32 v7, 2, v7
	v_cndmask_b32_e64 v2, v2, v9, s0
	v_cmp_ne_u32_e64 s0, 0, v0
	s_waitcnt lgkmcnt(0)
	v_add_f32_e32 v1, v1, v8
	ds_bpermute_b32 v8, v7, v1
	s_waitcnt lgkmcnt(0)
	v_add_f32_e32 v9, v1, v8
	v_lshlrev_b32_e32 v8, 2, v2
	v_or_b32_e32 v1, s4, v11
	v_mov_b32_e32 v2, s5
	ds_bpermute_b32 v10, v8, v9
	v_cmp_le_i64_e64 s1, s[10:11], v[1:2]
	s_or_b32 s1, s0, s1
	s_nor_b32 s1, s6, s1
	s_waitcnt lgkmcnt(0)
	v_add_f32_e32 v9, v9, v10
	s_and_saveexec_b32 s7, s1
	s_cbranch_execz .LBB174_137
; %bb.136:
	v_lshlrev_b64 v[1:2], 1, v[1:2]
	v_cvt_f16_f32_e32 v10, v9
	v_add_co_u32 v1, s1, s2, v1
	v_add_co_ci_u32_e64 v2, null, s3, v2, s1
	global_store_short v[1:2], v10, off
.LBB174_137:
	s_or_b32 exec_lo, exec_lo, s7
	v_cmp_gt_u32_e64 s1, 0x400, v3
	s_and_b32 exec_lo, exec_lo, s1
	s_cbranch_execz .LBB174_142
; %bb.138:
	s_and_saveexec_b32 s1, vcc_lo
	s_cbranch_execz .LBB174_140
; %bb.139:
	v_lshlrev_b32_e32 v1, 2, v11
	v_lshlrev_b32_e32 v2, 2, v4
	v_add3_u32 v1, 0, v1, v2
	ds_read_b32 v9, v1 offset:128
.LBB174_140:
	s_or_b32 exec_lo, exec_lo, s1
	s_waitcnt lgkmcnt(0)
	ds_bpermute_b32 v1, v5, v9
	v_add_nc_u32_e32 v3, 32, v11
	v_mov_b32_e32 v4, s5
	v_or_b32_e32 v3, s4, v3
	v_cmp_le_i64_e32 vcc_lo, s[10:11], v[3:4]
	s_or_b32 s0, s0, vcc_lo
	s_nor_b32 s0, s6, s0
	s_waitcnt lgkmcnt(0)
	v_add_f32_e32 v1, v9, v1
	ds_bpermute_b32 v2, v6, v1
	s_waitcnt lgkmcnt(0)
	v_add_f32_e32 v1, v1, v2
	ds_bpermute_b32 v2, v7, v1
	;; [unrolled: 3-line block ×3, first 2 shown]
	s_and_saveexec_b32 s1, s0
	s_xor_b32 s1, exec_lo, s1
	s_cbranch_execz .LBB174_142
; %bb.141:
	v_add_co_u32 v3, s0, s4, v11
	v_add_co_ci_u32_e64 v4, null, s5, 0, s0
	s_waitcnt lgkmcnt(0)
	v_add_f32_e32 v2, v1, v2
	v_lshlrev_b64 v[3:4], 1, v[3:4]
	v_cvt_f16_f32_e32 v2, v2
	v_add_co_u32 v0, vcc_lo, s2, v3
	v_add_co_ci_u32_e64 v1, null, s3, v4, vcc_lo
	global_store_short v[0:1], v2, off offset:64
.LBB174_142:
	s_endpgm
	.section	.rodata,"a",@progbits
	.p2align	6, 0x0
	.amdhsa_kernel _ZN2at6native12_GLOBAL__N_135GammaBetaBackwardCUDAKernelTemplateIN3c104HalfEfLj64ELj16ELj256ELb0ELb0ELb1EEEvllPKT_S7_PKT0_SA_PS5_SB_
		.amdhsa_group_segment_fixed_size 0
		.amdhsa_private_segment_fixed_size 168
		.amdhsa_kernarg_size 320
		.amdhsa_user_sgpr_count 6
		.amdhsa_user_sgpr_private_segment_buffer 1
		.amdhsa_user_sgpr_dispatch_ptr 0
		.amdhsa_user_sgpr_queue_ptr 0
		.amdhsa_user_sgpr_kernarg_segment_ptr 1
		.amdhsa_user_sgpr_dispatch_id 0
		.amdhsa_user_sgpr_flat_scratch_init 0
		.amdhsa_user_sgpr_private_segment_size 0
		.amdhsa_wavefront_size32 1
		.amdhsa_uses_dynamic_stack 0
		.amdhsa_system_sgpr_private_segment_wavefront_offset 1
		.amdhsa_system_sgpr_workgroup_id_x 1
		.amdhsa_system_sgpr_workgroup_id_y 1
		.amdhsa_system_sgpr_workgroup_id_z 0
		.amdhsa_system_sgpr_workgroup_info 0
		.amdhsa_system_vgpr_workitem_id 1
		.amdhsa_next_free_vgpr 128
		.amdhsa_next_free_sgpr 40
		.amdhsa_reserve_vcc 1
		.amdhsa_reserve_flat_scratch 0
		.amdhsa_float_round_mode_32 0
		.amdhsa_float_round_mode_16_64 0
		.amdhsa_float_denorm_mode_32 3
		.amdhsa_float_denorm_mode_16_64 3
		.amdhsa_dx10_clamp 1
		.amdhsa_ieee_mode 1
		.amdhsa_fp16_overflow 0
		.amdhsa_workgroup_processor_mode 1
		.amdhsa_memory_ordered 1
		.amdhsa_forward_progress 1
		.amdhsa_shared_vgpr_count 0
		.amdhsa_exception_fp_ieee_invalid_op 0
		.amdhsa_exception_fp_denorm_src 0
		.amdhsa_exception_fp_ieee_div_zero 0
		.amdhsa_exception_fp_ieee_overflow 0
		.amdhsa_exception_fp_ieee_underflow 0
		.amdhsa_exception_fp_ieee_inexact 0
		.amdhsa_exception_int_div_zero 0
	.end_amdhsa_kernel
	.section	.text._ZN2at6native12_GLOBAL__N_135GammaBetaBackwardCUDAKernelTemplateIN3c104HalfEfLj64ELj16ELj256ELb0ELb0ELb1EEEvllPKT_S7_PKT0_SA_PS5_SB_,"axG",@progbits,_ZN2at6native12_GLOBAL__N_135GammaBetaBackwardCUDAKernelTemplateIN3c104HalfEfLj64ELj16ELj256ELb0ELb0ELb1EEEvllPKT_S7_PKT0_SA_PS5_SB_,comdat
.Lfunc_end174:
	.size	_ZN2at6native12_GLOBAL__N_135GammaBetaBackwardCUDAKernelTemplateIN3c104HalfEfLj64ELj16ELj256ELb0ELb0ELb1EEEvllPKT_S7_PKT0_SA_PS5_SB_, .Lfunc_end174-_ZN2at6native12_GLOBAL__N_135GammaBetaBackwardCUDAKernelTemplateIN3c104HalfEfLj64ELj16ELj256ELb0ELb0ELb1EEEvllPKT_S7_PKT0_SA_PS5_SB_
                                        ; -- End function
	.set _ZN2at6native12_GLOBAL__N_135GammaBetaBackwardCUDAKernelTemplateIN3c104HalfEfLj64ELj16ELj256ELb0ELb0ELb1EEEvllPKT_S7_PKT0_SA_PS5_SB_.num_vgpr, 128
	.set _ZN2at6native12_GLOBAL__N_135GammaBetaBackwardCUDAKernelTemplateIN3c104HalfEfLj64ELj16ELj256ELb0ELb0ELb1EEEvllPKT_S7_PKT0_SA_PS5_SB_.num_agpr, 0
	.set _ZN2at6native12_GLOBAL__N_135GammaBetaBackwardCUDAKernelTemplateIN3c104HalfEfLj64ELj16ELj256ELb0ELb0ELb1EEEvllPKT_S7_PKT0_SA_PS5_SB_.numbered_sgpr, 40
	.set _ZN2at6native12_GLOBAL__N_135GammaBetaBackwardCUDAKernelTemplateIN3c104HalfEfLj64ELj16ELj256ELb0ELb0ELb1EEEvllPKT_S7_PKT0_SA_PS5_SB_.num_named_barrier, 0
	.set _ZN2at6native12_GLOBAL__N_135GammaBetaBackwardCUDAKernelTemplateIN3c104HalfEfLj64ELj16ELj256ELb0ELb0ELb1EEEvllPKT_S7_PKT0_SA_PS5_SB_.private_seg_size, 168
	.set _ZN2at6native12_GLOBAL__N_135GammaBetaBackwardCUDAKernelTemplateIN3c104HalfEfLj64ELj16ELj256ELb0ELb0ELb1EEEvllPKT_S7_PKT0_SA_PS5_SB_.uses_vcc, 1
	.set _ZN2at6native12_GLOBAL__N_135GammaBetaBackwardCUDAKernelTemplateIN3c104HalfEfLj64ELj16ELj256ELb0ELb0ELb1EEEvllPKT_S7_PKT0_SA_PS5_SB_.uses_flat_scratch, 0
	.set _ZN2at6native12_GLOBAL__N_135GammaBetaBackwardCUDAKernelTemplateIN3c104HalfEfLj64ELj16ELj256ELb0ELb0ELb1EEEvllPKT_S7_PKT0_SA_PS5_SB_.has_dyn_sized_stack, 0
	.set _ZN2at6native12_GLOBAL__N_135GammaBetaBackwardCUDAKernelTemplateIN3c104HalfEfLj64ELj16ELj256ELb0ELb0ELb1EEEvllPKT_S7_PKT0_SA_PS5_SB_.has_recursion, 0
	.set _ZN2at6native12_GLOBAL__N_135GammaBetaBackwardCUDAKernelTemplateIN3c104HalfEfLj64ELj16ELj256ELb0ELb0ELb1EEEvllPKT_S7_PKT0_SA_PS5_SB_.has_indirect_call, 0
	.section	.AMDGPU.csdata,"",@progbits
; Kernel info:
; codeLenInByte = 16616
; TotalNumSgprs: 42
; NumVgprs: 128
; ScratchSize: 168
; MemoryBound: 0
; FloatMode: 240
; IeeeMode: 1
; LDSByteSize: 0 bytes/workgroup (compile time only)
; SGPRBlocks: 0
; VGPRBlocks: 15
; NumSGPRsForWavesPerEU: 42
; NumVGPRsForWavesPerEU: 128
; Occupancy: 8
; WaveLimiterHint : 0
; COMPUTE_PGM_RSRC2:SCRATCH_EN: 1
; COMPUTE_PGM_RSRC2:USER_SGPR: 6
; COMPUTE_PGM_RSRC2:TRAP_HANDLER: 0
; COMPUTE_PGM_RSRC2:TGID_X_EN: 1
; COMPUTE_PGM_RSRC2:TGID_Y_EN: 1
; COMPUTE_PGM_RSRC2:TGID_Z_EN: 0
; COMPUTE_PGM_RSRC2:TIDIG_COMP_CNT: 1
	.section	.text._ZN2at6native12_GLOBAL__N_135GammaBetaBackwardCUDAKernelTemplateIN3c104HalfEfLj32ELj1ELj32ELb1ELb1ELb1EEEvllPKT_S7_PKT0_SA_PS5_SB_,"axG",@progbits,_ZN2at6native12_GLOBAL__N_135GammaBetaBackwardCUDAKernelTemplateIN3c104HalfEfLj32ELj1ELj32ELb1ELb1ELb1EEEvllPKT_S7_PKT0_SA_PS5_SB_,comdat
	.globl	_ZN2at6native12_GLOBAL__N_135GammaBetaBackwardCUDAKernelTemplateIN3c104HalfEfLj32ELj1ELj32ELb1ELb1ELb1EEEvllPKT_S7_PKT0_SA_PS5_SB_ ; -- Begin function _ZN2at6native12_GLOBAL__N_135GammaBetaBackwardCUDAKernelTemplateIN3c104HalfEfLj32ELj1ELj32ELb1ELb1ELb1EEEvllPKT_S7_PKT0_SA_PS5_SB_
	.p2align	8
	.type	_ZN2at6native12_GLOBAL__N_135GammaBetaBackwardCUDAKernelTemplateIN3c104HalfEfLj32ELj1ELj32ELb1ELb1ELb1EEEvllPKT_S7_PKT0_SA_PS5_SB_,@function
_ZN2at6native12_GLOBAL__N_135GammaBetaBackwardCUDAKernelTemplateIN3c104HalfEfLj32ELj1ELj32ELb1ELb1ELb1EEEvllPKT_S7_PKT0_SA_PS5_SB_: ; @_ZN2at6native12_GLOBAL__N_135GammaBetaBackwardCUDAKernelTemplateIN3c104HalfEfLj32ELj1ELj32ELb1ELb1ELb1EEEvllPKT_S7_PKT0_SA_PS5_SB_
; %bb.0:
	s_clause 0x1
	s_load_dwordx4 s[0:3], s[4:5], 0x0
	s_load_dwordx2 s[12:13], s[4:5], 0x30
	s_lshl_b32 s14, s7, 5
	s_mov_b32 s15, 0
	v_mov_b32_e32 v3, 0
	s_waitcnt lgkmcnt(0)
	v_cmp_le_i64_e64 s8, s[0:1], s[14:15]
	s_and_b32 vcc_lo, exec_lo, s8
	s_cbranch_vccnz .LBB175_6
; %bb.1:
	s_clause 0x3
	s_load_dword s16, s[4:5], 0x4c
	s_load_dword s17, s[4:5], 0x44
	s_load_dwordx4 s[8:11], s[4:5], 0x10
	s_load_dwordx2 s[18:19], s[4:5], 0x28
	v_lshlrev_b32_e32 v4, 5, v1
	v_mov_b32_e32 v3, 0
	v_lshl_or_b32 v2, s6, 5, v0
	v_mov_b32_e32 v8, 4
	v_mov_b32_e32 v9, 8
	;; [unrolled: 1-line block ×13, first 2 shown]
	s_waitcnt lgkmcnt(0)
	s_and_b32 s16, s16, 0xffff
	v_mov_b32_e32 v21, 56
	v_mad_u32_u24 v5, v1, s16, v0
	v_add_co_u32 v40, s16, v4, s14
	v_add_co_ci_u32_e64 v41, null, 0, 0, s16
	v_and_b32_e32 v39, 31, v5
	v_mul_lo_u32 v6, s3, v40
	v_mad_u64_u32 v[4:5], null, s2, v40, 0
	v_mul_lo_u32 v7, s2, v41
	s_lshl_b32 s16, s17, 5
	v_mov_b32_e32 v22, 60
	s_mul_i32 s20, s3, s16
	s_mul_hi_u32 s21, s2, s16
	v_mov_b32_e32 v23, 64
	v_mov_b32_e32 v24, 0x44
	v_mov_b32_e32 v25, 0x48
	v_add3_u32 v5, v5, v7, v6
	v_mov_b32_e32 v26, 0x4c
	v_mov_b32_e32 v27, 0x50
	v_mov_b32_e32 v28, 0x54
	v_mov_b32_e32 v29, 0x58
	v_lshlrev_b64 v[6:7], 1, v[4:5]
	v_add_co_u32 v4, vcc_lo, v40, v39
	v_add_co_ci_u32_e64 v5, null, 0, v41, vcc_lo
	v_lshlrev_b64 v[39:40], 1, v[2:3]
	v_mov_b32_e32 v30, 0x5c
	v_mov_b32_e32 v31, 0x60
	v_lshlrev_b64 v[41:42], 2, v[4:5]
	v_mov_b32_e32 v32, 0x64
	v_mov_b32_e32 v33, 0x68
	v_add_co_u32 v2, vcc_lo, v6, v39
	v_add_co_ci_u32_e64 v39, null, v7, v40, vcc_lo
	v_add_co_u32 v6, vcc_lo, s18, v41
	v_mov_b32_e32 v34, 0x6c
	v_mov_b32_e32 v35, 0x70
	;; [unrolled: 1-line block ×5, first 2 shown]
	v_add_co_ci_u32_e64 v7, null, s19, v42, vcc_lo
	v_mov_b32_e32 v40, 0
	s_mov_b32 s17, s15
	s_add_i32 s21, s21, s20
	s_mul_i32 s20, s2, s16
	s_lshl_b64 s[22:23], s[2:3], 1
	s_lshl_b64 s[18:19], s[20:21], 1
	;; [unrolled: 1-line block ×3, first 2 shown]
	s_branch .LBB175_3
.LBB175_2:                              ;   in Loop: Header=BB175_3 Depth=1
	s_or_b32 exec_lo, exec_lo, s17
	v_add_co_u32 v42, vcc_lo, s8, v2
	v_add_co_ci_u32_e64 v43, null, s9, v39, vcc_lo
	v_add_co_u32 v44, vcc_lo, s10, v2
	v_add_co_ci_u32_e64 v45, null, s11, v39, vcc_lo
	global_load_ushort v48, v[42:43], off
	global_load_ushort v49, v[44:45], off
	v_add_co_u32 v42, vcc_lo, v42, s22
	v_add_co_ci_u32_e64 v43, null, s23, v43, vcc_lo
	v_add_co_u32 v44, vcc_lo, v44, s22
	v_add_co_ci_u32_e64 v45, null, s23, v45, vcc_lo
	global_load_ushort v50, v[42:43], off
	global_load_ushort v51, v[44:45], off
	;; [unrolled: 6-line block ×6, first 2 shown]
	v_add_co_u32 v42, vcc_lo, v42, s22
	v_add_co_ci_u32_e64 v43, null, s23, v43, vcc_lo
	v_add_co_u32 v44, vcc_lo, v44, s22
	v_add_co_ci_u32_e64 v45, null, s23, v45, vcc_lo
	global_load_ushort v60, v[42:43], off
	v_add_co_u32 v42, vcc_lo, v42, s22
	global_load_ushort v61, v[44:45], off
	v_add_co_ci_u32_e64 v43, null, s23, v43, vcc_lo
	v_add_co_u32 v46, vcc_lo, v44, s22
	v_add_co_ci_u32_e64 v47, null, s23, v45, vcc_lo
	v_add_co_u32 v44, vcc_lo, v42, s22
	global_load_ushort v62, v[42:43], off
	v_add_co_ci_u32_e64 v45, null, s23, v43, vcc_lo
	s_add_u32 s14, s14, s16
	s_addc_u32 s15, s15, 0
	v_cmp_lt_i64_e64 s17, s[14:15], s[0:1]
	s_waitcnt vmcnt(14)
	v_cvt_f32_f16_e32 v42, v48
	global_load_ushort v48, v[46:47], off
	s_waitcnt vmcnt(14)
	v_cvt_f32_f16_e32 v43, v49
	global_load_ushort v49, v[44:45], off
	v_mul_f32_e32 v42, v42, v43
	ds_bpermute_b32 v43, v3, v41
	s_waitcnt lgkmcnt(0)
	v_fmac_f32_e32 v40, v42, v43
	v_add_co_u32 v42, vcc_lo, v46, s22
	v_add_co_ci_u32_e64 v43, null, s23, v47, vcc_lo
	v_add_co_u32 v46, vcc_lo, v44, s22
	v_add_co_ci_u32_e64 v47, null, s23, v45, vcc_lo
	s_waitcnt vmcnt(14)
	v_cvt_f32_f16_e32 v44, v50
	s_waitcnt vmcnt(13)
	v_cvt_f32_f16_e32 v45, v51
	global_load_ushort v50, v[42:43], off
	global_load_ushort v51, v[46:47], off
	v_mul_f32_e32 v44, v44, v45
	ds_bpermute_b32 v45, v8, v41
	s_waitcnt lgkmcnt(0)
	v_fmac_f32_e32 v40, v44, v45
	v_add_co_u32 v44, vcc_lo, v42, s22
	v_add_co_ci_u32_e64 v45, null, s23, v43, vcc_lo
	v_add_co_u32 v42, vcc_lo, v46, s22
	v_add_co_ci_u32_e64 v43, null, s23, v47, vcc_lo
	s_waitcnt vmcnt(14)
	v_cvt_f32_f16_e32 v46, v52
	s_waitcnt vmcnt(13)
	v_cvt_f32_f16_e32 v47, v53
	global_load_ushort v52, v[44:45], off
	;; [unrolled: 14-line block ×6, first 2 shown]
	global_load_ushort v61, v[44:45], off
	v_mul_f32_e32 v42, v42, v43
	ds_bpermute_b32 v43, v13, v41
	s_waitcnt lgkmcnt(0)
	v_fmac_f32_e32 v40, v42, v43
	v_add_co_u32 v42, vcc_lo, v46, s22
	v_add_co_ci_u32_e64 v43, null, s23, v47, vcc_lo
	v_add_co_u32 v46, vcc_lo, v44, s22
	v_add_co_ci_u32_e64 v47, null, s23, v45, vcc_lo
	s_waitcnt vmcnt(14)
	v_cvt_f32_f16_e32 v44, v62
	global_load_ushort v62, v[46:47], off
	s_waitcnt vmcnt(14)
	v_cvt_f32_f16_e32 v45, v48
	global_load_ushort v48, v[42:43], off
	v_mul_f32_e32 v44, v44, v45
	ds_bpermute_b32 v45, v14, v41
	s_waitcnt lgkmcnt(0)
	v_fmac_f32_e32 v40, v44, v45
	v_add_co_u32 v44, vcc_lo, v42, s22
	v_add_co_ci_u32_e64 v45, null, s23, v43, vcc_lo
	v_add_co_u32 v42, vcc_lo, v46, s22
	s_waitcnt vmcnt(14)
	v_cvt_f32_f16_e32 v46, v49
	global_load_ushort v49, v[44:45], off
	v_add_co_ci_u32_e64 v43, null, s23, v47, vcc_lo
	s_waitcnt vmcnt(14)
	v_cvt_f32_f16_e32 v47, v50
	global_load_ushort v50, v[42:43], off
	v_mul_f32_e32 v46, v46, v47
	ds_bpermute_b32 v47, v15, v41
	s_waitcnt lgkmcnt(0)
	v_fmac_f32_e32 v40, v46, v47
	v_add_co_u32 v46, vcc_lo, v44, s22
	v_add_co_ci_u32_e64 v47, null, s23, v45, vcc_lo
	v_add_co_u32 v44, vcc_lo, v42, s22
	v_add_co_ci_u32_e64 v45, null, s23, v43, vcc_lo
	s_waitcnt vmcnt(14)
	v_cvt_f32_f16_e32 v42, v51
	s_waitcnt vmcnt(13)
	v_cvt_f32_f16_e32 v43, v52
	global_load_ushort v51, v[46:47], off
	global_load_ushort v52, v[44:45], off
	v_mul_f32_e32 v42, v42, v43
	ds_bpermute_b32 v43, v16, v41
	s_waitcnt lgkmcnt(0)
	v_fmac_f32_e32 v40, v42, v43
	v_add_co_u32 v42, vcc_lo, v46, s22
	v_add_co_ci_u32_e64 v43, null, s23, v47, vcc_lo
	v_add_co_u32 v46, vcc_lo, v44, s22
	v_add_co_ci_u32_e64 v47, null, s23, v45, vcc_lo
	s_waitcnt vmcnt(14)
	v_cvt_f32_f16_e32 v44, v53
	s_waitcnt vmcnt(13)
	v_cvt_f32_f16_e32 v45, v54
	global_load_ushort v53, v[42:43], off
	global_load_ushort v54, v[46:47], off
	v_mul_f32_e32 v44, v44, v45
	ds_bpermute_b32 v45, v17, v41
	s_waitcnt lgkmcnt(0)
	v_fmac_f32_e32 v40, v44, v45
	v_add_co_u32 v44, vcc_lo, v42, s22
	v_add_co_ci_u32_e64 v45, null, s23, v43, vcc_lo
	v_add_co_u32 v42, vcc_lo, v46, s22
	v_add_co_ci_u32_e64 v43, null, s23, v47, vcc_lo
	s_waitcnt vmcnt(14)
	v_cvt_f32_f16_e32 v46, v55
	s_waitcnt vmcnt(13)
	v_cvt_f32_f16_e32 v47, v56
	global_load_ushort v55, v[44:45], off
	global_load_ushort v56, v[42:43], off
	v_mul_f32_e32 v46, v46, v47
	ds_bpermute_b32 v47, v18, v41
	s_waitcnt lgkmcnt(0)
	v_fmac_f32_e32 v40, v46, v47
	v_add_co_u32 v46, vcc_lo, v44, s22
	v_add_co_ci_u32_e64 v47, null, s23, v45, vcc_lo
	v_add_co_u32 v44, vcc_lo, v42, s22
	v_add_co_ci_u32_e64 v45, null, s23, v43, vcc_lo
	s_waitcnt vmcnt(14)
	v_cvt_f32_f16_e32 v42, v57
	s_waitcnt vmcnt(13)
	v_cvt_f32_f16_e32 v43, v58
	global_load_ushort v57, v[46:47], off
	global_load_ushort v58, v[44:45], off
	v_mul_f32_e32 v42, v42, v43
	ds_bpermute_b32 v43, v19, v41
	s_waitcnt lgkmcnt(0)
	v_fmac_f32_e32 v40, v42, v43
	v_add_co_u32 v42, vcc_lo, v46, s22
	v_add_co_ci_u32_e64 v43, null, s23, v47, vcc_lo
	v_add_co_u32 v46, vcc_lo, v44, s22
	v_add_co_ci_u32_e64 v47, null, s23, v45, vcc_lo
	s_waitcnt vmcnt(14)
	v_cvt_f32_f16_e32 v44, v59
	s_waitcnt vmcnt(13)
	v_cvt_f32_f16_e32 v45, v60
	global_load_ushort v59, v[42:43], off
	global_load_ushort v60, v[46:47], off
	v_mul_f32_e32 v44, v44, v45
	ds_bpermute_b32 v45, v20, v41
	s_waitcnt lgkmcnt(0)
	v_fmac_f32_e32 v40, v44, v45
	v_add_co_u32 v44, vcc_lo, v42, s22
	v_add_co_ci_u32_e64 v45, null, s23, v43, vcc_lo
	v_add_co_u32 v42, vcc_lo, v46, s22
	v_add_co_ci_u32_e64 v43, null, s23, v47, vcc_lo
	s_waitcnt vmcnt(14)
	v_cvt_f32_f16_e32 v46, v61
	global_load_ushort v61, v[42:43], off
	s_waitcnt vmcnt(13)
	v_cvt_f32_f16_e32 v47, v48
	global_load_ushort v48, v[44:45], off
	v_mul_f32_e32 v46, v46, v47
	ds_bpermute_b32 v47, v21, v41
	s_waitcnt lgkmcnt(0)
	v_fmac_f32_e32 v40, v46, v47
	v_add_co_u32 v46, vcc_lo, v44, s22
	v_add_co_ci_u32_e64 v47, null, s23, v45, vcc_lo
	v_add_co_u32 v44, vcc_lo, v42, s22
	v_add_co_ci_u32_e64 v45, null, s23, v43, vcc_lo
	s_waitcnt vmcnt(13)
	v_cvt_f32_f16_e32 v43, v49
	global_load_ushort v49, v[46:47], off
	v_cvt_f32_f16_e32 v42, v62
	global_load_ushort v62, v[44:45], off
	v_mul_f32_e32 v42, v42, v43
	ds_bpermute_b32 v43, v22, v41
	s_waitcnt lgkmcnt(0)
	v_fmac_f32_e32 v40, v42, v43
	v_add_co_u32 v42, vcc_lo, v46, s22
	v_add_co_ci_u32_e64 v43, null, s23, v47, vcc_lo
	v_add_co_u32 v46, vcc_lo, v44, s22
	v_add_co_ci_u32_e64 v47, null, s23, v45, vcc_lo
	s_waitcnt vmcnt(14)
	v_cvt_f32_f16_e32 v44, v50
	global_load_ushort v50, v[42:43], off
	s_waitcnt vmcnt(14)
	v_cvt_f32_f16_e32 v45, v51
	global_load_ushort v51, v[46:47], off
	v_mul_f32_e32 v44, v44, v45
	ds_bpermute_b32 v45, v23, v41
	s_waitcnt lgkmcnt(0)
	v_fmac_f32_e32 v40, v44, v45
	v_add_co_u32 v44, vcc_lo, v42, s22
	v_add_co_ci_u32_e64 v45, null, s23, v43, vcc_lo
	v_add_co_u32 v42, vcc_lo, v46, s22
	v_add_co_ci_u32_e64 v43, null, s23, v47, vcc_lo
	s_waitcnt vmcnt(14)
	v_cvt_f32_f16_e32 v46, v52
	s_waitcnt vmcnt(13)
	v_cvt_f32_f16_e32 v47, v53
	global_load_ushort v52, v[44:45], off
	global_load_ushort v53, v[42:43], off
	v_mul_f32_e32 v46, v46, v47
	ds_bpermute_b32 v47, v24, v41
	s_waitcnt lgkmcnt(0)
	v_fmac_f32_e32 v40, v46, v47
	v_add_co_u32 v46, vcc_lo, v44, s22
	v_add_co_ci_u32_e64 v47, null, s23, v45, vcc_lo
	v_add_co_u32 v44, vcc_lo, v42, s22
	v_add_co_ci_u32_e64 v45, null, s23, v43, vcc_lo
	s_waitcnt vmcnt(14)
	v_cvt_f32_f16_e32 v42, v54
	s_waitcnt vmcnt(13)
	v_cvt_f32_f16_e32 v43, v55
	global_load_ushort v54, v[46:47], off
	;; [unrolled: 14-line block ×4, first 2 shown]
	global_load_ushort v59, v[42:43], off
	v_mul_f32_e32 v46, v46, v47
	ds_bpermute_b32 v47, v27, v41
	s_waitcnt lgkmcnt(0)
	v_fmac_f32_e32 v40, v46, v47
	v_add_co_u32 v46, vcc_lo, v44, s22
	v_add_co_ci_u32_e64 v47, null, s23, v45, vcc_lo
	v_add_co_u32 v44, vcc_lo, v42, s22
	v_add_co_ci_u32_e64 v45, null, s23, v43, vcc_lo
	s_waitcnt vmcnt(14)
	v_cvt_f32_f16_e32 v42, v60
	global_load_ushort v60, v[44:45], off
	s_waitcnt vmcnt(13)
	v_cvt_f32_f16_e32 v43, v48
	global_load_ushort v48, v[46:47], off
	v_mul_f32_e32 v42, v42, v43
	ds_bpermute_b32 v43, v28, v41
	s_waitcnt lgkmcnt(0)
	v_fmac_f32_e32 v40, v42, v43
	v_add_co_u32 v42, vcc_lo, v46, s22
	v_add_co_ci_u32_e64 v43, null, s23, v47, vcc_lo
	v_add_co_u32 v46, vcc_lo, v44, s22
	v_add_co_ci_u32_e64 v47, null, s23, v45, vcc_lo
	v_cvt_f32_f16_e32 v44, v61
	s_waitcnt vmcnt(13)
	v_cvt_f32_f16_e32 v45, v49
	global_load_ushort v49, v[42:43], off
	global_load_ushort v61, v[46:47], off
	v_mul_f32_e32 v44, v44, v45
	ds_bpermute_b32 v45, v29, v41
	s_waitcnt lgkmcnt(0)
	v_fmac_f32_e32 v40, v44, v45
	v_add_co_u32 v44, vcc_lo, v42, s22
	v_add_co_ci_u32_e64 v45, null, s23, v43, vcc_lo
	v_add_co_u32 v42, vcc_lo, v46, s22
	v_add_co_ci_u32_e64 v43, null, s23, v47, vcc_lo
	;; [unrolled: 2-line block ×3, first 2 shown]
	global_load_ushort v44, v[44:45], off
	global_load_ushort v42, v[42:43], off
	global_load_ushort v43, v[46:47], off
	ds_bpermute_b32 v45, v30, v41
	s_waitcnt vmcnt(17)
	v_cvt_f32_f16_e32 v46, v62
	s_waitcnt vmcnt(16)
	v_cvt_f32_f16_e32 v47, v50
	v_add_co_u32 v2, vcc_lo, v2, s18
	v_add_co_ci_u32_e64 v39, null, s19, v39, vcc_lo
	v_mul_f32_e32 v46, v46, v47
	ds_bpermute_b32 v47, v31, v41
	v_add_co_u32 v6, vcc_lo, v6, s20
	v_add_co_ci_u32_e64 v7, null, s21, v7, vcc_lo
	v_add_co_u32 v4, vcc_lo, v4, s16
	v_add_co_ci_u32_e64 v5, null, 0, v5, vcc_lo
	s_and_b32 vcc_lo, exec_lo, s17
	s_waitcnt lgkmcnt(1)
	v_fmac_f32_e32 v40, v46, v45
	ds_bpermute_b32 v45, v32, v41
	s_waitcnt vmcnt(15)
	v_cvt_f32_f16_e32 v46, v51
	ds_bpermute_b32 v51, v33, v41
	s_waitcnt vmcnt(14)
	v_cvt_f32_f16_e32 v50, v52
	s_waitcnt vmcnt(13)
	v_cvt_f32_f16_e32 v52, v53
	ds_bpermute_b32 v53, v34, v41
	v_mul_f32_e32 v46, v46, v50
	s_waitcnt lgkmcnt(3)
	v_fmac_f32_e32 v40, v46, v47
	s_waitcnt vmcnt(12)
	v_cvt_f32_f16_e32 v50, v54
	s_waitcnt vmcnt(11)
	v_cvt_f32_f16_e32 v54, v55
	v_mul_f32_e32 v46, v52, v50
	ds_bpermute_b32 v50, v35, v41
	s_waitcnt lgkmcnt(3)
	v_fmac_f32_e32 v40, v46, v45
	s_waitcnt vmcnt(10)
	v_cvt_f32_f16_e32 v47, v56
	s_waitcnt vmcnt(9)
	v_cvt_f32_f16_e32 v52, v57
	v_mul_f32_e32 v45, v54, v47
	ds_bpermute_b32 v47, v36, v41
	s_waitcnt lgkmcnt(3)
	v_fmac_f32_e32 v40, v45, v51
	s_waitcnt vmcnt(8)
	v_cvt_f32_f16_e32 v46, v58
	s_waitcnt vmcnt(7)
	v_cvt_f32_f16_e32 v54, v59
	v_mul_f32_e32 v45, v52, v46
	s_waitcnt lgkmcnt(2)
	v_fmac_f32_e32 v40, v45, v53
	s_waitcnt vmcnt(6)
	v_cvt_f32_f16_e32 v51, v60
	s_waitcnt vmcnt(5)
	v_cvt_f32_f16_e32 v46, v48
	ds_bpermute_b32 v48, v37, v41
	ds_bpermute_b32 v41, v38, v41
	v_mul_f32_e32 v45, v54, v46
	s_waitcnt lgkmcnt(3)
	v_fmac_f32_e32 v40, v45, v50
	s_waitcnt vmcnt(4)
	v_cvt_f32_f16_e32 v46, v49
	s_waitcnt vmcnt(3)
	v_cvt_f32_f16_e32 v49, v61
	v_mul_f32_e32 v45, v51, v46
	s_waitcnt lgkmcnt(2)
	v_fmac_f32_e32 v40, v45, v47
	s_waitcnt vmcnt(2)
	v_cvt_f32_f16_e32 v44, v44
	s_waitcnt vmcnt(1)
	v_cvt_f32_f16_e32 v42, v42
	;; [unrolled: 2-line block ×3, first 2 shown]
	v_mul_f32_e32 v44, v49, v44
	v_mul_f32_e32 v42, v42, v43
	s_waitcnt lgkmcnt(1)
	v_fmac_f32_e32 v40, v44, v48
	s_waitcnt lgkmcnt(0)
	v_fmac_f32_e32 v40, v42, v41
	s_cbranch_vccz .LBB175_5
.LBB175_3:                              ; =>This Inner Loop Header: Depth=1
	v_mov_b32_e32 v41, 0
	s_mov_b32 s17, exec_lo
	v_cmpx_gt_i64_e64 s[0:1], v[4:5]
	s_cbranch_execz .LBB175_2
; %bb.4:                                ;   in Loop: Header=BB175_3 Depth=1
	global_load_dword v41, v[6:7], off
	s_branch .LBB175_2
.LBB175_5:
	v_cvt_f16_f32_e32 v3, v40
.LBB175_6:
	s_cmp_eq_u64 s[12:13], 0
	s_cbranch_scc1 .LBB175_8
; %bb.7:
	s_load_dword s0, s[4:5], 0x4c
	v_mov_b32_e32 v2, 0
	v_lshlrev_b32_e32 v0, 1, v0
	s_waitcnt lgkmcnt(0)
	s_lshr_b32 s0, s0, 16
	v_mad_u64_u32 v[1:2], null, s0, s7, v[1:2]
	s_mov_b32 s7, 0
	s_lshl_b64 s[0:1], s[6:7], 6
	v_mul_lo_u32 v4, v2, s2
	v_mul_lo_u32 v5, v1, s3
	v_mad_u64_u32 v[1:2], null, v1, s2, 0
	v_add3_u32 v2, v2, v5, v4
	v_lshlrev_b64 v[1:2], 1, v[1:2]
	v_add_co_u32 v1, vcc_lo, s12, v1
	v_add_co_ci_u32_e64 v2, null, s13, v2, vcc_lo
	v_add_co_u32 v1, vcc_lo, v1, s0
	v_add_co_ci_u32_e64 v2, null, s1, v2, vcc_lo
	;; [unrolled: 2-line block ×3, first 2 shown]
	global_store_short v[0:1], v3, off
.LBB175_8:
	s_endpgm
	.section	.rodata,"a",@progbits
	.p2align	6, 0x0
	.amdhsa_kernel _ZN2at6native12_GLOBAL__N_135GammaBetaBackwardCUDAKernelTemplateIN3c104HalfEfLj32ELj1ELj32ELb1ELb1ELb1EEEvllPKT_S7_PKT0_SA_PS5_SB_
		.amdhsa_group_segment_fixed_size 0
		.amdhsa_private_segment_fixed_size 0
		.amdhsa_kernarg_size 320
		.amdhsa_user_sgpr_count 6
		.amdhsa_user_sgpr_private_segment_buffer 1
		.amdhsa_user_sgpr_dispatch_ptr 0
		.amdhsa_user_sgpr_queue_ptr 0
		.amdhsa_user_sgpr_kernarg_segment_ptr 1
		.amdhsa_user_sgpr_dispatch_id 0
		.amdhsa_user_sgpr_flat_scratch_init 0
		.amdhsa_user_sgpr_private_segment_size 0
		.amdhsa_wavefront_size32 1
		.amdhsa_uses_dynamic_stack 0
		.amdhsa_system_sgpr_private_segment_wavefront_offset 0
		.amdhsa_system_sgpr_workgroup_id_x 1
		.amdhsa_system_sgpr_workgroup_id_y 1
		.amdhsa_system_sgpr_workgroup_id_z 0
		.amdhsa_system_sgpr_workgroup_info 0
		.amdhsa_system_vgpr_workitem_id 1
		.amdhsa_next_free_vgpr 63
		.amdhsa_next_free_sgpr 24
		.amdhsa_reserve_vcc 1
		.amdhsa_reserve_flat_scratch 0
		.amdhsa_float_round_mode_32 0
		.amdhsa_float_round_mode_16_64 0
		.amdhsa_float_denorm_mode_32 3
		.amdhsa_float_denorm_mode_16_64 3
		.amdhsa_dx10_clamp 1
		.amdhsa_ieee_mode 1
		.amdhsa_fp16_overflow 0
		.amdhsa_workgroup_processor_mode 1
		.amdhsa_memory_ordered 1
		.amdhsa_forward_progress 1
		.amdhsa_shared_vgpr_count 0
		.amdhsa_exception_fp_ieee_invalid_op 0
		.amdhsa_exception_fp_denorm_src 0
		.amdhsa_exception_fp_ieee_div_zero 0
		.amdhsa_exception_fp_ieee_overflow 0
		.amdhsa_exception_fp_ieee_underflow 0
		.amdhsa_exception_fp_ieee_inexact 0
		.amdhsa_exception_int_div_zero 0
	.end_amdhsa_kernel
	.section	.text._ZN2at6native12_GLOBAL__N_135GammaBetaBackwardCUDAKernelTemplateIN3c104HalfEfLj32ELj1ELj32ELb1ELb1ELb1EEEvllPKT_S7_PKT0_SA_PS5_SB_,"axG",@progbits,_ZN2at6native12_GLOBAL__N_135GammaBetaBackwardCUDAKernelTemplateIN3c104HalfEfLj32ELj1ELj32ELb1ELb1ELb1EEEvllPKT_S7_PKT0_SA_PS5_SB_,comdat
.Lfunc_end175:
	.size	_ZN2at6native12_GLOBAL__N_135GammaBetaBackwardCUDAKernelTemplateIN3c104HalfEfLj32ELj1ELj32ELb1ELb1ELb1EEEvllPKT_S7_PKT0_SA_PS5_SB_, .Lfunc_end175-_ZN2at6native12_GLOBAL__N_135GammaBetaBackwardCUDAKernelTemplateIN3c104HalfEfLj32ELj1ELj32ELb1ELb1ELb1EEEvllPKT_S7_PKT0_SA_PS5_SB_
                                        ; -- End function
	.set _ZN2at6native12_GLOBAL__N_135GammaBetaBackwardCUDAKernelTemplateIN3c104HalfEfLj32ELj1ELj32ELb1ELb1ELb1EEEvllPKT_S7_PKT0_SA_PS5_SB_.num_vgpr, 63
	.set _ZN2at6native12_GLOBAL__N_135GammaBetaBackwardCUDAKernelTemplateIN3c104HalfEfLj32ELj1ELj32ELb1ELb1ELb1EEEvllPKT_S7_PKT0_SA_PS5_SB_.num_agpr, 0
	.set _ZN2at6native12_GLOBAL__N_135GammaBetaBackwardCUDAKernelTemplateIN3c104HalfEfLj32ELj1ELj32ELb1ELb1ELb1EEEvllPKT_S7_PKT0_SA_PS5_SB_.numbered_sgpr, 24
	.set _ZN2at6native12_GLOBAL__N_135GammaBetaBackwardCUDAKernelTemplateIN3c104HalfEfLj32ELj1ELj32ELb1ELb1ELb1EEEvllPKT_S7_PKT0_SA_PS5_SB_.num_named_barrier, 0
	.set _ZN2at6native12_GLOBAL__N_135GammaBetaBackwardCUDAKernelTemplateIN3c104HalfEfLj32ELj1ELj32ELb1ELb1ELb1EEEvllPKT_S7_PKT0_SA_PS5_SB_.private_seg_size, 0
	.set _ZN2at6native12_GLOBAL__N_135GammaBetaBackwardCUDAKernelTemplateIN3c104HalfEfLj32ELj1ELj32ELb1ELb1ELb1EEEvllPKT_S7_PKT0_SA_PS5_SB_.uses_vcc, 1
	.set _ZN2at6native12_GLOBAL__N_135GammaBetaBackwardCUDAKernelTemplateIN3c104HalfEfLj32ELj1ELj32ELb1ELb1ELb1EEEvllPKT_S7_PKT0_SA_PS5_SB_.uses_flat_scratch, 0
	.set _ZN2at6native12_GLOBAL__N_135GammaBetaBackwardCUDAKernelTemplateIN3c104HalfEfLj32ELj1ELj32ELb1ELb1ELb1EEEvllPKT_S7_PKT0_SA_PS5_SB_.has_dyn_sized_stack, 0
	.set _ZN2at6native12_GLOBAL__N_135GammaBetaBackwardCUDAKernelTemplateIN3c104HalfEfLj32ELj1ELj32ELb1ELb1ELb1EEEvllPKT_S7_PKT0_SA_PS5_SB_.has_recursion, 0
	.set _ZN2at6native12_GLOBAL__N_135GammaBetaBackwardCUDAKernelTemplateIN3c104HalfEfLj32ELj1ELj32ELb1ELb1ELb1EEEvllPKT_S7_PKT0_SA_PS5_SB_.has_indirect_call, 0
	.section	.AMDGPU.csdata,"",@progbits
; Kernel info:
; codeLenInByte = 3416
; TotalNumSgprs: 26
; NumVgprs: 63
; ScratchSize: 0
; MemoryBound: 0
; FloatMode: 240
; IeeeMode: 1
; LDSByteSize: 0 bytes/workgroup (compile time only)
; SGPRBlocks: 0
; VGPRBlocks: 7
; NumSGPRsForWavesPerEU: 26
; NumVGPRsForWavesPerEU: 63
; Occupancy: 16
; WaveLimiterHint : 0
; COMPUTE_PGM_RSRC2:SCRATCH_EN: 0
; COMPUTE_PGM_RSRC2:USER_SGPR: 6
; COMPUTE_PGM_RSRC2:TRAP_HANDLER: 0
; COMPUTE_PGM_RSRC2:TGID_X_EN: 1
; COMPUTE_PGM_RSRC2:TGID_Y_EN: 1
; COMPUTE_PGM_RSRC2:TGID_Z_EN: 0
; COMPUTE_PGM_RSRC2:TIDIG_COMP_CNT: 1
	.section	.text._ZN2at6native12_GLOBAL__N_135GammaBetaBackwardCUDAKernelTemplateIN3c104HalfEfLj32ELj1ELj32ELb1ELb0ELb1EEEvllPKT_S7_PKT0_SA_PS5_SB_,"axG",@progbits,_ZN2at6native12_GLOBAL__N_135GammaBetaBackwardCUDAKernelTemplateIN3c104HalfEfLj32ELj1ELj32ELb1ELb0ELb1EEEvllPKT_S7_PKT0_SA_PS5_SB_,comdat
	.globl	_ZN2at6native12_GLOBAL__N_135GammaBetaBackwardCUDAKernelTemplateIN3c104HalfEfLj32ELj1ELj32ELb1ELb0ELb1EEEvllPKT_S7_PKT0_SA_PS5_SB_ ; -- Begin function _ZN2at6native12_GLOBAL__N_135GammaBetaBackwardCUDAKernelTemplateIN3c104HalfEfLj32ELj1ELj32ELb1ELb0ELb1EEEvllPKT_S7_PKT0_SA_PS5_SB_
	.p2align	8
	.type	_ZN2at6native12_GLOBAL__N_135GammaBetaBackwardCUDAKernelTemplateIN3c104HalfEfLj32ELj1ELj32ELb1ELb0ELb1EEEvllPKT_S7_PKT0_SA_PS5_SB_,@function
_ZN2at6native12_GLOBAL__N_135GammaBetaBackwardCUDAKernelTemplateIN3c104HalfEfLj32ELj1ELj32ELb1ELb0ELb1EEEvllPKT_S7_PKT0_SA_PS5_SB_: ; @_ZN2at6native12_GLOBAL__N_135GammaBetaBackwardCUDAKernelTemplateIN3c104HalfEfLj32ELj1ELj32ELb1ELb0ELb1EEEvllPKT_S7_PKT0_SA_PS5_SB_
; %bb.0:
	s_mov_b64 s[38:39], s[2:3]
	s_mov_b64 s[36:37], s[0:1]
	s_mov_b32 s0, s7
	s_add_u32 s36, s36, s8
	s_clause 0x1
	s_load_dwordx8 s[8:15], s[4:5], 0x0
	s_load_dwordx2 s[16:17], s[4:5], 0x28
	s_addc_u32 s37, s37, 0
	s_lshl_b32 s7, s6, 5
	s_mov_b32 s19, 0
	s_or_b32 s18, s7, 31
	v_mov_b32_e32 v224, v0
	v_mov_b32_e32 v223, v1
	s_waitcnt lgkmcnt(0)
	v_cmp_le_i64_e64 s1, s[10:11], s[18:19]
	s_lshl_b32 s18, s0, 5
	v_cmp_gt_i64_e64 s26, s[8:9], s[18:19]
	s_and_b32 vcc_lo, exec_lo, s1
	v_cndmask_b32_e64 v0, 0, 1, s26
	v_cmp_ne_u32_e64 s1, 1, v0
	s_cbranch_vccz .LBB176_141
; %bb.1:
	v_mov_b32_e32 v202, 0
	s_and_b32 vcc_lo, exec_lo, s1
	s_cbranch_vccnz .LBB176_142
; %bb.2:
	v_lshlrev_b32_e32 v39, 5, v223
	v_mov_b32_e32 v2, 0
	v_add_nc_u32_e32 v0, s7, v224
	s_load_dword s2, s[4:5], 0x44
	s_add_u32 s20, s4, 64
	v_add_co_u32 v5, s1, v39, s18
	v_add_co_ci_u32_e64 v6, null, 0, 0, s1
	v_mov_b32_e32 v1, v2
	v_mul_lo_u32 v7, s11, v5
	v_mad_u64_u32 v[3:4], null, s10, v5, 0
	v_mul_lo_u32 v8, s10, v6
	v_cmp_gt_i64_e64 s1, s[10:11], v[0:1]
	v_lshlrev_b64 v[35:36], 1, v[0:1]
	s_addc_u32 s21, s5, 0
	v_mov_b32_e32 v40, v2
	v_mov_b32_e32 v167, 0
	s_mov_b64 s[24:25], s[18:19]
	v_add3_u32 v4, v4, v8, v7
	v_add_co_u32 v7, vcc_lo, v5, 31
	v_add_co_ci_u32_e64 v8, null, 0, v6, vcc_lo
	v_add_co_u32 v9, vcc_lo, v5, 30
	v_add_co_ci_u32_e64 v10, null, 0, v6, vcc_lo
	v_lshlrev_b64 v[0:1], 1, v[3:4]
	v_mul_lo_u32 v11, s11, v7
	v_mul_lo_u32 v12, s10, v8
	v_mad_u64_u32 v[7:8], null, s10, v7, 0
	v_mul_lo_u32 v13, s11, v9
	v_mul_lo_u32 v14, s10, v10
	v_mad_u64_u32 v[9:10], null, s10, v9, 0
	v_add_co_u32 v41, vcc_lo, s12, v0
	v_add_co_ci_u32_e64 v42, null, s13, v1, vcc_lo
	v_add_co_u32 v43, vcc_lo, s14, v0
	v_add3_u32 v8, v8, v12, v11
	v_add_co_ci_u32_e64 v44, null, s15, v1, vcc_lo
	v_add_co_u32 v11, vcc_lo, v5, 29
	v_add3_u32 v10, v10, v14, v13
	v_add_co_ci_u32_e64 v12, null, 0, v6, vcc_lo
	v_lshlrev_b64 v[0:1], 1, v[7:8]
	v_mul_lo_u32 v13, s11, v11
	v_lshlrev_b64 v[7:8], 1, v[9:10]
	v_mul_lo_u32 v12, s10, v12
	v_mad_u64_u32 v[9:10], null, s10, v11, 0
	v_add_co_u32 v45, vcc_lo, s12, v0
	v_add_co_ci_u32_e64 v46, null, s13, v1, vcc_lo
	v_add_co_u32 v47, vcc_lo, s14, v0
	v_add3_u32 v10, v10, v12, v13
	s_waitcnt lgkmcnt(0)
	s_lshl_b32 s27, s2, 5
	v_add_co_ci_u32_e64 v48, null, s15, v1, vcc_lo
	v_add_co_u32 v49, vcc_lo, s12, v7
	s_mul_i32 s2, s11, s27
	s_mul_hi_u32 s3, s10, s27
	v_add_co_ci_u32_e64 v50, null, s13, v8, vcc_lo
	v_add_co_u32 v11, vcc_lo, v5, 28
	s_add_i32 s23, s3, s2
	v_add_co_u32 v51, s2, s14, v7
	v_lshlrev_b64 v[0:1], 1, v[9:10]
	v_add_co_ci_u32_e64 v7, null, 0, v6, vcc_lo
	v_add_co_u32 v9, vcc_lo, v5, 27
	v_add_co_ci_u32_e64 v10, null, 0, v6, vcc_lo
	v_add_co_ci_u32_e64 v52, null, s15, v8, s2
	v_mul_lo_u32 v12, s11, v11
	v_mul_lo_u32 v13, s10, v7
	v_mad_u64_u32 v[7:8], null, s10, v11, 0
	v_mul_lo_u32 v11, s11, v9
	v_mul_lo_u32 v14, s10, v10
	v_mad_u64_u32 v[9:10], null, s10, v9, 0
	v_add_co_u32 v53, vcc_lo, s12, v0
	v_add_co_ci_u32_e64 v54, null, s13, v1, vcc_lo
	v_add_co_u32 v55, vcc_lo, s14, v0
	v_add_co_ci_u32_e64 v56, null, s15, v1, vcc_lo
	v_add3_u32 v10, v10, v14, v11
	v_add_co_u32 v11, vcc_lo, v5, 26
	v_add3_u32 v8, v8, v13, v12
	v_add_co_ci_u32_e64 v12, null, 0, v6, vcc_lo
	v_mul_lo_u32 v13, s11, v11
	s_mul_i32 s22, s10, s27
	v_lshlrev_b64 v[0:1], 1, v[7:8]
	v_lshlrev_b64 v[7:8], 1, v[9:10]
	v_mul_lo_u32 v12, s10, v12
	v_mad_u64_u32 v[9:10], null, s10, v11, 0
	v_add_co_u32 v57, vcc_lo, s12, v0
	v_add_co_ci_u32_e64 v58, null, s13, v1, vcc_lo
	v_add_co_u32 v59, vcc_lo, s14, v0
	v_add3_u32 v10, v10, v12, v13
	v_add_co_ci_u32_e64 v60, null, s15, v1, vcc_lo
	v_add_co_u32 v61, vcc_lo, s12, v7
	v_add_co_ci_u32_e64 v62, null, s13, v8, vcc_lo
	v_add_co_u32 v11, vcc_lo, v5, 25
	v_add_co_u32 v63, s2, s14, v7
	v_lshlrev_b64 v[0:1], 1, v[9:10]
	v_add_co_ci_u32_e64 v7, null, 0, v6, vcc_lo
	v_add_co_u32 v9, vcc_lo, v5, 24
	v_add_co_ci_u32_e64 v10, null, 0, v6, vcc_lo
	v_add_co_ci_u32_e64 v64, null, s15, v8, s2
	v_mul_lo_u32 v12, s11, v11
	v_mul_lo_u32 v13, s10, v7
	v_mad_u64_u32 v[7:8], null, s10, v11, 0
	v_mul_lo_u32 v11, s11, v9
	v_mul_lo_u32 v14, s10, v10
	v_mad_u64_u32 v[9:10], null, s10, v9, 0
	v_add_co_u32 v65, vcc_lo, s12, v0
	v_add_co_ci_u32_e64 v66, null, s13, v1, vcc_lo
	v_add_co_u32 v67, vcc_lo, s14, v0
	v_add_co_ci_u32_e64 v68, null, s15, v1, vcc_lo
	v_add3_u32 v10, v10, v14, v11
	v_add_co_u32 v11, vcc_lo, v5, 23
	v_add3_u32 v8, v8, v13, v12
	v_add_co_ci_u32_e64 v12, null, 0, v6, vcc_lo
	v_mul_lo_u32 v13, s11, v11
	v_lshlrev_b64 v[0:1], 1, v[7:8]
	v_lshlrev_b64 v[7:8], 1, v[9:10]
	v_mul_lo_u32 v12, s10, v12
	v_mad_u64_u32 v[9:10], null, s10, v11, 0
	v_add_co_u32 v69, vcc_lo, s12, v0
	v_add_co_ci_u32_e64 v70, null, s13, v1, vcc_lo
	v_add_co_u32 v71, vcc_lo, s14, v0
	v_add3_u32 v10, v10, v12, v13
	v_add_co_ci_u32_e64 v72, null, s15, v1, vcc_lo
	v_add_co_u32 v73, vcc_lo, s12, v7
	v_add_co_ci_u32_e64 v74, null, s13, v8, vcc_lo
	v_add_co_u32 v11, vcc_lo, v5, 22
	v_add_co_u32 v75, s2, s14, v7
	v_lshlrev_b64 v[0:1], 1, v[9:10]
	v_add_co_ci_u32_e64 v7, null, 0, v6, vcc_lo
	v_add_co_u32 v9, vcc_lo, v5, 21
	v_add_co_ci_u32_e64 v10, null, 0, v6, vcc_lo
	v_add_co_ci_u32_e64 v76, null, s15, v8, s2
	v_mul_lo_u32 v12, s11, v11
	v_mul_lo_u32 v13, s10, v7
	v_mad_u64_u32 v[7:8], null, s10, v11, 0
	v_mul_lo_u32 v11, s11, v9
	v_mul_lo_u32 v14, s10, v10
	v_mad_u64_u32 v[9:10], null, s10, v9, 0
	v_add_co_u32 v77, vcc_lo, s12, v0
	v_add_co_ci_u32_e64 v78, null, s13, v1, vcc_lo
	v_add_co_u32 v79, vcc_lo, s14, v0
	v_add_co_ci_u32_e64 v80, null, s15, v1, vcc_lo
	v_add3_u32 v10, v10, v14, v11
	v_add_co_u32 v11, vcc_lo, v5, 20
	v_add3_u32 v8, v8, v13, v12
	v_add_co_ci_u32_e64 v12, null, 0, v6, vcc_lo
	v_mul_lo_u32 v13, s11, v11
	;; [unrolled: 33-line block ×3, first 2 shown]
	v_lshlrev_b64 v[0:1], 1, v[7:8]
	v_lshlrev_b64 v[7:8], 1, v[9:10]
	v_mul_lo_u32 v12, s10, v12
	v_mad_u64_u32 v[9:10], null, s10, v11, 0
	v_add_co_u32 v93, vcc_lo, s12, v0
	v_add_co_ci_u32_e64 v94, null, s13, v1, vcc_lo
	v_add_co_u32 v95, vcc_lo, s14, v0
	v_add3_u32 v10, v10, v12, v13
	v_add_co_ci_u32_e64 v96, null, s15, v1, vcc_lo
	v_add_co_u32 v97, vcc_lo, s12, v7
	v_add_co_ci_u32_e64 v98, null, s13, v8, vcc_lo
	v_add_co_u32 v11, vcc_lo, v5, 16
	v_add_co_u32 v99, s2, s14, v7
	v_lshlrev_b64 v[0:1], 1, v[9:10]
	v_add_co_ci_u32_e64 v7, null, 0, v6, vcc_lo
	v_add_co_u32 v9, vcc_lo, v5, 15
	v_add_co_ci_u32_e64 v10, null, 0, v6, vcc_lo
	v_add_co_ci_u32_e64 v100, null, s15, v8, s2
	v_mul_lo_u32 v12, s11, v11
	v_mul_lo_u32 v13, s10, v7
	v_mad_u64_u32 v[7:8], null, s10, v11, 0
	v_mul_lo_u32 v11, s11, v9
	v_mul_lo_u32 v14, s10, v10
	v_mad_u64_u32 v[9:10], null, s10, v9, 0
	v_add_co_u32 v101, vcc_lo, s12, v0
	v_add_co_ci_u32_e64 v102, null, s13, v1, vcc_lo
	v_add3_u32 v8, v8, v13, v12
	v_add_co_u32 v103, vcc_lo, s14, v0
	v_add_co_ci_u32_e64 v104, null, s15, v1, vcc_lo
	v_add3_u32 v10, v10, v14, v11
	v_add_co_u32 v11, vcc_lo, v5, 14
	v_add_co_ci_u32_e64 v12, null, 0, v6, vcc_lo
	v_lshlrev_b64 v[0:1], 1, v[7:8]
	v_lshlrev_b64 v[7:8], 1, v[9:10]
	v_mul_lo_u32 v13, s11, v11
	v_mul_lo_u32 v12, s10, v12
	v_mad_u64_u32 v[9:10], null, s10, v11, 0
	v_add_co_u32 v105, vcc_lo, s12, v0
	v_add_co_ci_u32_e64 v106, null, s13, v1, vcc_lo
	v_add_co_u32 v107, vcc_lo, s14, v0
	v_add_co_ci_u32_e64 v108, null, s15, v1, vcc_lo
	;; [unrolled: 2-line block ×3, first 2 shown]
	v_add3_u32 v10, v10, v12, v13
	v_add_co_u32 v0, vcc_lo, v5, 13
	v_add_co_ci_u32_e64 v1, null, 0, v6, vcc_lo
	v_add_co_u32 v11, vcc_lo, v5, 12
	v_add_co_u32 v111, s2, s14, v7
	v_add_co_ci_u32_e64 v12, null, 0, v6, vcc_lo
	v_add_co_ci_u32_e64 v112, null, s15, v8, s2
	v_lshlrev_b64 v[7:8], 1, v[9:10]
	v_mul_lo_u32 v13, s11, v0
	v_mul_lo_u32 v14, s10, v1
	v_mad_u64_u32 v[9:10], null, s10, v0, 0
	v_mul_lo_u32 v15, s11, v11
	v_mul_lo_u32 v16, s10, v12
	v_mad_u64_u32 v[11:12], null, s10, v11, 0
	v_add_co_u32 v0, vcc_lo, s12, v7
	v_add_co_ci_u32_e64 v1, null, s13, v8, vcc_lo
	v_add_co_u32 v113, vcc_lo, s14, v7
	v_add3_u32 v10, v10, v14, v13
	v_add_co_ci_u32_e64 v114, null, s15, v8, vcc_lo
	v_add_co_u32 v13, vcc_lo, v5, 11
	v_add3_u32 v12, v12, v16, v15
	v_add_co_ci_u32_e64 v14, null, 0, v6, vcc_lo
	v_lshlrev_b64 v[7:8], 1, v[9:10]
	v_mul_lo_u32 v15, s11, v13
	v_lshlrev_b64 v[9:10], 1, v[11:12]
	v_mul_lo_u32 v14, s10, v14
	v_mad_u64_u32 v[11:12], null, s10, v13, 0
	v_add_co_u32 v115, vcc_lo, s12, v7
	v_add_co_ci_u32_e64 v116, null, s13, v8, vcc_lo
	v_add_co_u32 v117, vcc_lo, s14, v7
	v_add3_u32 v12, v12, v14, v15
	v_add_co_ci_u32_e64 v118, null, s15, v8, vcc_lo
	v_add_co_u32 v119, vcc_lo, s12, v9
	v_add_co_ci_u32_e64 v120, null, s13, v10, vcc_lo
	v_add_co_u32 v13, vcc_lo, v5, 10
	v_add_co_u32 v121, s2, s14, v9
	v_lshlrev_b64 v[7:8], 1, v[11:12]
	v_add_co_ci_u32_e64 v9, null, 0, v6, vcc_lo
	v_add_co_u32 v11, vcc_lo, v5, 9
	v_add_co_ci_u32_e64 v12, null, 0, v6, vcc_lo
	v_add_co_ci_u32_e64 v122, null, s15, v10, s2
	v_mul_lo_u32 v14, s11, v13
	v_mul_lo_u32 v15, s10, v9
	v_mad_u64_u32 v[9:10], null, s10, v13, 0
	v_mul_lo_u32 v13, s11, v11
	v_mul_lo_u32 v16, s10, v12
	v_mad_u64_u32 v[11:12], null, s10, v11, 0
	v_add_co_u32 v123, vcc_lo, s12, v7
	v_add_co_ci_u32_e64 v124, null, s13, v8, vcc_lo
	v_add_co_u32 v125, vcc_lo, s14, v7
	v_add3_u32 v10, v10, v15, v14
	v_add_co_ci_u32_e64 v126, null, s15, v8, vcc_lo
	v_add3_u32 v12, v12, v16, v13
	v_add_co_u32 v13, vcc_lo, v5, 8
	v_add_co_ci_u32_e64 v14, null, 0, v6, vcc_lo
	v_lshlrev_b64 v[7:8], 1, v[9:10]
	v_lshlrev_b64 v[9:10], 1, v[11:12]
	v_mul_lo_u32 v15, s11, v13
	v_mul_lo_u32 v14, s10, v14
	v_mad_u64_u32 v[11:12], null, s10, v13, 0
	v_add_co_u32 v127, vcc_lo, s12, v7
	v_add_co_ci_u32_e64 v128, null, s13, v8, vcc_lo
	v_add_co_u32 v129, vcc_lo, s14, v7
	v_add_co_ci_u32_e64 v130, null, s15, v8, vcc_lo
	v_add_co_u32 v131, vcc_lo, s12, v9
	v_add3_u32 v12, v12, v14, v15
	v_add_co_ci_u32_e64 v132, null, s13, v10, vcc_lo
	v_add_co_u32 v13, vcc_lo, v5, 7
	v_add_co_u32 v133, s2, s14, v9
	v_add_co_ci_u32_e64 v9, null, 0, v6, vcc_lo
	v_lshlrev_b64 v[7:8], 1, v[11:12]
	v_add_co_u32 v11, vcc_lo, v5, 6
	v_add_co_ci_u32_e64 v12, null, 0, v6, vcc_lo
	v_add_co_ci_u32_e64 v134, null, s15, v10, s2
	v_mul_lo_u32 v14, s11, v13
	v_mul_lo_u32 v15, s10, v9
	v_mad_u64_u32 v[9:10], null, s10, v13, 0
	v_mul_lo_u32 v13, s11, v11
	v_mul_lo_u32 v16, s10, v12
	v_mad_u64_u32 v[11:12], null, s10, v11, 0
	v_add_co_u32 v135, vcc_lo, s12, v7
	v_add3_u32 v10, v10, v15, v14
	v_add_co_ci_u32_e64 v136, null, s13, v8, vcc_lo
	v_add_co_u32 v137, vcc_lo, s14, v7
	v_add_co_ci_u32_e64 v138, null, s15, v8, vcc_lo
	v_add3_u32 v12, v12, v16, v13
	v_add_co_u32 v13, vcc_lo, v5, 5
	v_lshlrev_b64 v[7:8], 1, v[9:10]
	v_add_co_ci_u32_e64 v14, null, 0, v6, vcc_lo
	v_lshlrev_b64 v[9:10], 1, v[11:12]
	v_mul_lo_u32 v15, s11, v13
	v_mad_u64_u32 v[11:12], null, s10, v13, 0
	v_add_co_u32 v139, vcc_lo, s12, v7
	v_mul_lo_u32 v14, s10, v14
	v_add_co_ci_u32_e64 v140, null, s13, v8, vcc_lo
	v_add_co_u32 v141, vcc_lo, s14, v7
	v_add_co_ci_u32_e64 v142, null, s15, v8, vcc_lo
	v_add_co_u32 v143, vcc_lo, s12, v9
	;; [unrolled: 2-line block ×3, first 2 shown]
	v_add3_u32 v12, v12, v14, v15
	v_add_co_u32 v145, s2, s14, v9
	v_add_co_ci_u32_e64 v9, null, 0, v6, vcc_lo
	v_add_co_ci_u32_e64 v146, null, s15, v10, s2
	v_lshlrev_b64 v[7:8], 1, v[11:12]
	v_mul_lo_u32 v14, s11, v13
	v_add_co_u32 v11, vcc_lo, v5, 3
	v_mul_lo_u32 v15, s10, v9
	v_mad_u64_u32 v[9:10], null, s10, v13, 0
	v_add_co_ci_u32_e64 v12, null, 0, v6, vcc_lo
	v_mul_lo_u32 v13, s11, v11
	v_add_co_u32 v147, vcc_lo, s12, v7
	v_mul_lo_u32 v16, s10, v12
	v_mad_u64_u32 v[11:12], null, s10, v11, 0
	v_add3_u32 v10, v10, v15, v14
	v_add_co_ci_u32_e64 v148, null, s13, v8, vcc_lo
	v_add_co_u32 v149, vcc_lo, s14, v7
	v_add_co_ci_u32_e64 v150, null, s15, v8, vcc_lo
	v_lshlrev_b64 v[7:8], 1, v[9:10]
	v_add_co_u32 v9, vcc_lo, v5, 2
	v_add3_u32 v12, v12, v16, v13
	v_add_co_ci_u32_e64 v10, null, 0, v6, vcc_lo
	v_add_co_u32 v151, vcc_lo, s12, v7
	v_lshlrev_b64 v[5:6], 1, v[11:12]
	v_mul_lo_u32 v11, s11, v9
	v_mul_lo_u32 v12, s10, v10
	v_mad_u64_u32 v[9:10], null, s10, v9, 0
	v_add_co_ci_u32_e64 v152, null, s13, v8, vcc_lo
	v_add_co_u32 v153, vcc_lo, s14, v7
	v_add_co_ci_u32_e64 v154, null, s15, v8, vcc_lo
	v_add_co_u32 v155, vcc_lo, s12, v5
	v_add_co_ci_u32_e64 v156, null, s13, v6, vcc_lo
	v_add3_u32 v10, v10, v12, v11
	v_add_co_u32 v157, vcc_lo, s14, v5
	v_add_co_ci_u32_e64 v158, null, s15, v6, vcc_lo
	v_add_co_u32 v3, vcc_lo, v3, s10
	v_add_co_ci_u32_e64 v4, null, s11, v4, vcc_lo
	v_lshlrev_b64 v[5:6], 1, v[9:10]
	s_lshl_b64 s[2:3], s[22:23], 1
	s_mov_b64 s[22:23], 31
	v_lshlrev_b64 v[3:4], 1, v[3:4]
	v_add_co_u32 v159, vcc_lo, s12, v5
	v_add_co_ci_u32_e64 v160, null, s13, v6, vcc_lo
	v_add_co_u32 v161, vcc_lo, s14, v5
	v_add_co_ci_u32_e64 v162, null, s15, v6, vcc_lo
	v_add_co_u32 v163, vcc_lo, s12, v3
	v_add_co_ci_u32_e64 v164, null, s13, v4, vcc_lo
	v_add_co_u32 v165, vcc_lo, s14, v3
	v_add_co_ci_u32_e64 v166, null, s15, v4, vcc_lo
.LBB176_3:                              ; =>This Inner Loop Header: Depth=1
	s_add_u32 s28, s18, s22
	s_addc_u32 s29, 0, s23
	v_add_co_u32 v37, vcc_lo, s18, v39
	v_cmp_ge_i64_e64 s28, s[28:29], s[8:9]
	v_add_co_ci_u32_e64 v38, null, 0, v40, vcc_lo
                                        ; implicit-def: $vgpr3_vgpr4_vgpr5_vgpr6_vgpr7_vgpr8_vgpr9_vgpr10_vgpr11_vgpr12_vgpr13_vgpr14_vgpr15_vgpr16_vgpr17_vgpr18_vgpr19_vgpr20_vgpr21_vgpr22_vgpr23_vgpr24_vgpr25_vgpr26_vgpr27_vgpr28_vgpr29_vgpr30_vgpr31_vgpr32_vgpr33_vgpr34
                                        ; implicit-def: $vgpr202
                                        ; implicit-def: $vgpr194
                                        ; implicit-def: $vgpr3
	s_and_b32 vcc_lo, exec_lo, s28
	s_mov_b32 s28, -1
	s_cbranch_vccz .LBB176_71
; %bb.4:                                ;   in Loop: Header=BB176_3 Depth=1
	s_load_dword s28, s[20:21], 0xc
	v_mov_b32_e32 v169, 0
	v_mov_b32_e32 v168, 0
	s_waitcnt lgkmcnt(0)
	s_and_b32 s28, s28, 0xffff
	v_mad_u32_u24 v3, v223, s28, v224
	s_mov_b32 s28, exec_lo
	v_and_b32_e32 v3, 31, v3
	v_add_co_u32 v3, vcc_lo, v37, v3
	v_add_co_ci_u32_e64 v4, null, 0, v38, vcc_lo
	v_cmpx_gt_i64_e64 s[8:9], v[3:4]
	s_cbranch_execz .LBB176_6
; %bb.5:                                ;   in Loop: Header=BB176_3 Depth=1
	v_lshlrev_b64 v[3:4], 2, v[3:4]
	v_add_co_u32 v3, vcc_lo, s16, v3
	v_add_co_ci_u32_e64 v4, null, s17, v4, vcc_lo
	global_load_dword v168, v[3:4], off
.LBB176_6:                              ;   in Loop: Header=BB176_3 Depth=1
	s_or_b32 exec_lo, exec_lo, s28
	v_mov_b32_e32 v33, v2
	v_cmp_gt_i64_e32 vcc_lo, s[8:9], v[37:38]
	v_mov_b32_e32 v3, v2
	v_mov_b32_e32 v4, v2
	;; [unrolled: 1-line block ×62, first 2 shown]
	s_and_b32 s29, s1, vcc_lo
	s_and_saveexec_b32 s28, s29
	s_cbranch_execz .LBB176_8
; %bb.7:                                ;   in Loop: Header=BB176_3 Depth=1
	v_add_co_u32 v3, vcc_lo, v41, v35
	v_add_co_ci_u32_e64 v4, null, v42, v36, vcc_lo
	v_add_co_u32 v5, vcc_lo, v43, v35
	v_add_co_ci_u32_e64 v6, null, v44, v36, vcc_lo
	global_load_ushort v3, v[3:4], off
	global_load_ushort v169, v[5:6], off
	v_mov_b32_e32 v4, v2
	v_mov_b32_e32 v5, v2
	;; [unrolled: 1-line block ×31, first 2 shown]
	s_waitcnt vmcnt(1)
	v_cvt_f32_f16_e32 v3, v3
	s_waitcnt vmcnt(0)
	v_cvt_f32_f16_e32 v169, v169
.LBB176_8:                              ;   in Loop: Header=BB176_3 Depth=1
	s_or_b32 exec_lo, exec_lo, s28
	v_add_co_u32 v170, vcc_lo, v37, 1
	v_add_co_ci_u32_e64 v171, null, 0, v38, vcc_lo
	v_cmp_gt_i64_e32 vcc_lo, s[8:9], v[170:171]
	v_mov_b32_e32 v170, 0
	v_mov_b32_e32 v171, 0
	s_and_b32 s29, s1, vcc_lo
	s_and_saveexec_b32 s28, s29
	s_cbranch_execz .LBB176_10
; %bb.9:                                ;   in Loop: Header=BB176_3 Depth=1
	v_add_co_u32 v171, vcc_lo, v163, v35
	v_add_co_ci_u32_e64 v172, null, v164, v36, vcc_lo
	v_add_co_u32 v173, vcc_lo, v165, v35
	v_add_co_ci_u32_e64 v174, null, v166, v36, vcc_lo
	global_load_ushort v4, v[171:172], off
	global_load_ushort v171, v[173:174], off
	s_waitcnt vmcnt(1)
	v_cvt_f32_f16_e32 v4, v4
	s_waitcnt vmcnt(0)
	v_cvt_f32_f16_e32 v171, v171
.LBB176_10:                             ;   in Loop: Header=BB176_3 Depth=1
	s_or_b32 exec_lo, exec_lo, s28
	v_add_co_u32 v172, vcc_lo, v37, 2
	v_add_co_ci_u32_e64 v173, null, 0, v38, vcc_lo
	v_cmp_gt_i64_e32 vcc_lo, s[8:9], v[172:173]
	s_and_b32 s29, s1, vcc_lo
	s_and_saveexec_b32 s28, s29
	s_cbranch_execz .LBB176_12
; %bb.11:                               ;   in Loop: Header=BB176_3 Depth=1
	v_add_co_u32 v172, vcc_lo, v159, v35
	v_add_co_ci_u32_e64 v173, null, v160, v36, vcc_lo
	v_add_co_u32 v174, vcc_lo, v161, v35
	v_add_co_ci_u32_e64 v175, null, v162, v36, vcc_lo
	global_load_ushort v5, v[172:173], off
	global_load_ushort v170, v[174:175], off
	s_waitcnt vmcnt(1)
	v_cvt_f32_f16_e32 v5, v5
	s_waitcnt vmcnt(0)
	v_cvt_f32_f16_e32 v170, v170
.LBB176_12:                             ;   in Loop: Header=BB176_3 Depth=1
	s_or_b32 exec_lo, exec_lo, s28
	v_add_co_u32 v172, vcc_lo, v37, 3
	v_add_co_ci_u32_e64 v173, null, 0, v38, vcc_lo
	v_cmp_gt_i64_e32 vcc_lo, s[8:9], v[172:173]
	v_mov_b32_e32 v172, 0
	v_mov_b32_e32 v173, 0
	s_and_b32 s29, s1, vcc_lo
	s_and_saveexec_b32 s28, s29
	s_cbranch_execz .LBB176_14
; %bb.13:                               ;   in Loop: Header=BB176_3 Depth=1
	v_add_co_u32 v173, vcc_lo, v155, v35
	v_add_co_ci_u32_e64 v174, null, v156, v36, vcc_lo
	v_add_co_u32 v175, vcc_lo, v157, v35
	v_add_co_ci_u32_e64 v176, null, v158, v36, vcc_lo
	global_load_ushort v6, v[173:174], off
	global_load_ushort v173, v[175:176], off
	s_waitcnt vmcnt(1)
	v_cvt_f32_f16_e32 v6, v6
	s_waitcnt vmcnt(0)
	v_cvt_f32_f16_e32 v173, v173
.LBB176_14:                             ;   in Loop: Header=BB176_3 Depth=1
	s_or_b32 exec_lo, exec_lo, s28
	v_add_co_u32 v174, vcc_lo, v37, 4
	v_add_co_ci_u32_e64 v175, null, 0, v38, vcc_lo
	v_cmp_gt_i64_e32 vcc_lo, s[8:9], v[174:175]
	s_and_b32 s29, s1, vcc_lo
	s_and_saveexec_b32 s28, s29
	s_cbranch_execz .LBB176_16
; %bb.15:                               ;   in Loop: Header=BB176_3 Depth=1
	v_add_co_u32 v174, vcc_lo, v151, v35
	v_add_co_ci_u32_e64 v175, null, v152, v36, vcc_lo
	v_add_co_u32 v176, vcc_lo, v153, v35
	v_add_co_ci_u32_e64 v177, null, v154, v36, vcc_lo
	global_load_ushort v7, v[174:175], off
	global_load_ushort v172, v[176:177], off
	s_waitcnt vmcnt(1)
	v_cvt_f32_f16_e32 v7, v7
	s_waitcnt vmcnt(0)
	v_cvt_f32_f16_e32 v172, v172
.LBB176_16:                             ;   in Loop: Header=BB176_3 Depth=1
	s_or_b32 exec_lo, exec_lo, s28
	v_add_co_u32 v174, vcc_lo, v37, 5
	v_add_co_ci_u32_e64 v175, null, 0, v38, vcc_lo
	v_cmp_gt_i64_e32 vcc_lo, s[8:9], v[174:175]
	v_mov_b32_e32 v174, 0
	v_mov_b32_e32 v175, 0
	s_and_b32 s29, s1, vcc_lo
	s_and_saveexec_b32 s28, s29
	s_cbranch_execz .LBB176_18
; %bb.17:                               ;   in Loop: Header=BB176_3 Depth=1
	v_add_co_u32 v175, vcc_lo, v147, v35
	v_add_co_ci_u32_e64 v176, null, v148, v36, vcc_lo
	v_add_co_u32 v177, vcc_lo, v149, v35
	v_add_co_ci_u32_e64 v178, null, v150, v36, vcc_lo
	global_load_ushort v8, v[175:176], off
	global_load_ushort v175, v[177:178], off
	s_waitcnt vmcnt(1)
	v_cvt_f32_f16_e32 v8, v8
	s_waitcnt vmcnt(0)
	v_cvt_f32_f16_e32 v175, v175
.LBB176_18:                             ;   in Loop: Header=BB176_3 Depth=1
	;; [unrolled: 40-line block ×11, first 2 shown]
	s_or_b32 exec_lo, exec_lo, s28
	v_add_co_u32 v194, vcc_lo, v37, 24
	v_add_co_ci_u32_e64 v195, null, 0, v38, vcc_lo
	v_cmp_gt_i64_e32 vcc_lo, s[8:9], v[194:195]
	s_and_b32 s29, s1, vcc_lo
	s_and_saveexec_b32 s28, s29
	s_cbranch_execz .LBB176_56
; %bb.55:                               ;   in Loop: Header=BB176_3 Depth=1
	v_add_co_u32 v194, vcc_lo, v73, v35
	v_add_co_ci_u32_e64 v195, null, v74, v36, vcc_lo
	v_add_co_u32 v196, vcc_lo, v75, v35
	v_add_co_ci_u32_e64 v197, null, v76, v36, vcc_lo
	global_load_ushort v27, v[194:195], off
	global_load_ushort v192, v[196:197], off
	s_waitcnt vmcnt(1)
	v_cvt_f32_f16_e32 v27, v27
	s_waitcnt vmcnt(0)
	v_cvt_f32_f16_e32 v192, v192
.LBB176_56:                             ;   in Loop: Header=BB176_3 Depth=1
	s_or_b32 exec_lo, exec_lo, s28
	v_add_co_u32 v194, vcc_lo, v37, 25
	v_add_co_ci_u32_e64 v195, null, 0, v38, vcc_lo
	v_mov_b32_e32 v196, 0
	v_cmp_gt_i64_e32 vcc_lo, s[8:9], v[194:195]
	v_mov_b32_e32 v195, 0
	s_and_b32 s29, s1, vcc_lo
	s_and_saveexec_b32 s28, s29
	s_cbranch_execz .LBB176_58
; %bb.57:                               ;   in Loop: Header=BB176_3 Depth=1
	v_add_co_u32 v196, vcc_lo, v69, v35
	v_add_co_ci_u32_e64 v197, null, v70, v36, vcc_lo
	v_add_co_u32 v198, vcc_lo, v71, v35
	v_add_co_ci_u32_e64 v199, null, v72, v36, vcc_lo
	global_load_ushort v28, v[196:197], off
	global_load_ushort v194, v[198:199], off
	s_waitcnt vmcnt(1)
	v_cvt_f32_f16_e32 v28, v28
	s_waitcnt vmcnt(0)
	v_cvt_f32_f16_e32 v196, v194
.LBB176_58:                             ;   in Loop: Header=BB176_3 Depth=1
	s_or_b32 exec_lo, exec_lo, s28
	v_add_co_u32 v197, vcc_lo, v37, 26
	v_add_co_ci_u32_e64 v198, null, 0, v38, vcc_lo
	v_cmp_gt_i64_e32 vcc_lo, s[8:9], v[197:198]
	s_and_b32 s29, s1, vcc_lo
	s_and_saveexec_b32 s28, s29
	s_cbranch_execz .LBB176_60
; %bb.59:                               ;   in Loop: Header=BB176_3 Depth=1
	v_add_co_u32 v194, vcc_lo, v65, v35
	v_add_co_ci_u32_e64 v195, null, v66, v36, vcc_lo
	v_add_co_u32 v197, vcc_lo, v67, v35
	v_add_co_ci_u32_e64 v198, null, v68, v36, vcc_lo
	global_load_ushort v29, v[194:195], off
	global_load_ushort v194, v[197:198], off
	s_waitcnt vmcnt(1)
	v_cvt_f32_f16_e32 v29, v29
	s_waitcnt vmcnt(0)
	v_cvt_f32_f16_e32 v195, v194
.LBB176_60:                             ;   in Loop: Header=BB176_3 Depth=1
	s_or_b32 exec_lo, exec_lo, s28
	v_add_co_u32 v197, vcc_lo, v37, 27
	v_add_co_ci_u32_e64 v198, null, 0, v38, vcc_lo
	v_cmp_gt_i64_e32 vcc_lo, s[8:9], v[197:198]
	v_mov_b32_e32 v197, 0
	v_mov_b32_e32 v198, 0
	s_and_b32 s29, s1, vcc_lo
	s_and_saveexec_b32 s28, s29
	s_cbranch_execz .LBB176_62
; %bb.61:                               ;   in Loop: Header=BB176_3 Depth=1
	v_add_co_u32 v198, vcc_lo, v61, v35
	v_add_co_ci_u32_e64 v199, null, v62, v36, vcc_lo
	v_add_co_u32 v200, vcc_lo, v63, v35
	v_add_co_ci_u32_e64 v201, null, v64, v36, vcc_lo
	global_load_ushort v30, v[198:199], off
	global_load_ushort v194, v[200:201], off
	s_waitcnt vmcnt(1)
	v_cvt_f32_f16_e32 v30, v30
	s_waitcnt vmcnt(0)
	v_cvt_f32_f16_e32 v198, v194
.LBB176_62:                             ;   in Loop: Header=BB176_3 Depth=1
	s_or_b32 exec_lo, exec_lo, s28
	v_add_co_u32 v199, vcc_lo, v37, 28
	v_add_co_ci_u32_e64 v200, null, 0, v38, vcc_lo
	v_cmp_gt_i64_e32 vcc_lo, s[8:9], v[199:200]
	s_and_b32 s29, s1, vcc_lo
	s_and_saveexec_b32 s28, s29
	s_cbranch_execz .LBB176_64
; %bb.63:                               ;   in Loop: Header=BB176_3 Depth=1
	v_add_co_u32 v199, vcc_lo, v57, v35
	v_add_co_ci_u32_e64 v200, null, v58, v36, vcc_lo
	v_add_co_u32 v201, vcc_lo, v59, v35
	v_add_co_ci_u32_e64 v202, null, v60, v36, vcc_lo
	global_load_ushort v31, v[199:200], off
	global_load_ushort v194, v[201:202], off
	s_waitcnt vmcnt(1)
	v_cvt_f32_f16_e32 v31, v31
	s_waitcnt vmcnt(0)
	v_cvt_f32_f16_e32 v197, v194
.LBB176_64:                             ;   in Loop: Header=BB176_3 Depth=1
	s_or_b32 exec_lo, exec_lo, s28
	v_add_co_u32 v199, vcc_lo, v37, 29
	v_add_co_ci_u32_e64 v200, null, 0, v38, vcc_lo
	v_cmp_gt_i64_e32 vcc_lo, s[8:9], v[199:200]
	v_mov_b32_e32 v199, 0
	v_mov_b32_e32 v200, 0
	s_and_b32 s29, s1, vcc_lo
	s_and_saveexec_b32 s28, s29
	s_cbranch_execz .LBB176_66
; %bb.65:                               ;   in Loop: Header=BB176_3 Depth=1
	v_add_co_u32 v200, vcc_lo, v53, v35
	v_add_co_ci_u32_e64 v201, null, v54, v36, vcc_lo
	v_add_co_u32 v202, vcc_lo, v55, v35
	v_add_co_ci_u32_e64 v203, null, v56, v36, vcc_lo
	global_load_ushort v32, v[200:201], off
	global_load_ushort v194, v[202:203], off
	s_waitcnt vmcnt(1)
	v_cvt_f32_f16_e32 v32, v32
	s_waitcnt vmcnt(0)
	v_cvt_f32_f16_e32 v200, v194
.LBB176_66:                             ;   in Loop: Header=BB176_3 Depth=1
	s_or_b32 exec_lo, exec_lo, s28
	v_add_co_u32 v201, vcc_lo, v37, 30
	v_add_co_ci_u32_e64 v202, null, 0, v38, vcc_lo
	v_cmp_gt_i64_e32 vcc_lo, s[8:9], v[201:202]
	s_and_b32 s29, s1, vcc_lo
	s_and_saveexec_b32 s28, s29
	s_cbranch_execz .LBB176_68
; %bb.67:                               ;   in Loop: Header=BB176_3 Depth=1
	v_add_co_u32 v201, vcc_lo, v49, v35
	v_add_co_ci_u32_e64 v202, null, v50, v36, vcc_lo
	v_add_co_u32 v203, vcc_lo, v51, v35
	v_add_co_ci_u32_e64 v204, null, v52, v36, vcc_lo
	global_load_ushort v33, v[201:202], off
	global_load_ushort v194, v[203:204], off
	s_waitcnt vmcnt(1)
	v_cvt_f32_f16_e32 v33, v33
	s_waitcnt vmcnt(0)
	v_cvt_f32_f16_e32 v199, v194
.LBB176_68:                             ;   in Loop: Header=BB176_3 Depth=1
	s_or_b32 exec_lo, exec_lo, s28
	v_add_co_u32 v201, vcc_lo, v37, 31
	v_add_co_ci_u32_e64 v202, null, 0, v38, vcc_lo
	v_mov_b32_e32 v194, 0
	v_cmp_gt_i64_e32 vcc_lo, s[8:9], v[201:202]
	s_and_b32 s29, s1, vcc_lo
	s_and_saveexec_b32 s28, s29
	s_cbranch_execz .LBB176_70
; %bb.69:                               ;   in Loop: Header=BB176_3 Depth=1
	v_add_co_u32 v201, vcc_lo, v45, v35
	v_add_co_ci_u32_e64 v202, null, v46, v36, vcc_lo
	v_add_co_u32 v203, vcc_lo, v47, v35
	v_add_co_ci_u32_e64 v204, null, v48, v36, vcc_lo
	global_load_ushort v34, v[201:202], off
	global_load_ushort v194, v[203:204], off
	s_waitcnt vmcnt(1)
	v_cvt_f32_f16_e32 v34, v34
	s_waitcnt vmcnt(0)
	v_cvt_f32_f16_e32 v194, v194
.LBB176_70:                             ;   in Loop: Header=BB176_3 Depth=1
	s_or_b32 exec_lo, exec_lo, s28
	s_waitcnt vmcnt(0)
	ds_bpermute_b32 v201, v2, v168
	ds_bpermute_b32 v203, v2, v168 offset:4
	ds_bpermute_b32 v204, v2, v168 offset:8
	v_mul_f32_e32 v3, v169, v3
	ds_bpermute_b32 v169, v2, v168 offset:12
	v_mul_f32_e32 v4, v171, v4
	ds_bpermute_b32 v171, v2, v168 offset:16
	s_mov_b32 s28, 0
	s_waitcnt lgkmcnt(4)
	v_fma_f32 v202, v3, v201, v167
	v_mul_f32_e32 v3, v170, v5
	ds_bpermute_b32 v5, v2, v168 offset:20
	s_waitcnt lgkmcnt(4)
	v_fmac_f32_e32 v202, v4, v203
	v_mul_f32_e32 v4, v173, v6
	ds_bpermute_b32 v6, v2, v168 offset:24
	s_waitcnt lgkmcnt(4)
	v_fmac_f32_e32 v202, v3, v204
	;; [unrolled: 4-line block ×27, first 2 shown]
	v_mul_f32_e32 v4, v200, v32
	s_waitcnt lgkmcnt(3)
	v_fmac_f32_e32 v202, v6, v8
	s_waitcnt lgkmcnt(2)
	v_fmac_f32_e32 v202, v4, v9
	v_mul_f32_e32 v4, v199, v33
	s_waitcnt lgkmcnt(1)
	v_fmac_f32_e32 v202, v4, v5
.LBB176_71:                             ;   in Loop: Header=BB176_3 Depth=1
	s_and_b32 vcc_lo, exec_lo, s28
	s_cbranch_vccz .LBB176_137
; %bb.72:                               ;   in Loop: Header=BB176_3 Depth=1
	s_load_dword s28, s[20:21], 0x0
	s_waitcnt lgkmcnt(0)
	s_cmp_lt_u32 s6, s28
	s_cselect_b32 s28, 12, 18
	s_add_u32 s28, s20, s28
	s_addc_u32 s29, s21, 0
	global_load_ushort v3, v2, s[28:29]
	s_mov_b32 s28, exec_lo
	s_waitcnt vmcnt(0)
	v_mad_u32_u24 v3, v223, v3, v224
	v_and_b32_e32 v3, 31, v3
	v_add_co_u32 v3, vcc_lo, v37, v3
	v_add_co_ci_u32_e64 v4, null, 0, v38, vcc_lo
	v_mov_b32_e32 v38, 0
	v_mov_b32_e32 v37, 0
	v_cmpx_gt_i64_e64 s[8:9], v[3:4]
	s_cbranch_execz .LBB176_74
; %bb.73:                               ;   in Loop: Header=BB176_3 Depth=1
	v_lshlrev_b64 v[3:4], 2, v[3:4]
	v_add_co_u32 v3, vcc_lo, s16, v3
	v_add_co_ci_u32_e64 v4, null, s17, v4, vcc_lo
	global_load_dword v37, v[3:4], off
.LBB176_74:                             ;   in Loop: Header=BB176_3 Depth=1
	s_or_b32 exec_lo, exec_lo, s28
	v_mov_b32_e32 v33, v2
	v_mov_b32_e32 v3, v2
	;; [unrolled: 1-line block ×63, first 2 shown]
	s_and_saveexec_b32 s28, s1
	s_cbranch_execz .LBB176_76
; %bb.75:                               ;   in Loop: Header=BB176_3 Depth=1
	v_add_co_u32 v3, vcc_lo, v41, v35
	v_add_co_ci_u32_e64 v4, null, v42, v36, vcc_lo
	v_add_co_u32 v5, vcc_lo, v43, v35
	v_add_co_ci_u32_e64 v6, null, v44, v36, vcc_lo
	global_load_ushort v3, v[3:4], off
	global_load_ushort v38, v[5:6], off
	v_mov_b32_e32 v4, v2
	v_mov_b32_e32 v5, v2
	;; [unrolled: 1-line block ×31, first 2 shown]
	s_waitcnt vmcnt(1)
	v_cvt_f32_f16_e32 v3, v3
	s_waitcnt vmcnt(0)
	v_cvt_f32_f16_e32 v38, v38
.LBB176_76:                             ;   in Loop: Header=BB176_3 Depth=1
	s_or_b32 exec_lo, exec_lo, s28
	v_mov_b32_e32 v168, 0
	v_mov_b32_e32 v169, 0
	s_and_saveexec_b32 s28, s1
	s_cbranch_execz .LBB176_78
; %bb.77:                               ;   in Loop: Header=BB176_3 Depth=1
	v_add_co_u32 v169, vcc_lo, v163, v35
	v_add_co_ci_u32_e64 v170, null, v164, v36, vcc_lo
	v_add_co_u32 v171, vcc_lo, v165, v35
	v_add_co_ci_u32_e64 v172, null, v166, v36, vcc_lo
	global_load_ushort v4, v[169:170], off
	global_load_ushort v169, v[171:172], off
	s_waitcnt vmcnt(1)
	v_cvt_f32_f16_e32 v4, v4
	s_waitcnt vmcnt(0)
	v_cvt_f32_f16_e32 v169, v169
.LBB176_78:                             ;   in Loop: Header=BB176_3 Depth=1
	s_or_b32 exec_lo, exec_lo, s28
	s_and_saveexec_b32 s28, s1
	s_cbranch_execz .LBB176_80
; %bb.79:                               ;   in Loop: Header=BB176_3 Depth=1
	v_add_co_u32 v170, vcc_lo, v159, v35
	v_add_co_ci_u32_e64 v171, null, v160, v36, vcc_lo
	v_add_co_u32 v172, vcc_lo, v161, v35
	v_add_co_ci_u32_e64 v173, null, v162, v36, vcc_lo
	global_load_ushort v5, v[170:171], off
	global_load_ushort v168, v[172:173], off
	s_waitcnt vmcnt(1)
	v_cvt_f32_f16_e32 v5, v5
	s_waitcnt vmcnt(0)
	v_cvt_f32_f16_e32 v168, v168
.LBB176_80:                             ;   in Loop: Header=BB176_3 Depth=1
	s_or_b32 exec_lo, exec_lo, s28
	v_mov_b32_e32 v170, 0
	v_mov_b32_e32 v171, 0
	s_and_saveexec_b32 s28, s1
	s_cbranch_execz .LBB176_82
; %bb.81:                               ;   in Loop: Header=BB176_3 Depth=1
	v_add_co_u32 v171, vcc_lo, v155, v35
	v_add_co_ci_u32_e64 v172, null, v156, v36, vcc_lo
	v_add_co_u32 v173, vcc_lo, v157, v35
	v_add_co_ci_u32_e64 v174, null, v158, v36, vcc_lo
	global_load_ushort v6, v[171:172], off
	global_load_ushort v171, v[173:174], off
	s_waitcnt vmcnt(1)
	v_cvt_f32_f16_e32 v6, v6
	s_waitcnt vmcnt(0)
	v_cvt_f32_f16_e32 v171, v171
.LBB176_82:                             ;   in Loop: Header=BB176_3 Depth=1
	s_or_b32 exec_lo, exec_lo, s28
	s_and_saveexec_b32 s28, s1
	s_cbranch_execz .LBB176_84
; %bb.83:                               ;   in Loop: Header=BB176_3 Depth=1
	v_add_co_u32 v172, vcc_lo, v151, v35
	v_add_co_ci_u32_e64 v173, null, v152, v36, vcc_lo
	v_add_co_u32 v174, vcc_lo, v153, v35
	v_add_co_ci_u32_e64 v175, null, v154, v36, vcc_lo
	global_load_ushort v7, v[172:173], off
	global_load_ushort v170, v[174:175], off
	s_waitcnt vmcnt(1)
	v_cvt_f32_f16_e32 v7, v7
	s_waitcnt vmcnt(0)
	v_cvt_f32_f16_e32 v170, v170
.LBB176_84:                             ;   in Loop: Header=BB176_3 Depth=1
	;; [unrolled: 32-line block ×5, first 2 shown]
	s_or_b32 exec_lo, exec_lo, s28
	v_mov_b32_e32 v178, 0
	v_mov_b32_e32 v179, 0
	s_and_saveexec_b32 s28, s1
	s_cbranch_execz .LBB176_98
; %bb.97:                               ;   in Loop: Header=BB176_3 Depth=1
	v_add_co_u32 v179, vcc_lo, v123, v35
	v_add_co_ci_u32_e64 v180, null, v124, v36, vcc_lo
	v_add_co_u32 v181, vcc_lo, v125, v35
	v_add_co_ci_u32_e64 v182, null, v126, v36, vcc_lo
	global_load_ushort v14, v[179:180], off
	global_load_ushort v179, v[181:182], off
	s_waitcnt vmcnt(1)
	v_cvt_f32_f16_e32 v14, v14
	s_waitcnt vmcnt(0)
	v_cvt_f32_f16_e32 v179, v179
.LBB176_98:                             ;   in Loop: Header=BB176_3 Depth=1
	s_or_b32 exec_lo, exec_lo, s28
	s_and_saveexec_b32 s28, s1
	s_cbranch_execz .LBB176_100
; %bb.99:                               ;   in Loop: Header=BB176_3 Depth=1
	v_add_co_u32 v180, vcc_lo, v119, v35
	v_add_co_ci_u32_e64 v181, null, v120, v36, vcc_lo
	v_add_co_u32 v182, vcc_lo, v121, v35
	v_add_co_ci_u32_e64 v183, null, v122, v36, vcc_lo
	global_load_ushort v15, v[180:181], off
	global_load_ushort v178, v[182:183], off
	s_waitcnt vmcnt(1)
	v_cvt_f32_f16_e32 v15, v15
	s_waitcnt vmcnt(0)
	v_cvt_f32_f16_e32 v178, v178
.LBB176_100:                            ;   in Loop: Header=BB176_3 Depth=1
	s_or_b32 exec_lo, exec_lo, s28
	v_mov_b32_e32 v180, 0
	v_mov_b32_e32 v181, 0
	s_and_saveexec_b32 s28, s1
	s_cbranch_execz .LBB176_102
; %bb.101:                              ;   in Loop: Header=BB176_3 Depth=1
	v_add_co_u32 v181, vcc_lo, v115, v35
	v_add_co_ci_u32_e64 v182, null, v116, v36, vcc_lo
	v_add_co_u32 v183, vcc_lo, v117, v35
	v_add_co_ci_u32_e64 v184, null, v118, v36, vcc_lo
	global_load_ushort v16, v[181:182], off
	global_load_ushort v181, v[183:184], off
	s_waitcnt vmcnt(1)
	v_cvt_f32_f16_e32 v16, v16
	s_waitcnt vmcnt(0)
	v_cvt_f32_f16_e32 v181, v181
.LBB176_102:                            ;   in Loop: Header=BB176_3 Depth=1
	s_or_b32 exec_lo, exec_lo, s28
	s_and_saveexec_b32 s28, s1
	s_cbranch_execz .LBB176_104
; %bb.103:                              ;   in Loop: Header=BB176_3 Depth=1
	v_add_co_u32 v182, vcc_lo, v0, v35
	v_add_co_ci_u32_e64 v183, null, v1, v36, vcc_lo
	v_add_co_u32 v184, vcc_lo, v113, v35
	v_add_co_ci_u32_e64 v185, null, v114, v36, vcc_lo
	global_load_ushort v17, v[182:183], off
	global_load_ushort v180, v[184:185], off
	s_waitcnt vmcnt(1)
	v_cvt_f32_f16_e32 v17, v17
	s_waitcnt vmcnt(0)
	v_cvt_f32_f16_e32 v180, v180
.LBB176_104:                            ;   in Loop: Header=BB176_3 Depth=1
	s_or_b32 exec_lo, exec_lo, s28
	v_mov_b32_e32 v182, 0
	v_mov_b32_e32 v183, 0
	s_and_saveexec_b32 s28, s1
	s_cbranch_execz .LBB176_106
; %bb.105:                              ;   in Loop: Header=BB176_3 Depth=1
	v_add_co_u32 v183, vcc_lo, v109, v35
	v_add_co_ci_u32_e64 v184, null, v110, v36, vcc_lo
	v_add_co_u32 v185, vcc_lo, v111, v35
	v_add_co_ci_u32_e64 v186, null, v112, v36, vcc_lo
	global_load_ushort v18, v[183:184], off
	global_load_ushort v183, v[185:186], off
	s_waitcnt vmcnt(1)
	v_cvt_f32_f16_e32 v18, v18
	s_waitcnt vmcnt(0)
	v_cvt_f32_f16_e32 v183, v183
.LBB176_106:                            ;   in Loop: Header=BB176_3 Depth=1
	s_or_b32 exec_lo, exec_lo, s28
	s_and_saveexec_b32 s28, s1
	s_cbranch_execz .LBB176_108
; %bb.107:                              ;   in Loop: Header=BB176_3 Depth=1
	v_add_co_u32 v184, vcc_lo, v105, v35
	v_add_co_ci_u32_e64 v185, null, v106, v36, vcc_lo
	v_add_co_u32 v186, vcc_lo, v107, v35
	v_add_co_ci_u32_e64 v187, null, v108, v36, vcc_lo
	global_load_ushort v19, v[184:185], off
	global_load_ushort v182, v[186:187], off
	s_waitcnt vmcnt(1)
	v_cvt_f32_f16_e32 v19, v19
	s_waitcnt vmcnt(0)
	v_cvt_f32_f16_e32 v182, v182
.LBB176_108:                            ;   in Loop: Header=BB176_3 Depth=1
	s_or_b32 exec_lo, exec_lo, s28
	v_mov_b32_e32 v184, 0
	v_mov_b32_e32 v185, 0
	s_and_saveexec_b32 s28, s1
	s_cbranch_execz .LBB176_110
; %bb.109:                              ;   in Loop: Header=BB176_3 Depth=1
	v_add_co_u32 v185, vcc_lo, v101, v35
	v_add_co_ci_u32_e64 v186, null, v102, v36, vcc_lo
	v_add_co_u32 v187, vcc_lo, v103, v35
	v_add_co_ci_u32_e64 v188, null, v104, v36, vcc_lo
	global_load_ushort v20, v[185:186], off
	global_load_ushort v185, v[187:188], off
	s_waitcnt vmcnt(1)
	v_cvt_f32_f16_e32 v20, v20
	s_waitcnt vmcnt(0)
	v_cvt_f32_f16_e32 v185, v185
.LBB176_110:                            ;   in Loop: Header=BB176_3 Depth=1
	s_or_b32 exec_lo, exec_lo, s28
	s_and_saveexec_b32 s28, s1
	s_cbranch_execz .LBB176_112
; %bb.111:                              ;   in Loop: Header=BB176_3 Depth=1
	v_add_co_u32 v186, vcc_lo, v97, v35
	v_add_co_ci_u32_e64 v187, null, v98, v36, vcc_lo
	v_add_co_u32 v188, vcc_lo, v99, v35
	v_add_co_ci_u32_e64 v189, null, v100, v36, vcc_lo
	global_load_ushort v21, v[186:187], off
	global_load_ushort v184, v[188:189], off
	s_waitcnt vmcnt(1)
	v_cvt_f32_f16_e32 v21, v21
	s_waitcnt vmcnt(0)
	v_cvt_f32_f16_e32 v184, v184
.LBB176_112:                            ;   in Loop: Header=BB176_3 Depth=1
	s_or_b32 exec_lo, exec_lo, s28
	v_mov_b32_e32 v186, 0
	v_mov_b32_e32 v187, 0
	s_and_saveexec_b32 s28, s1
	s_cbranch_execz .LBB176_114
; %bb.113:                              ;   in Loop: Header=BB176_3 Depth=1
	v_add_co_u32 v187, vcc_lo, v93, v35
	v_add_co_ci_u32_e64 v188, null, v94, v36, vcc_lo
	v_add_co_u32 v189, vcc_lo, v95, v35
	v_add_co_ci_u32_e64 v190, null, v96, v36, vcc_lo
	global_load_ushort v22, v[187:188], off
	global_load_ushort v187, v[189:190], off
	s_waitcnt vmcnt(1)
	v_cvt_f32_f16_e32 v22, v22
	s_waitcnt vmcnt(0)
	v_cvt_f32_f16_e32 v187, v187
.LBB176_114:                            ;   in Loop: Header=BB176_3 Depth=1
	s_or_b32 exec_lo, exec_lo, s28
	s_and_saveexec_b32 s28, s1
	s_cbranch_execz .LBB176_116
; %bb.115:                              ;   in Loop: Header=BB176_3 Depth=1
	v_add_co_u32 v188, vcc_lo, v89, v35
	v_add_co_ci_u32_e64 v189, null, v90, v36, vcc_lo
	v_add_co_u32 v190, vcc_lo, v91, v35
	v_add_co_ci_u32_e64 v191, null, v92, v36, vcc_lo
	global_load_ushort v23, v[188:189], off
	global_load_ushort v186, v[190:191], off
	s_waitcnt vmcnt(1)
	v_cvt_f32_f16_e32 v23, v23
	s_waitcnt vmcnt(0)
	v_cvt_f32_f16_e32 v186, v186
.LBB176_116:                            ;   in Loop: Header=BB176_3 Depth=1
	s_or_b32 exec_lo, exec_lo, s28
	v_mov_b32_e32 v188, 0
	v_mov_b32_e32 v189, 0
	s_and_saveexec_b32 s28, s1
	s_cbranch_execz .LBB176_118
; %bb.117:                              ;   in Loop: Header=BB176_3 Depth=1
	v_add_co_u32 v189, vcc_lo, v85, v35
	v_add_co_ci_u32_e64 v190, null, v86, v36, vcc_lo
	v_add_co_u32 v191, vcc_lo, v87, v35
	v_add_co_ci_u32_e64 v192, null, v88, v36, vcc_lo
	global_load_ushort v24, v[189:190], off
	global_load_ushort v189, v[191:192], off
	s_waitcnt vmcnt(1)
	v_cvt_f32_f16_e32 v24, v24
	s_waitcnt vmcnt(0)
	v_cvt_f32_f16_e32 v189, v189
.LBB176_118:                            ;   in Loop: Header=BB176_3 Depth=1
	s_or_b32 exec_lo, exec_lo, s28
	s_and_saveexec_b32 s28, s1
	s_cbranch_execz .LBB176_120
; %bb.119:                              ;   in Loop: Header=BB176_3 Depth=1
	v_add_co_u32 v190, vcc_lo, v81, v35
	v_add_co_ci_u32_e64 v191, null, v82, v36, vcc_lo
	v_add_co_u32 v192, vcc_lo, v83, v35
	v_add_co_ci_u32_e64 v193, null, v84, v36, vcc_lo
	global_load_ushort v25, v[190:191], off
	global_load_ushort v188, v[192:193], off
	s_waitcnt vmcnt(1)
	v_cvt_f32_f16_e32 v25, v25
	s_waitcnt vmcnt(0)
	v_cvt_f32_f16_e32 v188, v188
.LBB176_120:                            ;   in Loop: Header=BB176_3 Depth=1
	s_or_b32 exec_lo, exec_lo, s28
	v_mov_b32_e32 v190, 0
	v_mov_b32_e32 v191, 0
	s_and_saveexec_b32 s28, s1
	s_cbranch_execz .LBB176_122
; %bb.121:                              ;   in Loop: Header=BB176_3 Depth=1
	v_add_co_u32 v191, vcc_lo, v77, v35
	v_add_co_ci_u32_e64 v192, null, v78, v36, vcc_lo
	v_add_co_u32 v193, vcc_lo, v79, v35
	v_add_co_ci_u32_e64 v194, null, v80, v36, vcc_lo
	global_load_ushort v26, v[191:192], off
	global_load_ushort v191, v[193:194], off
	s_waitcnt vmcnt(1)
	v_cvt_f32_f16_e32 v26, v26
	s_waitcnt vmcnt(0)
	v_cvt_f32_f16_e32 v191, v191
.LBB176_122:                            ;   in Loop: Header=BB176_3 Depth=1
	s_or_b32 exec_lo, exec_lo, s28
	s_and_saveexec_b32 s28, s1
	s_cbranch_execz .LBB176_124
; %bb.123:                              ;   in Loop: Header=BB176_3 Depth=1
	v_add_co_u32 v192, vcc_lo, v73, v35
	v_add_co_ci_u32_e64 v193, null, v74, v36, vcc_lo
	v_add_co_u32 v194, vcc_lo, v75, v35
	v_add_co_ci_u32_e64 v195, null, v76, v36, vcc_lo
	global_load_ushort v27, v[192:193], off
	global_load_ushort v190, v[194:195], off
	s_waitcnt vmcnt(1)
	v_cvt_f32_f16_e32 v27, v27
	s_waitcnt vmcnt(0)
	v_cvt_f32_f16_e32 v190, v190
.LBB176_124:                            ;   in Loop: Header=BB176_3 Depth=1
	s_or_b32 exec_lo, exec_lo, s28
	v_mov_b32_e32 v192, 0
	v_mov_b32_e32 v193, 0
	s_and_saveexec_b32 s28, s1
	s_cbranch_execz .LBB176_126
; %bb.125:                              ;   in Loop: Header=BB176_3 Depth=1
	v_add_co_u32 v193, vcc_lo, v69, v35
	v_add_co_ci_u32_e64 v194, null, v70, v36, vcc_lo
	v_add_co_u32 v195, vcc_lo, v71, v35
	v_add_co_ci_u32_e64 v196, null, v72, v36, vcc_lo
	global_load_ushort v28, v[193:194], off
	global_load_ushort v193, v[195:196], off
	s_waitcnt vmcnt(1)
	v_cvt_f32_f16_e32 v28, v28
	s_waitcnt vmcnt(0)
	v_cvt_f32_f16_e32 v193, v193
.LBB176_126:                            ;   in Loop: Header=BB176_3 Depth=1
	s_or_b32 exec_lo, exec_lo, s28
	s_and_saveexec_b32 s28, s1
	s_cbranch_execz .LBB176_128
; %bb.127:                              ;   in Loop: Header=BB176_3 Depth=1
	v_add_co_u32 v194, vcc_lo, v65, v35
	v_add_co_ci_u32_e64 v195, null, v66, v36, vcc_lo
	v_add_co_u32 v196, vcc_lo, v67, v35
	v_add_co_ci_u32_e64 v197, null, v68, v36, vcc_lo
	global_load_ushort v29, v[194:195], off
	global_load_ushort v192, v[196:197], off
	s_waitcnt vmcnt(1)
	v_cvt_f32_f16_e32 v29, v29
	s_waitcnt vmcnt(0)
	v_cvt_f32_f16_e32 v192, v192
.LBB176_128:                            ;   in Loop: Header=BB176_3 Depth=1
	s_or_b32 exec_lo, exec_lo, s28
	v_mov_b32_e32 v195, 0
	v_mov_b32_e32 v196, 0
	s_and_saveexec_b32 s28, s1
	s_cbranch_execz .LBB176_130
; %bb.129:                              ;   in Loop: Header=BB176_3 Depth=1
	v_add_co_u32 v196, vcc_lo, v61, v35
	v_add_co_ci_u32_e64 v197, null, v62, v36, vcc_lo
	v_add_co_u32 v198, vcc_lo, v63, v35
	v_add_co_ci_u32_e64 v199, null, v64, v36, vcc_lo
	global_load_ushort v30, v[196:197], off
	global_load_ushort v194, v[198:199], off
	s_waitcnt vmcnt(1)
	v_cvt_f32_f16_e32 v30, v30
	s_waitcnt vmcnt(0)
	v_cvt_f32_f16_e32 v196, v194
.LBB176_130:                            ;   in Loop: Header=BB176_3 Depth=1
	s_or_b32 exec_lo, exec_lo, s28
	s_and_saveexec_b32 s28, s1
	s_cbranch_execz .LBB176_132
; %bb.131:                              ;   in Loop: Header=BB176_3 Depth=1
	v_add_co_u32 v194, vcc_lo, v57, v35
	v_add_co_ci_u32_e64 v195, null, v58, v36, vcc_lo
	v_add_co_u32 v197, vcc_lo, v59, v35
	v_add_co_ci_u32_e64 v198, null, v60, v36, vcc_lo
	global_load_ushort v31, v[194:195], off
	global_load_ushort v194, v[197:198], off
	s_waitcnt vmcnt(1)
	v_cvt_f32_f16_e32 v31, v31
	s_waitcnt vmcnt(0)
	v_cvt_f32_f16_e32 v195, v194
.LBB176_132:                            ;   in Loop: Header=BB176_3 Depth=1
	s_or_b32 exec_lo, exec_lo, s28
	v_mov_b32_e32 v197, 0
	v_mov_b32_e32 v198, 0
	s_and_saveexec_b32 s28, s1
	s_cbranch_execnz .LBB176_139
; %bb.133:                              ;   in Loop: Header=BB176_3 Depth=1
	s_or_b32 exec_lo, exec_lo, s28
	s_and_saveexec_b32 s28, s1
	s_cbranch_execnz .LBB176_140
.LBB176_134:                            ;   in Loop: Header=BB176_3 Depth=1
	s_or_b32 exec_lo, exec_lo, s28
	v_mov_b32_e32 v194, 0
	s_and_saveexec_b32 s28, s1
	s_cbranch_execz .LBB176_136
.LBB176_135:                            ;   in Loop: Header=BB176_3 Depth=1
	v_add_co_u32 v199, vcc_lo, v45, v35
	v_add_co_ci_u32_e64 v200, null, v46, v36, vcc_lo
	v_add_co_u32 v201, vcc_lo, v47, v35
	v_add_co_ci_u32_e64 v202, null, v48, v36, vcc_lo
	global_load_ushort v34, v[199:200], off
	global_load_ushort v194, v[201:202], off
	s_waitcnt vmcnt(1)
	v_cvt_f32_f16_e32 v34, v34
	s_waitcnt vmcnt(0)
	v_cvt_f32_f16_e32 v194, v194
.LBB176_136:                            ;   in Loop: Header=BB176_3 Depth=1
	s_or_b32 exec_lo, exec_lo, s28
	s_waitcnt vmcnt(0)
	ds_bpermute_b32 v199, v2, v37
	ds_bpermute_b32 v200, v2, v37 offset:4
	ds_bpermute_b32 v201, v2, v37 offset:8
	v_mul_f32_e32 v3, v38, v3
	ds_bpermute_b32 v38, v2, v37 offset:12
	v_mul_f32_e32 v4, v169, v4
	ds_bpermute_b32 v169, v2, v37 offset:16
	s_waitcnt lgkmcnt(4)
	v_fmac_f32_e32 v167, v3, v199
	v_mul_f32_e32 v3, v168, v5
	ds_bpermute_b32 v5, v2, v37 offset:20
	s_waitcnt lgkmcnt(4)
	v_fmac_f32_e32 v167, v4, v200
	v_mul_f32_e32 v4, v171, v6
	ds_bpermute_b32 v6, v2, v37 offset:24
	s_waitcnt lgkmcnt(4)
	v_fmac_f32_e32 v167, v3, v201
	v_mul_f32_e32 v3, v170, v7
	ds_bpermute_b32 v7, v2, v37 offset:28
	s_waitcnt lgkmcnt(4)
	v_fmac_f32_e32 v167, v4, v38
	v_mul_f32_e32 v4, v173, v8
	ds_bpermute_b32 v8, v2, v37 offset:32
	s_waitcnt lgkmcnt(4)
	v_fmac_f32_e32 v167, v3, v169
	v_mul_f32_e32 v3, v172, v9
	ds_bpermute_b32 v9, v2, v37 offset:36
	s_waitcnt lgkmcnt(4)
	v_fmac_f32_e32 v167, v4, v5
	v_mul_f32_e32 v4, v175, v10
	ds_bpermute_b32 v5, v2, v37 offset:40
	s_waitcnt lgkmcnt(4)
	v_fmac_f32_e32 v167, v3, v6
	v_mul_f32_e32 v3, v174, v11
	ds_bpermute_b32 v6, v2, v37 offset:44
	s_waitcnt lgkmcnt(4)
	v_fmac_f32_e32 v167, v4, v7
	v_mul_f32_e32 v4, v177, v12
	ds_bpermute_b32 v7, v2, v37 offset:48
	s_waitcnt lgkmcnt(4)
	v_fmac_f32_e32 v167, v3, v8
	v_mul_f32_e32 v3, v176, v13
	ds_bpermute_b32 v8, v2, v37 offset:52
	s_waitcnt lgkmcnt(4)
	v_fmac_f32_e32 v167, v4, v9
	v_mul_f32_e32 v4, v179, v14
	ds_bpermute_b32 v9, v2, v37 offset:56
	s_waitcnt lgkmcnt(4)
	v_fmac_f32_e32 v167, v3, v5
	v_mul_f32_e32 v3, v178, v15
	ds_bpermute_b32 v5, v2, v37 offset:60
	s_waitcnt lgkmcnt(4)
	v_fmac_f32_e32 v167, v4, v6
	v_mul_f32_e32 v4, v181, v16
	ds_bpermute_b32 v6, v2, v37 offset:64
	s_waitcnt lgkmcnt(4)
	v_fmac_f32_e32 v167, v3, v7
	v_mul_f32_e32 v3, v180, v17
	ds_bpermute_b32 v7, v2, v37 offset:68
	s_waitcnt lgkmcnt(4)
	v_fmac_f32_e32 v167, v4, v8
	v_mul_f32_e32 v4, v183, v18
	ds_bpermute_b32 v8, v2, v37 offset:72
	s_waitcnt lgkmcnt(4)
	v_fmac_f32_e32 v167, v3, v9
	v_mul_f32_e32 v3, v182, v19
	ds_bpermute_b32 v9, v2, v37 offset:76
	s_waitcnt lgkmcnt(4)
	v_fmac_f32_e32 v167, v4, v5
	v_mul_f32_e32 v4, v185, v20
	ds_bpermute_b32 v5, v2, v37 offset:80
	s_waitcnt lgkmcnt(4)
	v_fmac_f32_e32 v167, v3, v6
	v_mul_f32_e32 v3, v184, v21
	ds_bpermute_b32 v6, v2, v37 offset:84
	s_waitcnt lgkmcnt(4)
	v_fmac_f32_e32 v167, v4, v7
	v_mul_f32_e32 v4, v187, v22
	ds_bpermute_b32 v7, v2, v37 offset:88
	s_waitcnt lgkmcnt(4)
	v_fmac_f32_e32 v167, v3, v8
	v_mul_f32_e32 v3, v186, v23
	ds_bpermute_b32 v8, v2, v37 offset:92
	s_waitcnt lgkmcnt(4)
	v_fmac_f32_e32 v167, v4, v9
	v_mul_f32_e32 v4, v189, v24
	ds_bpermute_b32 v9, v2, v37 offset:96
	s_waitcnt lgkmcnt(4)
	v_fmac_f32_e32 v167, v3, v5
	v_mul_f32_e32 v3, v188, v25
	ds_bpermute_b32 v5, v2, v37 offset:100
	s_waitcnt lgkmcnt(4)
	v_fmac_f32_e32 v167, v4, v6
	v_mul_f32_e32 v4, v191, v26
	ds_bpermute_b32 v6, v2, v37 offset:104
	s_waitcnt lgkmcnt(4)
	v_fmac_f32_e32 v167, v3, v7
	v_mul_f32_e32 v3, v190, v27
	ds_bpermute_b32 v7, v2, v37 offset:108
	s_waitcnt lgkmcnt(4)
	v_fmac_f32_e32 v167, v4, v8
	v_mul_f32_e32 v4, v193, v28
	ds_bpermute_b32 v8, v2, v37 offset:112
	s_waitcnt lgkmcnt(4)
	v_fmac_f32_e32 v167, v3, v9
	v_mul_f32_e32 v3, v192, v29
	ds_bpermute_b32 v9, v2, v37 offset:116
	s_waitcnt lgkmcnt(4)
	v_fmac_f32_e32 v167, v4, v5
	v_mul_f32_e32 v4, v196, v30
	ds_bpermute_b32 v5, v2, v37 offset:120
	s_waitcnt lgkmcnt(4)
	v_fmac_f32_e32 v167, v3, v6
	v_mul_f32_e32 v3, v195, v31
	s_waitcnt lgkmcnt(3)
	v_fmac_f32_e32 v167, v4, v7
	v_mul_f32_e32 v4, v198, v32
	s_waitcnt lgkmcnt(2)
	v_fmac_f32_e32 v167, v3, v8
	ds_bpermute_b32 v3, v2, v37 offset:124
	s_waitcnt lgkmcnt(2)
	v_fmac_f32_e32 v167, v4, v9
	v_mul_f32_e32 v4, v197, v33
	s_waitcnt lgkmcnt(1)
	v_fmac_f32_e32 v167, v4, v5
	v_mov_b32_e32 v202, v167
.LBB176_137:                            ;   in Loop: Header=BB176_3 Depth=1
	v_add_co_u32 v41, vcc_lo, v41, s2
	v_add_co_ci_u32_e64 v42, null, s3, v42, vcc_lo
	v_add_co_u32 v43, vcc_lo, v43, s2
	v_add_co_ci_u32_e64 v44, null, s3, v44, vcc_lo
	;; [unrolled: 2-line block ×61, first 2 shown]
	v_add_co_u32 v161, vcc_lo, v161, s2
	s_add_u32 s24, s24, s27
	v_add_co_ci_u32_e64 v162, null, s3, v162, vcc_lo
	v_add_co_u32 v163, vcc_lo, v163, s2
	v_mul_f32_e32 v4, v194, v34
	s_addc_u32 s25, s25, 0
	v_add_co_ci_u32_e64 v164, null, s3, v164, vcc_lo
	v_add_co_u32 v165, vcc_lo, v165, s2
	v_cmp_lt_i64_e64 s28, s[24:25], s[8:9]
	v_add_co_ci_u32_e64 v166, null, s3, v166, vcc_lo
	v_add_co_u32 v39, vcc_lo, v39, s27
	s_waitcnt lgkmcnt(0)
	v_fmac_f32_e32 v202, v4, v3
	v_add_co_ci_u32_e64 v40, null, 0, v40, vcc_lo
	s_add_u32 s22, s22, s27
	s_addc_u32 s23, 0, s23
	s_and_b32 vcc_lo, exec_lo, s28
	s_cbranch_vccz .LBB176_142
; %bb.138:                              ;   in Loop: Header=BB176_3 Depth=1
	v_mov_b32_e32 v167, v202
	s_branch .LBB176_3
.LBB176_139:                            ;   in Loop: Header=BB176_3 Depth=1
	v_add_co_u32 v198, vcc_lo, v53, v35
	v_add_co_ci_u32_e64 v199, null, v54, v36, vcc_lo
	v_add_co_u32 v200, vcc_lo, v55, v35
	v_add_co_ci_u32_e64 v201, null, v56, v36, vcc_lo
	global_load_ushort v32, v[198:199], off
	global_load_ushort v194, v[200:201], off
	s_waitcnt vmcnt(1)
	v_cvt_f32_f16_e32 v32, v32
	s_waitcnt vmcnt(0)
	v_cvt_f32_f16_e32 v198, v194
	s_or_b32 exec_lo, exec_lo, s28
	s_and_saveexec_b32 s28, s1
	s_cbranch_execz .LBB176_134
.LBB176_140:                            ;   in Loop: Header=BB176_3 Depth=1
	v_add_co_u32 v199, vcc_lo, v49, v35
	v_add_co_ci_u32_e64 v200, null, v50, v36, vcc_lo
	v_add_co_u32 v201, vcc_lo, v51, v35
	v_add_co_ci_u32_e64 v202, null, v52, v36, vcc_lo
	global_load_ushort v33, v[199:200], off
	global_load_ushort v194, v[201:202], off
	s_waitcnt vmcnt(1)
	v_cvt_f32_f16_e32 v33, v33
	s_waitcnt vmcnt(0)
	v_cvt_f32_f16_e32 v197, v194
	s_or_b32 exec_lo, exec_lo, s28
	v_mov_b32_e32 v194, 0
	s_and_saveexec_b32 s28, s1
	s_cbranch_execnz .LBB176_135
	s_branch .LBB176_136
.LBB176_141:
                                        ; implicit-def: $vgpr202
	s_load_dwordx2 s[2:3], s[4:5], 0x30
	s_branch .LBB176_143
.LBB176_142:
	s_load_dwordx2 s[2:3], s[4:5], 0x30
	s_cbranch_execnz .LBB176_219
.LBB176_143:
	v_mov_b32_e32 v202, 0
	s_andn2_b32 vcc_lo, exec_lo, s26
	s_cbranch_vccnz .LBB176_219
; %bb.144:
	v_lshlrev_b32_e32 v192, 5, v223
	v_lshlrev_b32_e32 v2, 6, v223
	s_add_u32 s20, s4, 64
	s_addc_u32 s21, s5, 0
	s_lshl_b64 s[22:23], s[18:19], 1
	v_add_co_u32 v0, s1, v192, s18
	v_add_co_ci_u32_e64 v1, null, 0, 0, s1
	v_add_co_u32 v4, s1, v2, s22
	v_add_co_ci_u32_e64 v5, null, 0, s23, s1
	v_mul_lo_u32 v6, s11, v0
	v_add_co_u32 v8, vcc_lo, v4, 2
	v_mul_lo_u32 v7, s10, v1
	v_add_co_ci_u32_e64 v9, null, 0, v5, vcc_lo
	v_mad_u64_u32 v[2:3], null, s10, v0, 0
	v_add_co_u32 v10, vcc_lo, v4, 4
	v_add_co_ci_u32_e64 v12, null, 0, v5, vcc_lo
	v_add_co_u32 v13, vcc_lo, v4, 6
	v_add_co_ci_u32_e64 v14, null, 0, v5, vcc_lo
	;; [unrolled: 2-line block ×4, first 2 shown]
	v_add3_u32 v3, v3, v7, v6
	v_add_co_u32 v6, vcc_lo, v4, 12
	v_mad_u64_u32 v[35:36], null, s10, v8, s[12:13]
	v_mul_lo_u32 v9, s10, v9
	v_mul_lo_u32 v11, s11, v8
	v_mad_u64_u32 v[49:50], null, s10, v8, s[14:15]
	v_add_co_ci_u32_e64 v7, null, 0, v5, vcc_lo
	v_add_co_u32 v23, vcc_lo, v4, 14
	v_mad_u64_u32 v[37:38], null, s10, v10, s[12:13]
	v_mul_lo_u32 v12, s10, v12
	v_mul_lo_u32 v15, s11, v10
	v_mad_u64_u32 v[53:54], null, s10, v10, s[14:15]
	v_add_co_ci_u32_e64 v24, null, 0, v5, vcc_lo
	v_add_co_u32 v26, vcc_lo, v4, 16
	v_add_co_ci_u32_e64 v27, null, 0, v5, vcc_lo
	v_mad_u64_u32 v[45:46], null, s10, v6, s[12:13]
	v_mul_lo_u32 v7, s10, v7
	v_mul_lo_u32 v25, s11, v6
	v_mad_u64_u32 v[63:64], null, s10, v6, s[14:15]
	v_add3_u32 v36, v11, v36, v9
	v_mad_u64_u32 v[47:48], null, s10, v23, s[12:13]
	v_mul_lo_u32 v24, s10, v24
	v_mul_lo_u32 v8, s11, v23
	v_add3_u32 v50, v11, v50, v9
	v_add_co_u32 v9, vcc_lo, v4, 18
	v_mad_u64_u32 v[65:66], null, s10, v23, s[14:15]
	v_add3_u32 v38, v15, v38, v12
	v_mad_u64_u32 v[51:52], null, s10, v26, s[12:13]
	v_add_co_ci_u32_e64 v10, null, 0, v5, vcc_lo
	v_mul_lo_u32 v11, s10, v27
	v_add3_u32 v54, v15, v54, v12
	v_mul_lo_u32 v12, s11, v26
	v_mad_u64_u32 v[67:68], null, s10, v26, s[14:15]
	v_add3_u32 v46, v25, v46, v7
	v_add3_u32 v64, v25, v64, v7
	v_add_co_u32 v7, vcc_lo, v4, 20
	v_mad_u64_u32 v[59:60], null, s10, v9, s[12:13]
	v_mul_lo_u32 v10, s10, v10
	v_mul_lo_u32 v6, s11, v9
	v_mad_u64_u32 v[69:70], null, s10, v9, s[14:15]
	v_add3_u32 v48, v8, v48, v24
	v_add3_u32 v66, v8, v66, v24
	v_add_co_ci_u32_e64 v8, null, 0, v5, vcc_lo
	v_add_co_u32 v9, vcc_lo, v4, 22
	v_add3_u32 v52, v12, v52, v11
	v_add3_u32 v68, v12, v68, v11
	v_add_co_ci_u32_e64 v11, null, 0, v5, vcc_lo
	v_mad_u64_u32 v[71:72], null, s10, v7, s[12:13]
	v_mul_lo_u32 v8, s10, v8
	v_mul_lo_u32 v12, s11, v7
	v_mad_u64_u32 v[73:74], null, s10, v7, s[14:15]
	v_add3_u32 v60, v6, v60, v10
	v_add3_u32 v70, v6, v70, v10
	v_mul_lo_u32 v6, s10, v11
	v_mul_lo_u32 v7, s11, v9
	v_mad_u64_u32 v[75:76], null, s10, v9, s[12:13]
	v_mad_u64_u32 v[77:78], null, s10, v9, s[14:15]
	v_add_co_u32 v9, vcc_lo, v4, 24
	v_add_co_ci_u32_e64 v10, null, 0, v5, vcc_lo
	v_add3_u32 v72, v12, v72, v8
	v_add3_u32 v74, v12, v74, v8
	v_add_co_u32 v8, vcc_lo, v4, 26
	v_add3_u32 v76, v7, v76, v6
	v_add3_u32 v78, v7, v78, v6
	v_mul_lo_u32 v6, s10, v10
	v_add_co_ci_u32_e64 v10, null, 0, v5, vcc_lo
	v_mul_lo_u32 v7, s11, v9
	v_mad_u64_u32 v[79:80], null, s10, v9, s[12:13]
	v_mad_u64_u32 v[81:82], null, s10, v9, s[14:15]
	v_mul_lo_u32 v9, s10, v10
	v_mul_lo_u32 v10, s11, v8
	v_mad_u64_u32 v[83:84], null, s10, v8, s[12:13]
	v_mad_u64_u32 v[85:86], null, s10, v8, s[14:15]
	v_add_co_u32 v8, vcc_lo, v4, 28
	v_add_co_ci_u32_e64 v11, null, 0, v5, vcc_lo
	v_add3_u32 v84, v10, v84, v9
	v_add3_u32 v80, v7, v80, v6
	;; [unrolled: 1-line block ×3, first 2 shown]
	v_add_co_u32 v9, vcc_lo, v4, 30
	v_add_co_ci_u32_e64 v10, null, 0, v5, vcc_lo
	v_add3_u32 v82, v7, v82, v6
	v_mul_lo_u32 v6, s10, v11
	v_mul_lo_u32 v7, s11, v8
	v_mad_u64_u32 v[87:88], null, s10, v8, s[12:13]
	v_mad_u64_u32 v[89:90], null, s10, v8, s[14:15]
	v_mul_lo_u32 v8, s10, v10
	v_mul_lo_u32 v10, s11, v9
	v_mad_u64_u32 v[91:92], null, s10, v9, s[12:13]
	v_mad_u64_u32 v[93:94], null, s10, v9, s[14:15]
	v_add_co_u32 v9, vcc_lo, v4, 32
	v_add_co_ci_u32_e64 v11, null, 0, v5, vcc_lo
	v_add3_u32 v88, v7, v88, v6
	v_add3_u32 v90, v7, v90, v6
	v_mul_lo_u32 v7, s11, v9
	v_mul_lo_u32 v6, s10, v11
	v_mad_u64_u32 v[95:96], null, s10, v9, s[12:13]
	v_mad_u64_u32 v[97:98], null, s10, v9, s[14:15]
	v_add3_u32 v92, v10, v92, v8
	v_add3_u32 v94, v10, v94, v8
	v_mad_u64_u32 v[39:40], null, s10, v13, s[12:13]
	v_add3_u32 v96, v7, v96, v6
	v_mul_lo_u32 v17, s11, v13
	v_add3_u32 v98, v7, v98, v6
	v_add_co_u32 v6, vcc_lo, v4, 34
	v_add_co_ci_u32_e64 v7, null, 0, v5, vcc_lo
	v_mad_u64_u32 v[55:56], null, s10, v13, s[14:15]
	v_mul_lo_u32 v8, s11, v6
	v_mul_lo_u32 v7, s10, v7
	v_mad_u64_u32 v[99:100], null, s10, v6, s[12:13]
	v_mad_u64_u32 v[101:102], null, s10, v6, s[14:15]
	v_add_co_u32 v6, vcc_lo, v4, 36
	v_mul_lo_u32 v14, s10, v14
	v_mad_u64_u32 v[41:42], null, s10, v16, s[12:13]
	v_add3_u32 v100, v8, v100, v7
	v_add3_u32 v102, v8, v102, v7
	v_add_co_ci_u32_e64 v7, null, 0, v5, vcc_lo
	v_mul_lo_u32 v8, s11, v6
	v_mad_u64_u32 v[103:104], null, s10, v6, s[12:13]
	v_mul_lo_u32 v7, s10, v7
	v_mad_u64_u32 v[105:106], null, s10, v6, s[14:15]
	v_add_co_u32 v6, vcc_lo, v4, 38
	v_add3_u32 v40, v17, v40, v14
	v_add3_u32 v56, v17, v56, v14
	v_mul_lo_u32 v21, s11, v16
	v_add3_u32 v104, v8, v104, v7
	v_add3_u32 v106, v8, v106, v7
	v_add_co_ci_u32_e64 v7, null, 0, v5, vcc_lo
	v_mul_lo_u32 v8, s11, v6
	v_mad_u64_u32 v[107:108], null, s10, v6, s[12:13]
	v_mul_lo_u32 v7, s10, v7
	v_mad_u64_u32 v[109:110], null, s10, v6, s[14:15]
	v_add_co_u32 v6, vcc_lo, v4, 40
	v_mad_u64_u32 v[57:58], null, s10, v16, s[14:15]
	v_mul_lo_u32 v18, s10, v18
	v_add3_u32 v108, v8, v108, v7
	v_add3_u32 v110, v8, v110, v7
	v_add_co_ci_u32_e64 v7, null, 0, v5, vcc_lo
	v_mul_lo_u32 v8, s11, v6
	v_mad_u64_u32 v[111:112], null, s10, v6, s[12:13]
	v_mul_lo_u32 v7, s10, v7
	v_mad_u64_u32 v[113:114], null, s10, v6, s[14:15]
	v_add_co_u32 v6, vcc_lo, v4, 42
	v_mad_u64_u32 v[43:44], null, s10, v19, s[12:13]
	v_mul_lo_u32 v22, s11, v19
	v_add3_u32 v112, v8, v112, v7
	v_add3_u32 v114, v8, v114, v7
	v_add_co_ci_u32_e64 v7, null, 0, v5, vcc_lo
	v_mul_lo_u32 v8, s11, v6
	v_mad_u64_u32 v[115:116], null, s10, v6, s[12:13]
	v_mul_lo_u32 v7, s10, v7
	v_mad_u64_u32 v[117:118], null, s10, v6, s[14:15]
	v_add_co_u32 v6, vcc_lo, v4, 44
	v_add3_u32 v42, v21, v42, v18
	v_mad_u64_u32 v[61:62], null, s10, v19, s[14:15]
	v_add3_u32 v116, v8, v116, v7
	v_add3_u32 v118, v8, v118, v7
	v_add_co_ci_u32_e64 v7, null, 0, v5, vcc_lo
	v_mul_lo_u32 v8, s11, v6
	v_mad_u64_u32 v[119:120], null, s10, v6, s[12:13]
	v_mul_lo_u32 v7, s10, v7
	v_mad_u64_u32 v[121:122], null, s10, v6, s[14:15]
	v_add_co_u32 v6, vcc_lo, v4, 46
	v_add3_u32 v58, v21, v58, v18
	v_mul_lo_u32 v20, s10, v20
	s_load_dword s1, s[4:5], 0x44
	v_add3_u32 v120, v8, v120, v7
	v_add3_u32 v122, v8, v122, v7
	v_add_co_ci_u32_e64 v7, null, 0, v5, vcc_lo
	v_mul_lo_u32 v8, s11, v6
	v_mad_u64_u32 v[123:124], null, s10, v6, s[12:13]
	v_mul_lo_u32 v7, s10, v7
	v_mad_u64_u32 v[125:126], null, s10, v6, s[14:15]
	v_add_co_u32 v6, vcc_lo, v4, 48
	v_add3_u32 v44, v22, v44, v20
	v_add3_u32 v62, v22, v62, v20
	v_mov_b32_e32 v203, 0
	v_add3_u32 v124, v8, v124, v7
	v_add3_u32 v126, v8, v126, v7
	v_add_co_ci_u32_e64 v7, null, 0, v5, vcc_lo
	v_mul_lo_u32 v8, s11, v6
	v_mad_u64_u32 v[127:128], null, s10, v6, s[12:13]
	v_mul_lo_u32 v7, s10, v7
	v_mad_u64_u32 v[129:130], null, s10, v6, s[14:15]
	v_add_co_u32 v6, vcc_lo, v4, 50
	s_waitcnt lgkmcnt(0)
	s_lshl_b32 s1, s1, 5
	s_mov_b64 s[22:23], s[18:19]
	v_add3_u32 v128, v8, v128, v7
	v_add3_u32 v130, v8, v130, v7
	v_add_co_ci_u32_e64 v7, null, 0, v5, vcc_lo
	v_mul_lo_u32 v8, s11, v6
	v_mad_u64_u32 v[131:132], null, s10, v6, s[12:13]
	v_mul_lo_u32 v7, s10, v7
	v_mad_u64_u32 v[133:134], null, s10, v6, s[14:15]
	v_add_co_u32 v6, vcc_lo, v4, 52
	v_add3_u32 v132, v8, v132, v7
	v_add3_u32 v134, v8, v134, v7
	v_add_co_ci_u32_e64 v7, null, 0, v5, vcc_lo
	v_mul_lo_u32 v8, s11, v6
	v_mad_u64_u32 v[135:136], null, s10, v6, s[12:13]
	v_mul_lo_u32 v7, s10, v7
	v_mad_u64_u32 v[137:138], null, s10, v6, s[14:15]
	v_add_co_u32 v6, vcc_lo, v4, 54
	;; [unrolled: 8-line block ×5, first 2 shown]
	v_add3_u32 v148, v8, v148, v7
	v_add3_u32 v150, v8, v150, v7
	v_add_co_ci_u32_e64 v7, null, 0, v5, vcc_lo
	v_add_co_u32 v4, vcc_lo, v4, 62
	v_add_co_ci_u32_e64 v5, null, 0, v5, vcc_lo
	v_mul_lo_u32 v8, s11, v6
	v_mad_u64_u32 v[151:152], null, s10, v6, s[12:13]
	v_mad_u64_u32 v[153:154], null, s10, v6, s[14:15]
	v_mul_lo_u32 v5, s10, v5
	v_mul_lo_u32 v6, s11, v4
	v_mad_u64_u32 v[155:156], null, s10, v4, s[12:13]
	v_mad_u64_u32 v[157:158], null, s10, v4, s[14:15]
	v_mul_lo_u32 v7, s10, v7
	v_add_co_u32 v4, vcc_lo, v0, 31
	v_add3_u32 v156, v6, v156, v5
	v_add3_u32 v158, v6, v158, v5
	v_add_co_ci_u32_e64 v5, null, 0, v1, vcc_lo
	v_add3_u32 v152, v8, v152, v7
	v_add3_u32 v154, v8, v154, v7
	v_mul_lo_u32 v7, s11, v4
	v_mul_lo_u32 v6, s10, v5
	v_mad_u64_u32 v[4:5], null, s10, v4, 0
	v_add3_u32 v5, v5, v6, v7
	v_add_co_u32 v6, vcc_lo, v0, 30
	v_add_co_ci_u32_e64 v7, null, 0, v1, vcc_lo
	v_mul_lo_u32 v9, s11, v6
	v_mul_lo_u32 v8, s10, v7
	v_mad_u64_u32 v[6:7], null, s10, v6, 0
	v_add3_u32 v7, v7, v8, v9
	v_add_co_u32 v8, vcc_lo, v0, 29
	v_add_co_ci_u32_e64 v9, null, 0, v1, vcc_lo
	v_mul_lo_u32 v11, s11, v8
	v_mul_lo_u32 v10, s10, v9
	v_mad_u64_u32 v[8:9], null, s10, v8, 0
	v_add3_u32 v9, v9, v10, v11
	v_add_co_u32 v10, vcc_lo, v0, 28
	v_add_co_ci_u32_e64 v11, null, 0, v1, vcc_lo
	v_mul_lo_u32 v13, s11, v10
	v_mul_lo_u32 v12, s10, v11
	v_mad_u64_u32 v[10:11], null, s10, v10, 0
	v_add3_u32 v11, v11, v12, v13
	v_add_co_u32 v12, vcc_lo, v0, 27
	v_add_co_ci_u32_e64 v13, null, 0, v1, vcc_lo
	v_mul_lo_u32 v15, s11, v12
	v_mul_lo_u32 v14, s10, v13
	v_mad_u64_u32 v[12:13], null, s10, v12, 0
	v_add3_u32 v13, v13, v14, v15
	v_add_co_u32 v14, vcc_lo, v0, 26
	v_add_co_ci_u32_e64 v15, null, 0, v1, vcc_lo
	v_mul_lo_u32 v17, s11, v14
	v_mul_lo_u32 v16, s10, v15
	v_mad_u64_u32 v[14:15], null, s10, v14, 0
	v_add3_u32 v15, v15, v16, v17
	v_add_co_u32 v16, vcc_lo, v0, 25
	v_add_co_ci_u32_e64 v17, null, 0, v1, vcc_lo
	v_mul_lo_u32 v19, s11, v16
	v_mul_lo_u32 v18, s10, v17
	v_mad_u64_u32 v[16:17], null, s10, v16, 0
	v_add3_u32 v17, v17, v18, v19
	v_add_co_u32 v18, vcc_lo, v0, 24
	v_add_co_ci_u32_e64 v19, null, 0, v1, vcc_lo
	v_mul_lo_u32 v21, s11, v18
	v_mul_lo_u32 v20, s10, v19
	v_mad_u64_u32 v[18:19], null, s10, v18, 0
	v_add3_u32 v19, v19, v20, v21
	v_add_co_u32 v20, vcc_lo, v0, 23
	v_add_co_ci_u32_e64 v21, null, 0, v1, vcc_lo
	v_mul_lo_u32 v23, s11, v20
	v_mul_lo_u32 v22, s10, v21
	v_mad_u64_u32 v[20:21], null, s10, v20, 0
	v_add3_u32 v21, v21, v22, v23
	v_add_co_u32 v22, vcc_lo, v0, 22
	v_add_co_ci_u32_e64 v23, null, 0, v1, vcc_lo
	v_mul_lo_u32 v25, s11, v22
	v_mul_lo_u32 v24, s10, v23
	v_mad_u64_u32 v[22:23], null, s10, v22, 0
	v_add3_u32 v23, v23, v24, v25
	v_add_co_u32 v24, vcc_lo, v0, 21
	v_add_co_ci_u32_e64 v25, null, 0, v1, vcc_lo
	v_mul_lo_u32 v27, s11, v24
	v_mul_lo_u32 v26, s10, v25
	v_mad_u64_u32 v[24:25], null, s10, v24, 0
	v_add3_u32 v25, v25, v26, v27
	v_add_co_u32 v26, vcc_lo, v0, 20
	v_add_co_ci_u32_e64 v27, null, 0, v1, vcc_lo
	v_mul_lo_u32 v29, s11, v26
	v_mul_lo_u32 v28, s10, v27
	v_mad_u64_u32 v[26:27], null, s10, v26, 0
	v_add3_u32 v27, v27, v28, v29
	v_add_co_u32 v28, vcc_lo, v0, 19
	v_add_co_ci_u32_e64 v29, null, 0, v1, vcc_lo
	v_mul_lo_u32 v31, s11, v28
	v_mul_lo_u32 v30, s10, v29
	v_mad_u64_u32 v[28:29], null, s10, v28, 0
	v_add3_u32 v29, v29, v30, v31
	v_add_co_u32 v30, vcc_lo, v0, 18
	v_add_co_ci_u32_e64 v31, null, 0, v1, vcc_lo
	v_mul_lo_u32 v33, s11, v30
	v_mul_lo_u32 v32, s10, v31
	v_mad_u64_u32 v[30:31], null, s10, v30, 0
	v_add3_u32 v31, v31, v32, v33
	v_add_co_u32 v32, vcc_lo, v0, 17
	v_add_co_ci_u32_e64 v33, null, 0, v1, vcc_lo
	v_mul_lo_u32 v159, s11, v32
	v_mul_lo_u32 v34, s10, v33
	v_mad_u64_u32 v[32:33], null, s10, v32, 0
	v_add3_u32 v33, v33, v34, v159
	v_add_co_u32 v34, vcc_lo, v0, 16
	v_add_co_ci_u32_e64 v159, null, 0, v1, vcc_lo
	v_mul_lo_u32 v162, s11, v34
	v_mul_lo_u32 v161, s10, v159
	v_mad_u64_u32 v[159:160], null, s10, v34, 0
	v_add_co_u32 v34, vcc_lo, v0, 15
	v_mul_lo_u32 v164, s11, v34
	v_add3_u32 v160, v160, v161, v162
	v_add_co_ci_u32_e64 v161, null, 0, v1, vcc_lo
	v_mul_lo_u32 v163, s10, v161
	v_mad_u64_u32 v[161:162], null, s10, v34, 0
	v_add_co_u32 v34, vcc_lo, v0, 14
	v_mad_u64_u32 v[168:169], null, s10, v34, 0
	v_add3_u32 v162, v162, v163, v164
	v_add_co_ci_u32_e64 v163, null, 0, v1, vcc_lo
	v_mul_lo_u32 v164, s11, v34
	v_add_co_u32 v34, vcc_lo, v0, 13
	v_mul_lo_u32 v163, s10, v163
	v_mad_u64_u32 v[170:171], null, s10, v34, 0
	v_add3_u32 v169, v169, v163, v164
	v_add_co_ci_u32_e64 v163, null, 0, v1, vcc_lo
	v_mul_lo_u32 v164, s11, v34
	v_add_co_u32 v34, vcc_lo, v0, 12
	v_mul_lo_u32 v163, s10, v163
	;; [unrolled: 6-line block ×11, first 2 shown]
	v_mad_u64_u32 v[190:191], null, s10, v34, 0
	v_add3_u32 v189, v189, v163, v164
	v_add_co_ci_u32_e64 v163, null, 0, v1, vcc_lo
	v_add_co_u32 v0, vcc_lo, v0, 2
	v_add_co_ci_u32_e64 v1, null, 0, v1, vcc_lo
	v_mul_lo_u32 v164, s11, v34
	v_mul_lo_u32 v34, s11, v0
	v_mad_u64_u32 v[193:194], null, s10, v0, 0
	v_mul_lo_u32 v1, s10, v1
	v_mul_lo_u32 v163, s10, v163
	v_add_co_u32 v197, vcc_lo, v2, s10
	v_add_co_ci_u32_e64 v198, null, s11, v3, vcc_lo
	v_add3_u32 v194, v194, v1, v34
	v_lshlrev_b64 v[0:1], 1, v[2:3]
	v_add3_u32 v191, v191, v163, v164
	v_add_co_u32 v164, vcc_lo, s12, v0
	v_add_co_ci_u32_e64 v165, null, s13, v1, vcc_lo
	v_add_co_u32 v166, vcc_lo, s14, v0
	v_add_co_ci_u32_e64 v167, null, s15, v1, vcc_lo
	v_lshlrev_b64 v[0:1], 1, v[4:5]
	v_mov_b32_e32 v5, v192
	v_add_co_u32 v2, vcc_lo, s12, v0
	buffer_store_dword v2, off, s[36:39], 0 ; 4-byte Folded Spill
	v_add_co_ci_u32_e64 v2, null, s13, v1, vcc_lo
	v_add_co_u32 v0, vcc_lo, s14, v0
	buffer_store_dword v2, off, s[36:39], 0 offset:4 ; 4-byte Folded Spill
	buffer_store_dword v0, off, s[36:39], 0 offset:8 ; 4-byte Folded Spill
	v_add_co_ci_u32_e64 v0, null, s15, v1, vcc_lo
	buffer_store_dword v0, off, s[36:39], 0 offset:12 ; 4-byte Folded Spill
	v_lshlrev_b64 v[0:1], 1, v[6:7]
	v_add_co_u32 v2, vcc_lo, s12, v0
	buffer_store_dword v2, off, s[36:39], 0 offset:16 ; 4-byte Folded Spill
	v_add_co_ci_u32_e64 v2, null, s13, v1, vcc_lo
	v_add_co_u32 v0, vcc_lo, s14, v0
	buffer_store_dword v2, off, s[36:39], 0 offset:20 ; 4-byte Folded Spill
	buffer_store_dword v0, off, s[36:39], 0 offset:24 ; 4-byte Folded Spill
	v_add_co_ci_u32_e64 v0, null, s15, v1, vcc_lo
	buffer_store_dword v0, off, s[36:39], 0 offset:28 ; 4-byte Folded Spill
	v_lshlrev_b64 v[0:1], 1, v[8:9]
	v_add_co_u32 v2, vcc_lo, s12, v0
	buffer_store_dword v2, off, s[36:39], 0 offset:32 ; 4-byte Folded Spill
	;; [unrolled: 9-line block ×13, first 2 shown]
	v_add_co_ci_u32_e64 v2, null, s13, v1, vcc_lo
	v_add_co_u32 v0, vcc_lo, s14, v0
	buffer_store_dword v2, off, s[36:39], 0 offset:212 ; 4-byte Folded Spill
	buffer_store_dword v0, off, s[36:39], 0 offset:216 ; 4-byte Folded Spill
	v_add_co_ci_u32_e64 v0, null, s15, v1, vcc_lo
	buffer_store_dword v0, off, s[36:39], 0 offset:220 ; 4-byte Folded Spill
	v_lshlrev_b64 v[0:1], 1, v[32:33]
	v_add_co_u32 v2, vcc_lo, s12, v0
	v_add_co_ci_u32_e64 v225, null, s13, v1, vcc_lo
	v_add_co_u32 v226, vcc_lo, s14, v0
	v_add_co_ci_u32_e64 v227, null, s15, v1, vcc_lo
	v_lshlrev_b64 v[0:1], 1, v[159:160]
	buffer_store_dword v2, off, s[36:39], 0 offset:224 ; 4-byte Folded Spill
	v_add_co_u32 v228, vcc_lo, s12, v0
	v_add_co_ci_u32_e64 v229, null, s13, v1, vcc_lo
	v_add_co_u32 v230, vcc_lo, s14, v0
	v_add_co_ci_u32_e64 v231, null, s15, v1, vcc_lo
	v_lshlrev_b64 v[0:1], 1, v[161:162]
	v_add_co_u32 v232, vcc_lo, s12, v0
	v_add_co_ci_u32_e64 v233, null, s13, v1, vcc_lo
	v_add_co_u32 v234, vcc_lo, s14, v0
	v_add_co_ci_u32_e64 v235, null, s15, v1, vcc_lo
	v_lshlrev_b64 v[0:1], 1, v[168:169]
	v_add_co_u32 v236, vcc_lo, s12, v0
	v_add_co_ci_u32_e64 v237, null, s13, v1, vcc_lo
	v_add_co_u32 v238, vcc_lo, s14, v0
	v_add_co_ci_u32_e64 v239, null, s15, v1, vcc_lo
	v_lshlrev_b64 v[0:1], 1, v[170:171]
	v_add_co_u32 v240, vcc_lo, s12, v0
	v_add_co_ci_u32_e64 v241, null, s13, v1, vcc_lo
	v_add_co_u32 v242, vcc_lo, s14, v0
	v_add_co_ci_u32_e64 v243, null, s15, v1, vcc_lo
	v_lshlrev_b64 v[0:1], 1, v[172:173]
	v_add_co_u32 v244, vcc_lo, s12, v0
	v_add_co_ci_u32_e64 v245, null, s13, v1, vcc_lo
	v_add_co_u32 v246, vcc_lo, s14, v0
	v_add_co_ci_u32_e64 v247, null, s15, v1, vcc_lo
	v_lshlrev_b64 v[0:1], 1, v[174:175]
	v_add_co_u32 v248, vcc_lo, s12, v0
	v_add_co_ci_u32_e64 v249, null, s13, v1, vcc_lo
	v_add_co_u32 v250, vcc_lo, s14, v0
	v_add_co_ci_u32_e64 v251, null, s15, v1, vcc_lo
	v_lshlrev_b64 v[0:1], 1, v[176:177]
	v_add_co_u32 v252, vcc_lo, s12, v0
	v_add_co_ci_u32_e64 v253, null, s13, v1, vcc_lo
	v_add_co_u32 v254, vcc_lo, s14, v0
	v_add_co_ci_u32_e64 v255, null, s15, v1, vcc_lo
	v_lshlrev_b64 v[1:2], 1, v[178:179]
	v_add_co_u32 v163, vcc_lo, s12, v1
	v_add_co_ci_u32_e64 v0, null, s13, v2, vcc_lo
	v_add_co_u32 v1, vcc_lo, s14, v1
	v_add_co_ci_u32_e64 v168, null, s15, v2, vcc_lo
	v_lshlrev_b64 v[2:3], 1, v[180:181]
	v_add_co_u32 v169, vcc_lo, s12, v2
	v_add_co_ci_u32_e64 v170, null, s13, v3, vcc_lo
	v_add_co_u32 v171, vcc_lo, s14, v2
	v_add_co_ci_u32_e64 v172, null, s15, v3, vcc_lo
	v_lshlrev_b64 v[2:3], 1, v[182:183]
	v_add_co_u32 v173, vcc_lo, s12, v2
	v_add_co_ci_u32_e64 v174, null, s13, v3, vcc_lo
	v_add_co_u32 v175, vcc_lo, s14, v2
	v_add_co_ci_u32_e64 v176, null, s15, v3, vcc_lo
	v_lshlrev_b64 v[2:3], 1, v[184:185]
	v_add_co_u32 v177, vcc_lo, s12, v2
	v_add_co_ci_u32_e64 v178, null, s13, v3, vcc_lo
	v_add_co_u32 v179, vcc_lo, s14, v2
	v_add_co_ci_u32_e64 v180, null, s15, v3, vcc_lo
	v_lshlrev_b64 v[2:3], 1, v[186:187]
	v_add_co_u32 v181, vcc_lo, s12, v2
	v_add_co_ci_u32_e64 v182, null, s13, v3, vcc_lo
	v_add_co_u32 v183, vcc_lo, s14, v2
	v_add_co_ci_u32_e64 v184, null, s15, v3, vcc_lo
	v_lshlrev_b64 v[2:3], 1, v[188:189]
	v_add_co_u32 v185, vcc_lo, s12, v2
	v_add_co_ci_u32_e64 v186, null, s13, v3, vcc_lo
	v_add_co_u32 v187, vcc_lo, s14, v2
	v_add_co_ci_u32_e64 v188, null, s15, v3, vcc_lo
	v_lshlrev_b64 v[2:3], 1, v[190:191]
	v_add_co_u32 v189, vcc_lo, s12, v2
	v_add_co_ci_u32_e64 v190, null, s13, v3, vcc_lo
	v_add_co_u32 v191, vcc_lo, s14, v2
	v_add_co_ci_u32_e64 v192, null, s15, v3, vcc_lo
	v_lshlrev_b64 v[2:3], 1, v[193:194]
	v_add_co_u32 v193, vcc_lo, s12, v2
	v_add_co_ci_u32_e64 v194, null, s13, v3, vcc_lo
	v_add_co_u32 v195, vcc_lo, s14, v2
	v_add_co_ci_u32_e64 v196, null, s15, v3, vcc_lo
	v_lshlrev_b64 v[2:3], 1, v[197:198]
	v_add_co_u32 v197, vcc_lo, s12, v2
	v_add_co_ci_u32_e64 v198, null, s13, v3, vcc_lo
	v_add_co_u32 v199, vcc_lo, s14, v2
	v_mov_b32_e32 v2, 0
	v_add_co_ci_u32_e64 v200, null, s15, v3, vcc_lo
	v_add_nc_u32_e32 v3, s7, v224
	s_mul_i32 s7, s11, s1
	v_mov_b32_e32 v4, v2
	s_mul_hi_u32 s12, s10, s1
	v_mov_b32_e32 v201, v2
	s_add_i32 s13, s12, s7
	s_mul_i32 s12, s10, s1
	v_lshlrev_b64 v[159:160], 1, v[3:4]
	s_lshl_b64 s[12:13], s[12:13], 1
	s_mov_b64 s[14:15], 31
.LBB176_145:                            ; =>This Inner Loop Header: Depth=1
	s_add_u32 s24, s18, s14
	s_addc_u32 s25, 0, s15
	v_add_co_u32 v161, vcc_lo, s18, v5
	v_cmp_ge_i64_e64 s7, s[24:25], s[8:9]
	v_add_co_ci_u32_e64 v162, null, 0, v201, vcc_lo
	buffer_store_dword v5, off, s[36:39], 0 offset:228 ; 4-byte Folded Spill
                                        ; implicit-def: $vgpr202
	s_and_b32 vcc_lo, exec_lo, s7
	s_mov_b32 s7, -1
	s_cbranch_vccz .LBB176_213
; %bb.146:                              ;   in Loop: Header=BB176_145 Depth=1
	s_load_dword s7, s[20:21], 0xc
	v_mov_b32_e32 v202, 0
	v_mov_b32_e32 v204, 0
	s_waitcnt lgkmcnt(0)
	s_and_b32 s7, s7, 0xffff
	v_mad_u32_u24 v3, v223, s7, v224
	s_mov_b32 s7, exec_lo
	v_and_b32_e32 v3, 31, v3
	v_add_co_u32 v3, vcc_lo, v161, v3
	v_add_co_ci_u32_e64 v4, null, 0, v162, vcc_lo
	v_cmpx_gt_i64_e64 s[8:9], v[3:4]
	s_cbranch_execz .LBB176_148
; %bb.147:                              ;   in Loop: Header=BB176_145 Depth=1
	v_lshlrev_b64 v[3:4], 2, v[3:4]
	v_add_co_u32 v3, vcc_lo, s16, v3
	v_add_co_ci_u32_e64 v4, null, s17, v4, vcc_lo
	global_load_dword v204, v[3:4], off
.LBB176_148:                            ;   in Loop: Header=BB176_145 Depth=1
	s_or_b32 exec_lo, exec_lo, s7
	v_mov_b32_e32 v33, v2
	v_mov_b32_e32 v3, v2
	;; [unrolled: 1-line block ×63, first 2 shown]
	s_mov_b32 s7, exec_lo
	v_cmpx_gt_i64_e64 s[8:9], v[161:162]
	s_cbranch_execz .LBB176_150
; %bb.149:                              ;   in Loop: Header=BB176_145 Depth=1
	v_add_co_u32 v3, vcc_lo, v164, v159
	v_add_co_ci_u32_e64 v4, null, v165, v160, vcc_lo
	v_add_co_u32 v5, vcc_lo, v166, v159
	v_add_co_ci_u32_e64 v6, null, v167, v160, vcc_lo
	global_load_ushort v3, v[3:4], off
	global_load_ushort v202, v[5:6], off
	v_mov_b32_e32 v4, v2
	v_mov_b32_e32 v5, v2
	;; [unrolled: 1-line block ×31, first 2 shown]
	s_waitcnt vmcnt(1)
	v_cvt_f32_f16_e32 v3, v3
	s_waitcnt vmcnt(0)
	v_cvt_f32_f16_e32 v202, v202
.LBB176_150:                            ;   in Loop: Header=BB176_145 Depth=1
	s_or_b32 exec_lo, exec_lo, s7
	v_add_co_u32 v205, vcc_lo, v161, 1
	v_add_co_ci_u32_e64 v206, null, 0, v162, vcc_lo
	v_cmp_gt_i64_e32 vcc_lo, s[8:9], v[205:206]
	v_mov_b32_e32 v205, 0
	buffer_store_dword v205, off, s[36:39], 0 offset:232 ; 4-byte Folded Spill
	v_mov_b32_e32 v205, 0
	buffer_store_dword v205, off, s[36:39], 0 offset:236 ; 4-byte Folded Spill
	s_and_saveexec_b32 s7, vcc_lo
	s_cbranch_execz .LBB176_152
; %bb.151:                              ;   in Loop: Header=BB176_145 Depth=1
	v_add_co_u32 v205, vcc_lo, v197, v159
	v_add_co_ci_u32_e64 v206, null, v198, v160, vcc_lo
	v_add_co_u32 v207, vcc_lo, v199, v159
	v_add_co_ci_u32_e64 v208, null, v200, v160, vcc_lo
	global_load_ushort v4, v[205:206], off
	global_load_ushort v205, v[207:208], off
	s_waitcnt vmcnt(1)
	v_cvt_f32_f16_e32 v4, v4
	s_waitcnt vmcnt(0)
	v_cvt_f32_f16_e32 v205, v205
	buffer_store_dword v205, off, s[36:39], 0 offset:236 ; 4-byte Folded Spill
.LBB176_152:                            ;   in Loop: Header=BB176_145 Depth=1
	s_or_b32 exec_lo, exec_lo, s7
	v_add_co_u32 v205, vcc_lo, v161, 2
	v_add_co_ci_u32_e64 v206, null, 0, v162, vcc_lo
	s_mov_b32 s7, exec_lo
	v_cmpx_gt_i64_e64 s[8:9], v[205:206]
	s_cbranch_execz .LBB176_154
; %bb.153:                              ;   in Loop: Header=BB176_145 Depth=1
	v_add_co_u32 v205, vcc_lo, v193, v159
	v_add_co_ci_u32_e64 v206, null, v194, v160, vcc_lo
	v_add_co_u32 v207, vcc_lo, v195, v159
	v_add_co_ci_u32_e64 v208, null, v196, v160, vcc_lo
	global_load_ushort v5, v[205:206], off
	global_load_ushort v205, v[207:208], off
	s_waitcnt vmcnt(1)
	v_cvt_f32_f16_e32 v5, v5
	s_waitcnt vmcnt(0)
	v_cvt_f32_f16_e32 v205, v205
	buffer_store_dword v205, off, s[36:39], 0 offset:232 ; 4-byte Folded Spill
.LBB176_154:                            ;   in Loop: Header=BB176_145 Depth=1
	s_or_b32 exec_lo, exec_lo, s7
	v_add_co_u32 v205, vcc_lo, v161, 3
	v_add_co_ci_u32_e64 v206, null, 0, v162, vcc_lo
	v_cmp_gt_i64_e32 vcc_lo, s[8:9], v[205:206]
	v_mov_b32_e32 v205, 0
	buffer_store_dword v205, off, s[36:39], 0 offset:240 ; 4-byte Folded Spill
	v_mov_b32_e32 v205, 0
	buffer_store_dword v205, off, s[36:39], 0 offset:244 ; 4-byte Folded Spill
	s_and_saveexec_b32 s7, vcc_lo
	s_cbranch_execz .LBB176_156
; %bb.155:                              ;   in Loop: Header=BB176_145 Depth=1
	v_add_co_u32 v205, vcc_lo, v189, v159
	v_add_co_ci_u32_e64 v206, null, v190, v160, vcc_lo
	v_add_co_u32 v207, vcc_lo, v191, v159
	v_add_co_ci_u32_e64 v208, null, v192, v160, vcc_lo
	global_load_ushort v6, v[205:206], off
	global_load_ushort v205, v[207:208], off
	s_waitcnt vmcnt(1)
	v_cvt_f32_f16_e32 v6, v6
	s_waitcnt vmcnt(0)
	v_cvt_f32_f16_e32 v205, v205
	buffer_store_dword v205, off, s[36:39], 0 offset:244 ; 4-byte Folded Spill
.LBB176_156:                            ;   in Loop: Header=BB176_145 Depth=1
	s_or_b32 exec_lo, exec_lo, s7
	v_add_co_u32 v205, vcc_lo, v161, 4
	v_add_co_ci_u32_e64 v206, null, 0, v162, vcc_lo
	s_mov_b32 s7, exec_lo
	v_cmpx_gt_i64_e64 s[8:9], v[205:206]
	s_cbranch_execz .LBB176_158
; %bb.157:                              ;   in Loop: Header=BB176_145 Depth=1
	v_add_co_u32 v205, vcc_lo, v185, v159
	v_add_co_ci_u32_e64 v206, null, v186, v160, vcc_lo
	v_add_co_u32 v207, vcc_lo, v187, v159
	v_add_co_ci_u32_e64 v208, null, v188, v160, vcc_lo
	global_load_ushort v7, v[205:206], off
	global_load_ushort v205, v[207:208], off
	s_waitcnt vmcnt(1)
	v_cvt_f32_f16_e32 v7, v7
	s_waitcnt vmcnt(0)
	v_cvt_f32_f16_e32 v205, v205
	buffer_store_dword v205, off, s[36:39], 0 offset:240 ; 4-byte Folded Spill
.LBB176_158:                            ;   in Loop: Header=BB176_145 Depth=1
	;; [unrolled: 42-line block ×8, first 2 shown]
	s_or_b32 exec_lo, exec_lo, s7
	v_add_co_u32 v205, vcc_lo, v161, 17
	v_add_co_ci_u32_e64 v206, null, 0, v162, vcc_lo
	v_cmp_gt_i64_e32 vcc_lo, s[8:9], v[205:206]
	v_mov_b32_e32 v205, 0
	v_mov_b32_e32 v206, 0
	s_and_saveexec_b32 s7, vcc_lo
	s_cbranch_execz .LBB176_184
; %bb.183:                              ;   in Loop: Header=BB176_145 Depth=1
	buffer_load_dword v20, off, s[36:39], 0 offset:224 ; 4-byte Folded Reload
	s_waitcnt vmcnt(0)
	v_add_co_u32 v206, vcc_lo, v20, v159
	v_add_co_ci_u32_e64 v207, null, v225, v160, vcc_lo
	v_add_co_u32 v208, vcc_lo, v226, v159
	v_add_co_ci_u32_e64 v209, null, v227, v160, vcc_lo
	global_load_ushort v20, v[206:207], off
	global_load_ushort v206, v[208:209], off
	s_waitcnt vmcnt(1)
	v_cvt_f32_f16_e32 v20, v20
	s_waitcnt vmcnt(0)
	v_cvt_f32_f16_e32 v206, v206
.LBB176_184:                            ;   in Loop: Header=BB176_145 Depth=1
	s_or_b32 exec_lo, exec_lo, s7
	v_add_co_u32 v207, vcc_lo, v161, 18
	v_add_co_ci_u32_e64 v208, null, 0, v162, vcc_lo
	s_mov_b32 s7, exec_lo
	v_cmpx_gt_i64_e64 s[8:9], v[207:208]
	s_cbranch_execz .LBB176_186
; %bb.185:                              ;   in Loop: Header=BB176_145 Depth=1
	buffer_load_dword v21, off, s[36:39], 0 offset:208 ; 4-byte Folded Reload
	s_waitcnt vmcnt(0)
	v_add_co_u32 v207, vcc_lo, v21, v159
	buffer_load_dword v21, off, s[36:39], 0 offset:212 ; 4-byte Folded Reload
	s_waitcnt vmcnt(0)
	v_add_co_ci_u32_e64 v208, null, v21, v160, vcc_lo
	buffer_load_dword v21, off, s[36:39], 0 offset:216 ; 4-byte Folded Reload
	s_waitcnt vmcnt(0)
	v_add_co_u32 v209, vcc_lo, v21, v159
	buffer_load_dword v21, off, s[36:39], 0 offset:220 ; 4-byte Folded Reload
	s_waitcnt vmcnt(0)
	v_add_co_ci_u32_e64 v210, null, v21, v160, vcc_lo
	global_load_ushort v21, v[207:208], off
	global_load_ushort v205, v[209:210], off
	s_waitcnt vmcnt(1)
	v_cvt_f32_f16_e32 v21, v21
	s_waitcnt vmcnt(0)
	v_cvt_f32_f16_e32 v205, v205
.LBB176_186:                            ;   in Loop: Header=BB176_145 Depth=1
	s_or_b32 exec_lo, exec_lo, s7
	v_add_co_u32 v207, vcc_lo, v161, 19
	v_add_co_ci_u32_e64 v208, null, 0, v162, vcc_lo
	v_cmp_gt_i64_e32 vcc_lo, s[8:9], v[207:208]
	v_mov_b32_e32 v207, 0
	v_mov_b32_e32 v208, 0
	s_and_saveexec_b32 s7, vcc_lo
	s_cbranch_execz .LBB176_188
; %bb.187:                              ;   in Loop: Header=BB176_145 Depth=1
	buffer_load_dword v22, off, s[36:39], 0 offset:192 ; 4-byte Folded Reload
	s_waitcnt vmcnt(0)
	v_add_co_u32 v208, vcc_lo, v22, v159
	buffer_load_dword v22, off, s[36:39], 0 offset:196 ; 4-byte Folded Reload
	s_waitcnt vmcnt(0)
	v_add_co_ci_u32_e64 v209, null, v22, v160, vcc_lo
	buffer_load_dword v22, off, s[36:39], 0 offset:200 ; 4-byte Folded Reload
	s_waitcnt vmcnt(0)
	v_add_co_u32 v210, vcc_lo, v22, v159
	buffer_load_dword v22, off, s[36:39], 0 offset:204 ; 4-byte Folded Reload
	s_waitcnt vmcnt(0)
	v_add_co_ci_u32_e64 v211, null, v22, v160, vcc_lo
	global_load_ushort v22, v[208:209], off
	global_load_ushort v208, v[210:211], off
	s_waitcnt vmcnt(1)
	v_cvt_f32_f16_e32 v22, v22
	s_waitcnt vmcnt(0)
	v_cvt_f32_f16_e32 v208, v208
.LBB176_188:                            ;   in Loop: Header=BB176_145 Depth=1
	s_or_b32 exec_lo, exec_lo, s7
	v_add_co_u32 v209, vcc_lo, v161, 20
	v_add_co_ci_u32_e64 v210, null, 0, v162, vcc_lo
	s_mov_b32 s7, exec_lo
	v_cmpx_gt_i64_e64 s[8:9], v[209:210]
	s_cbranch_execz .LBB176_190
; %bb.189:                              ;   in Loop: Header=BB176_145 Depth=1
	buffer_load_dword v23, off, s[36:39], 0 offset:176 ; 4-byte Folded Reload
	s_waitcnt vmcnt(0)
	v_add_co_u32 v209, vcc_lo, v23, v159
	buffer_load_dword v23, off, s[36:39], 0 offset:180 ; 4-byte Folded Reload
	s_waitcnt vmcnt(0)
	v_add_co_ci_u32_e64 v210, null, v23, v160, vcc_lo
	buffer_load_dword v23, off, s[36:39], 0 offset:184 ; 4-byte Folded Reload
	s_waitcnt vmcnt(0)
	v_add_co_u32 v211, vcc_lo, v23, v159
	buffer_load_dword v23, off, s[36:39], 0 offset:188 ; 4-byte Folded Reload
	s_waitcnt vmcnt(0)
	v_add_co_ci_u32_e64 v212, null, v23, v160, vcc_lo
	global_load_ushort v23, v[209:210], off
	global_load_ushort v207, v[211:212], off
	s_waitcnt vmcnt(1)
	v_cvt_f32_f16_e32 v23, v23
	s_waitcnt vmcnt(0)
	v_cvt_f32_f16_e32 v207, v207
.LBB176_190:                            ;   in Loop: Header=BB176_145 Depth=1
	s_or_b32 exec_lo, exec_lo, s7
	v_add_co_u32 v209, vcc_lo, v161, 21
	v_add_co_ci_u32_e64 v210, null, 0, v162, vcc_lo
	v_cmp_gt_i64_e32 vcc_lo, s[8:9], v[209:210]
	v_mov_b32_e32 v209, 0
	v_mov_b32_e32 v210, 0
	s_and_saveexec_b32 s7, vcc_lo
	s_cbranch_execz .LBB176_192
; %bb.191:                              ;   in Loop: Header=BB176_145 Depth=1
	buffer_load_dword v24, off, s[36:39], 0 offset:160 ; 4-byte Folded Reload
	s_waitcnt vmcnt(0)
	v_add_co_u32 v210, vcc_lo, v24, v159
	buffer_load_dword v24, off, s[36:39], 0 offset:164 ; 4-byte Folded Reload
	s_waitcnt vmcnt(0)
	v_add_co_ci_u32_e64 v211, null, v24, v160, vcc_lo
	buffer_load_dword v24, off, s[36:39], 0 offset:168 ; 4-byte Folded Reload
	s_waitcnt vmcnt(0)
	v_add_co_u32 v212, vcc_lo, v24, v159
	buffer_load_dword v24, off, s[36:39], 0 offset:172 ; 4-byte Folded Reload
	s_waitcnt vmcnt(0)
	v_add_co_ci_u32_e64 v213, null, v24, v160, vcc_lo
	global_load_ushort v24, v[210:211], off
	global_load_ushort v210, v[212:213], off
	s_waitcnt vmcnt(1)
	v_cvt_f32_f16_e32 v24, v24
	s_waitcnt vmcnt(0)
	v_cvt_f32_f16_e32 v210, v210
.LBB176_192:                            ;   in Loop: Header=BB176_145 Depth=1
	s_or_b32 exec_lo, exec_lo, s7
	v_add_co_u32 v211, vcc_lo, v161, 22
	v_add_co_ci_u32_e64 v212, null, 0, v162, vcc_lo
	s_mov_b32 s7, exec_lo
	v_cmpx_gt_i64_e64 s[8:9], v[211:212]
	s_cbranch_execz .LBB176_194
; %bb.193:                              ;   in Loop: Header=BB176_145 Depth=1
	buffer_load_dword v25, off, s[36:39], 0 offset:144 ; 4-byte Folded Reload
	s_waitcnt vmcnt(0)
	v_add_co_u32 v211, vcc_lo, v25, v159
	buffer_load_dword v25, off, s[36:39], 0 offset:148 ; 4-byte Folded Reload
	s_waitcnt vmcnt(0)
	v_add_co_ci_u32_e64 v212, null, v25, v160, vcc_lo
	buffer_load_dword v25, off, s[36:39], 0 offset:152 ; 4-byte Folded Reload
	s_waitcnt vmcnt(0)
	v_add_co_u32 v213, vcc_lo, v25, v159
	buffer_load_dword v25, off, s[36:39], 0 offset:156 ; 4-byte Folded Reload
	s_waitcnt vmcnt(0)
	v_add_co_ci_u32_e64 v214, null, v25, v160, vcc_lo
	global_load_ushort v25, v[211:212], off
	global_load_ushort v209, v[213:214], off
	s_waitcnt vmcnt(1)
	v_cvt_f32_f16_e32 v25, v25
	s_waitcnt vmcnt(0)
	v_cvt_f32_f16_e32 v209, v209
.LBB176_194:                            ;   in Loop: Header=BB176_145 Depth=1
	s_or_b32 exec_lo, exec_lo, s7
	v_add_co_u32 v211, vcc_lo, v161, 23
	v_add_co_ci_u32_e64 v212, null, 0, v162, vcc_lo
	v_cmp_gt_i64_e32 vcc_lo, s[8:9], v[211:212]
	v_mov_b32_e32 v211, 0
	v_mov_b32_e32 v212, 0
	s_and_saveexec_b32 s7, vcc_lo
	s_cbranch_execz .LBB176_196
; %bb.195:                              ;   in Loop: Header=BB176_145 Depth=1
	buffer_load_dword v26, off, s[36:39], 0 offset:128 ; 4-byte Folded Reload
	s_waitcnt vmcnt(0)
	v_add_co_u32 v212, vcc_lo, v26, v159
	buffer_load_dword v26, off, s[36:39], 0 offset:132 ; 4-byte Folded Reload
	s_waitcnt vmcnt(0)
	v_add_co_ci_u32_e64 v213, null, v26, v160, vcc_lo
	buffer_load_dword v26, off, s[36:39], 0 offset:136 ; 4-byte Folded Reload
	s_waitcnt vmcnt(0)
	v_add_co_u32 v214, vcc_lo, v26, v159
	buffer_load_dword v26, off, s[36:39], 0 offset:140 ; 4-byte Folded Reload
	s_waitcnt vmcnt(0)
	v_add_co_ci_u32_e64 v215, null, v26, v160, vcc_lo
	global_load_ushort v26, v[212:213], off
	global_load_ushort v212, v[214:215], off
	s_waitcnt vmcnt(1)
	v_cvt_f32_f16_e32 v26, v26
	s_waitcnt vmcnt(0)
	v_cvt_f32_f16_e32 v212, v212
.LBB176_196:                            ;   in Loop: Header=BB176_145 Depth=1
	s_or_b32 exec_lo, exec_lo, s7
	v_add_co_u32 v213, vcc_lo, v161, 24
	v_add_co_ci_u32_e64 v214, null, 0, v162, vcc_lo
	s_mov_b32 s7, exec_lo
	v_cmpx_gt_i64_e64 s[8:9], v[213:214]
	s_cbranch_execz .LBB176_198
; %bb.197:                              ;   in Loop: Header=BB176_145 Depth=1
	buffer_load_dword v27, off, s[36:39], 0 offset:112 ; 4-byte Folded Reload
	s_waitcnt vmcnt(0)
	v_add_co_u32 v213, vcc_lo, v27, v159
	buffer_load_dword v27, off, s[36:39], 0 offset:116 ; 4-byte Folded Reload
	s_waitcnt vmcnt(0)
	v_add_co_ci_u32_e64 v214, null, v27, v160, vcc_lo
	buffer_load_dword v27, off, s[36:39], 0 offset:120 ; 4-byte Folded Reload
	s_waitcnt vmcnt(0)
	v_add_co_u32 v215, vcc_lo, v27, v159
	buffer_load_dword v27, off, s[36:39], 0 offset:124 ; 4-byte Folded Reload
	s_waitcnt vmcnt(0)
	v_add_co_ci_u32_e64 v216, null, v27, v160, vcc_lo
	global_load_ushort v27, v[213:214], off
	global_load_ushort v211, v[215:216], off
	s_waitcnt vmcnt(1)
	v_cvt_f32_f16_e32 v27, v27
	s_waitcnt vmcnt(0)
	v_cvt_f32_f16_e32 v211, v211
.LBB176_198:                            ;   in Loop: Header=BB176_145 Depth=1
	s_or_b32 exec_lo, exec_lo, s7
	v_add_co_u32 v213, vcc_lo, v161, 25
	v_add_co_ci_u32_e64 v214, null, 0, v162, vcc_lo
	v_cmp_gt_i64_e32 vcc_lo, s[8:9], v[213:214]
	v_mov_b32_e32 v213, 0
	v_mov_b32_e32 v214, 0
	s_and_saveexec_b32 s7, vcc_lo
	s_cbranch_execz .LBB176_200
; %bb.199:                              ;   in Loop: Header=BB176_145 Depth=1
	buffer_load_dword v28, off, s[36:39], 0 offset:96 ; 4-byte Folded Reload
	s_waitcnt vmcnt(0)
	v_add_co_u32 v214, vcc_lo, v28, v159
	buffer_load_dword v28, off, s[36:39], 0 offset:100 ; 4-byte Folded Reload
	s_waitcnt vmcnt(0)
	v_add_co_ci_u32_e64 v215, null, v28, v160, vcc_lo
	buffer_load_dword v28, off, s[36:39], 0 offset:104 ; 4-byte Folded Reload
	s_waitcnt vmcnt(0)
	v_add_co_u32 v216, vcc_lo, v28, v159
	buffer_load_dword v28, off, s[36:39], 0 offset:108 ; 4-byte Folded Reload
	s_waitcnt vmcnt(0)
	v_add_co_ci_u32_e64 v217, null, v28, v160, vcc_lo
	global_load_ushort v28, v[214:215], off
	global_load_ushort v214, v[216:217], off
	s_waitcnt vmcnt(1)
	v_cvt_f32_f16_e32 v28, v28
	s_waitcnt vmcnt(0)
	v_cvt_f32_f16_e32 v214, v214
.LBB176_200:                            ;   in Loop: Header=BB176_145 Depth=1
	s_or_b32 exec_lo, exec_lo, s7
	v_add_co_u32 v215, vcc_lo, v161, 26
	v_add_co_ci_u32_e64 v216, null, 0, v162, vcc_lo
	s_mov_b32 s7, exec_lo
	v_cmpx_gt_i64_e64 s[8:9], v[215:216]
	s_cbranch_execz .LBB176_202
; %bb.201:                              ;   in Loop: Header=BB176_145 Depth=1
	buffer_load_dword v29, off, s[36:39], 0 offset:80 ; 4-byte Folded Reload
	s_waitcnt vmcnt(0)
	v_add_co_u32 v215, vcc_lo, v29, v159
	buffer_load_dword v29, off, s[36:39], 0 offset:84 ; 4-byte Folded Reload
	s_waitcnt vmcnt(0)
	v_add_co_ci_u32_e64 v216, null, v29, v160, vcc_lo
	buffer_load_dword v29, off, s[36:39], 0 offset:88 ; 4-byte Folded Reload
	s_waitcnt vmcnt(0)
	v_add_co_u32 v217, vcc_lo, v29, v159
	buffer_load_dword v29, off, s[36:39], 0 offset:92 ; 4-byte Folded Reload
	s_waitcnt vmcnt(0)
	v_add_co_ci_u32_e64 v218, null, v29, v160, vcc_lo
	global_load_ushort v29, v[215:216], off
	global_load_ushort v213, v[217:218], off
	s_waitcnt vmcnt(1)
	v_cvt_f32_f16_e32 v29, v29
	s_waitcnt vmcnt(0)
	v_cvt_f32_f16_e32 v213, v213
.LBB176_202:                            ;   in Loop: Header=BB176_145 Depth=1
	s_or_b32 exec_lo, exec_lo, s7
	v_add_co_u32 v215, vcc_lo, v161, 27
	v_add_co_ci_u32_e64 v216, null, 0, v162, vcc_lo
	v_cmp_gt_i64_e32 vcc_lo, s[8:9], v[215:216]
	v_mov_b32_e32 v215, 0
	v_mov_b32_e32 v216, 0
	s_and_saveexec_b32 s7, vcc_lo
	s_cbranch_execz .LBB176_204
; %bb.203:                              ;   in Loop: Header=BB176_145 Depth=1
	buffer_load_dword v30, off, s[36:39], 0 offset:64 ; 4-byte Folded Reload
	s_waitcnt vmcnt(0)
	v_add_co_u32 v216, vcc_lo, v30, v159
	buffer_load_dword v30, off, s[36:39], 0 offset:68 ; 4-byte Folded Reload
	s_waitcnt vmcnt(0)
	v_add_co_ci_u32_e64 v217, null, v30, v160, vcc_lo
	buffer_load_dword v30, off, s[36:39], 0 offset:72 ; 4-byte Folded Reload
	s_waitcnt vmcnt(0)
	v_add_co_u32 v218, vcc_lo, v30, v159
	buffer_load_dword v30, off, s[36:39], 0 offset:76 ; 4-byte Folded Reload
	s_waitcnt vmcnt(0)
	v_add_co_ci_u32_e64 v219, null, v30, v160, vcc_lo
	global_load_ushort v30, v[216:217], off
	global_load_ushort v216, v[218:219], off
	s_waitcnt vmcnt(1)
	v_cvt_f32_f16_e32 v30, v30
	s_waitcnt vmcnt(0)
	v_cvt_f32_f16_e32 v216, v216
.LBB176_204:                            ;   in Loop: Header=BB176_145 Depth=1
	s_or_b32 exec_lo, exec_lo, s7
	v_add_co_u32 v217, vcc_lo, v161, 28
	v_add_co_ci_u32_e64 v218, null, 0, v162, vcc_lo
	s_mov_b32 s7, exec_lo
	v_cmpx_gt_i64_e64 s[8:9], v[217:218]
	s_cbranch_execz .LBB176_206
; %bb.205:                              ;   in Loop: Header=BB176_145 Depth=1
	buffer_load_dword v31, off, s[36:39], 0 offset:48 ; 4-byte Folded Reload
	s_waitcnt vmcnt(0)
	v_add_co_u32 v217, vcc_lo, v31, v159
	buffer_load_dword v31, off, s[36:39], 0 offset:52 ; 4-byte Folded Reload
	s_waitcnt vmcnt(0)
	v_add_co_ci_u32_e64 v218, null, v31, v160, vcc_lo
	buffer_load_dword v31, off, s[36:39], 0 offset:56 ; 4-byte Folded Reload
	s_waitcnt vmcnt(0)
	v_add_co_u32 v219, vcc_lo, v31, v159
	buffer_load_dword v31, off, s[36:39], 0 offset:60 ; 4-byte Folded Reload
	s_waitcnt vmcnt(0)
	v_add_co_ci_u32_e64 v220, null, v31, v160, vcc_lo
	global_load_ushort v31, v[217:218], off
	global_load_ushort v215, v[219:220], off
	s_waitcnt vmcnt(1)
	v_cvt_f32_f16_e32 v31, v31
	s_waitcnt vmcnt(0)
	v_cvt_f32_f16_e32 v215, v215
.LBB176_206:                            ;   in Loop: Header=BB176_145 Depth=1
	s_or_b32 exec_lo, exec_lo, s7
	v_add_co_u32 v217, vcc_lo, v161, 29
	v_add_co_ci_u32_e64 v218, null, 0, v162, vcc_lo
	v_cmp_gt_i64_e32 vcc_lo, s[8:9], v[217:218]
	v_mov_b32_e32 v217, 0
	v_mov_b32_e32 v218, 0
	s_and_saveexec_b32 s7, vcc_lo
	s_cbranch_execz .LBB176_208
; %bb.207:                              ;   in Loop: Header=BB176_145 Depth=1
	buffer_load_dword v32, off, s[36:39], 0 offset:32 ; 4-byte Folded Reload
	s_waitcnt vmcnt(0)
	v_add_co_u32 v218, vcc_lo, v32, v159
	buffer_load_dword v32, off, s[36:39], 0 offset:36 ; 4-byte Folded Reload
	s_waitcnt vmcnt(0)
	v_add_co_ci_u32_e64 v219, null, v32, v160, vcc_lo
	buffer_load_dword v32, off, s[36:39], 0 offset:40 ; 4-byte Folded Reload
	s_waitcnt vmcnt(0)
	v_add_co_u32 v220, vcc_lo, v32, v159
	buffer_load_dword v32, off, s[36:39], 0 offset:44 ; 4-byte Folded Reload
	s_waitcnt vmcnt(0)
	v_add_co_ci_u32_e64 v221, null, v32, v160, vcc_lo
	global_load_ushort v32, v[218:219], off
	global_load_ushort v218, v[220:221], off
	s_waitcnt vmcnt(1)
	v_cvt_f32_f16_e32 v32, v32
	s_waitcnt vmcnt(0)
	v_cvt_f32_f16_e32 v218, v218
.LBB176_208:                            ;   in Loop: Header=BB176_145 Depth=1
	s_or_b32 exec_lo, exec_lo, s7
	v_add_co_u32 v219, vcc_lo, v161, 30
	v_add_co_ci_u32_e64 v220, null, 0, v162, vcc_lo
	s_mov_b32 s7, exec_lo
	v_cmpx_gt_i64_e64 s[8:9], v[219:220]
	s_cbranch_execz .LBB176_210
; %bb.209:                              ;   in Loop: Header=BB176_145 Depth=1
	buffer_load_dword v33, off, s[36:39], 0 offset:16 ; 4-byte Folded Reload
	s_waitcnt vmcnt(0)
	v_add_co_u32 v219, vcc_lo, v33, v159
	buffer_load_dword v33, off, s[36:39], 0 offset:20 ; 4-byte Folded Reload
	s_waitcnt vmcnt(0)
	v_add_co_ci_u32_e64 v220, null, v33, v160, vcc_lo
	buffer_load_dword v33, off, s[36:39], 0 offset:24 ; 4-byte Folded Reload
	s_waitcnt vmcnt(0)
	v_add_co_u32 v221, vcc_lo, v33, v159
	buffer_load_dword v33, off, s[36:39], 0 offset:28 ; 4-byte Folded Reload
	s_waitcnt vmcnt(0)
	v_add_co_ci_u32_e64 v222, null, v33, v160, vcc_lo
	global_load_ushort v33, v[219:220], off
	global_load_ushort v217, v[221:222], off
	s_waitcnt vmcnt(1)
	v_cvt_f32_f16_e32 v33, v33
	s_waitcnt vmcnt(0)
	v_cvt_f32_f16_e32 v217, v217
.LBB176_210:                            ;   in Loop: Header=BB176_145 Depth=1
	s_or_b32 exec_lo, exec_lo, s7
	v_add_co_u32 v219, vcc_lo, v161, 31
	v_add_co_ci_u32_e64 v220, null, 0, v162, vcc_lo
	v_cmp_gt_i64_e32 vcc_lo, s[8:9], v[219:220]
	v_mov_b32_e32 v219, 0
	s_and_saveexec_b32 s7, vcc_lo
	s_cbranch_execz .LBB176_212
; %bb.211:                              ;   in Loop: Header=BB176_145 Depth=1
	buffer_load_dword v34, off, s[36:39], 0 ; 4-byte Folded Reload
	s_waitcnt vmcnt(0)
	v_add_co_u32 v219, vcc_lo, v34, v159
	buffer_load_dword v34, off, s[36:39], 0 offset:4 ; 4-byte Folded Reload
	s_waitcnt vmcnt(0)
	v_add_co_ci_u32_e64 v220, null, v34, v160, vcc_lo
	buffer_load_dword v34, off, s[36:39], 0 offset:8 ; 4-byte Folded Reload
	s_waitcnt vmcnt(0)
	v_add_co_u32 v221, vcc_lo, v34, v159
	buffer_load_dword v34, off, s[36:39], 0 offset:12 ; 4-byte Folded Reload
	s_waitcnt vmcnt(0)
	v_add_co_ci_u32_e64 v222, null, v34, v160, vcc_lo
	global_load_ushort v34, v[219:220], off
	global_load_ushort v219, v[221:222], off
	s_waitcnt vmcnt(1)
	v_cvt_f32_f16_e32 v34, v34
	s_waitcnt vmcnt(0)
	v_cvt_f32_f16_e32 v219, v219
.LBB176_212:                            ;   in Loop: Header=BB176_145 Depth=1
	s_or_b32 exec_lo, exec_lo, s7
	v_mul_f32_e32 v3, v202, v3
	s_waitcnt vmcnt(0)
	ds_bpermute_b32 v202, v2, v204
	s_mov_b32 s7, 0
	s_waitcnt lgkmcnt(0)
	v_fma_f32 v202, v3, v202, v203
	buffer_load_dword v3, off, s[36:39], 0 offset:236 ; 4-byte Folded Reload
	s_waitcnt vmcnt(0)
	v_mul_f32_e32 v3, v3, v4
	ds_bpermute_b32 v4, v2, v204 offset:4
	s_waitcnt lgkmcnt(0)
	v_fmac_f32_e32 v202, v3, v4
	buffer_load_dword v3, off, s[36:39], 0 offset:232 ; 4-byte Folded Reload
	ds_bpermute_b32 v4, v2, v204 offset:8
	s_waitcnt vmcnt(0)
	v_mul_f32_e32 v3, v3, v5
	v_mul_f32_e32 v5, v214, v28
	s_waitcnt lgkmcnt(0)
	v_fmac_f32_e32 v202, v3, v4
	buffer_load_dword v3, off, s[36:39], 0 offset:244 ; 4-byte Folded Reload
	ds_bpermute_b32 v4, v2, v204 offset:12
	s_waitcnt vmcnt(0)
	v_mul_f32_e32 v3, v3, v6
	ds_bpermute_b32 v6, v2, v204 offset:112
	s_waitcnt lgkmcnt(1)
	v_fmac_f32_e32 v202, v3, v4
	buffer_load_dword v3, off, s[36:39], 0 offset:240 ; 4-byte Folded Reload
	ds_bpermute_b32 v4, v2, v204 offset:16
	s_waitcnt vmcnt(0)
	v_mul_f32_e32 v3, v3, v7
	ds_bpermute_b32 v7, v2, v204 offset:120
	s_waitcnt lgkmcnt(1)
	v_fmac_f32_e32 v202, v3, v4
	buffer_load_dword v3, off, s[36:39], 0 offset:252 ; 4-byte Folded Reload
	ds_bpermute_b32 v4, v2, v204 offset:20
	s_waitcnt vmcnt(0)
	v_mul_f32_e32 v3, v3, v8
	v_mul_f32_e32 v8, v215, v31
	s_waitcnt lgkmcnt(0)
	v_fmac_f32_e32 v202, v3, v4
	buffer_load_dword v3, off, s[36:39], 0 offset:248 ; 4-byte Folded Reload
	ds_bpermute_b32 v4, v2, v204 offset:24
	s_waitcnt vmcnt(0)
	v_mul_f32_e32 v3, v3, v9
	s_waitcnt lgkmcnt(0)
	v_fmac_f32_e32 v202, v3, v4
	buffer_load_dword v3, off, s[36:39], 0 offset:260 ; 4-byte Folded Reload
	ds_bpermute_b32 v4, v2, v204 offset:28
	s_waitcnt vmcnt(0)
	;; [unrolled: 6-line block ×11, first 2 shown]
	v_mul_f32_e32 v3, v3, v19
	s_waitcnt lgkmcnt(0)
	v_fmac_f32_e32 v202, v3, v4
	ds_bpermute_b32 v4, v2, v204 offset:68
	v_mul_f32_e32 v3, v206, v20
	s_waitcnt lgkmcnt(0)
	v_fmac_f32_e32 v202, v3, v4
	ds_bpermute_b32 v4, v2, v204 offset:72
	;; [unrolled: 4-line block ×9, first 2 shown]
	ds_bpermute_b32 v4, v2, v204 offset:104
	s_waitcnt lgkmcnt(1)
	v_fmac_f32_e32 v202, v5, v3
	ds_bpermute_b32 v3, v2, v204 offset:108
	v_mul_f32_e32 v5, v213, v29
	s_waitcnt lgkmcnt(1)
	v_fmac_f32_e32 v202, v5, v4
	ds_bpermute_b32 v4, v2, v204 offset:116
	v_mul_f32_e32 v5, v216, v30
	;; [unrolled: 4-line block ×3, first 2 shown]
	v_fmac_f32_e32 v202, v8, v6
	v_mul_f32_e32 v6, v217, v33
	s_waitcnt lgkmcnt(1)
	v_fmac_f32_e32 v202, v5, v4
	v_mul_f32_e32 v4, v219, v34
	v_fmac_f32_e32 v202, v6, v7
	s_waitcnt lgkmcnt(0)
	v_fmac_f32_e32 v202, v4, v3
.LBB176_213:                            ;   in Loop: Header=BB176_145 Depth=1
	s_and_b32 vcc_lo, exec_lo, s7
	s_cbranch_vccz .LBB176_217
; %bb.214:                              ;   in Loop: Header=BB176_145 Depth=1
	s_load_dword s7, s[20:21], 0x0
	v_mov_b32_e32 v5, 0
	s_waitcnt lgkmcnt(0)
	s_cmp_lt_u32 s6, s7
	s_cselect_b32 s7, 12, 18
	s_add_u32 s24, s20, s7
	s_addc_u32 s25, s21, 0
	s_mov_b32 s7, exec_lo
	global_load_ushort v3, v2, s[24:25]
	s_waitcnt vmcnt(0)
	v_mad_u32_u24 v3, v223, v3, v224
	v_and_b32_e32 v3, 31, v3
	v_add_co_u32 v3, vcc_lo, v161, v3
	v_add_co_ci_u32_e64 v4, null, 0, v162, vcc_lo
	v_cmpx_gt_i64_e64 s[8:9], v[3:4]
	s_cbranch_execz .LBB176_216
; %bb.215:                              ;   in Loop: Header=BB176_145 Depth=1
	v_lshlrev_b64 v[3:4], 2, v[3:4]
	v_add_co_u32 v3, vcc_lo, s16, v3
	v_add_co_ci_u32_e64 v4, null, s17, v4, vcc_lo
	global_load_dword v5, v[3:4], off
.LBB176_216:                            ;   in Loop: Header=BB176_145 Depth=1
	s_or_b32 exec_lo, exec_lo, s7
	v_add_co_u32 v3, vcc_lo, v164, v159
	v_add_co_ci_u32_e64 v4, null, v165, v160, vcc_lo
	global_load_ushort v6, v[3:4], off
	v_add_co_u32 v3, vcc_lo, v166, v159
	v_add_co_ci_u32_e64 v4, null, v167, v160, vcc_lo
	global_load_ushort v3, v[3:4], off
	s_waitcnt vmcnt(1)
	v_cvt_f32_f16_e32 v4, v6
	s_waitcnt vmcnt(0)
	v_cvt_f32_f16_e32 v3, v3
	v_mul_f32_e32 v3, v4, v3
	ds_bpermute_b32 v4, v2, v5
	s_waitcnt lgkmcnt(0)
	v_fmac_f32_e32 v203, v3, v4
	v_add_co_u32 v3, vcc_lo, v35, v159
	v_add_co_ci_u32_e64 v4, null, v36, v160, vcc_lo
	global_load_ushort v6, v[3:4], off
	v_add_co_u32 v3, vcc_lo, v49, v159
	v_add_co_ci_u32_e64 v4, null, v50, v160, vcc_lo
	global_load_ushort v3, v[3:4], off
	s_waitcnt vmcnt(1)
	v_cvt_f32_f16_e32 v4, v6
	s_waitcnt vmcnt(0)
	v_cvt_f32_f16_e32 v3, v3
	v_mul_f32_e32 v3, v4, v3
	ds_bpermute_b32 v4, v2, v5 offset:4
	s_waitcnt lgkmcnt(0)
	v_fmac_f32_e32 v203, v3, v4
	v_add_co_u32 v3, vcc_lo, v37, v159
	v_add_co_ci_u32_e64 v4, null, v38, v160, vcc_lo
	global_load_ushort v6, v[3:4], off
	v_add_co_u32 v3, vcc_lo, v53, v159
	v_add_co_ci_u32_e64 v4, null, v54, v160, vcc_lo
	global_load_ushort v3, v[3:4], off
	s_waitcnt vmcnt(1)
	v_cvt_f32_f16_e32 v4, v6
	s_waitcnt vmcnt(0)
	v_cvt_f32_f16_e32 v3, v3
	v_mul_f32_e32 v3, v4, v3
	ds_bpermute_b32 v4, v2, v5 offset:8
	;; [unrolled: 14-line block ×31, first 2 shown]
	s_waitcnt lgkmcnt(0)
	v_fmac_f32_e32 v203, v3, v4
	v_mov_b32_e32 v202, v203
.LBB176_217:                            ;   in Loop: Header=BB176_145 Depth=1
	s_clause 0x1
	buffer_load_dword v5, off, s[36:39], 0 offset:228
	buffer_load_dword v3, off, s[36:39], 0
	v_add_co_u32 v164, vcc_lo, v164, s12
	v_add_co_ci_u32_e64 v165, null, s13, v165, vcc_lo
	v_add_co_u32 v166, vcc_lo, v166, s12
	v_add_co_ci_u32_e64 v167, null, s13, v167, vcc_lo
	v_add_co_u32 v35, vcc_lo, v35, s12
	v_add_co_ci_u32_e64 v36, null, s13, v36, vcc_lo
	v_add_co_u32 v37, vcc_lo, v37, s12
	v_add_co_ci_u32_e64 v38, null, s13, v38, vcc_lo
	v_add_co_u32 v39, vcc_lo, v39, s12
	v_add_co_ci_u32_e64 v40, null, s13, v40, vcc_lo
	v_add_co_u32 v41, vcc_lo, v41, s12
	v_add_co_ci_u32_e64 v42, null, s13, v42, vcc_lo
	v_add_co_u32 v43, vcc_lo, v43, s12
	v_add_co_ci_u32_e64 v44, null, s13, v44, vcc_lo
	v_add_co_u32 v45, vcc_lo, v45, s12
	v_add_co_ci_u32_e64 v46, null, s13, v46, vcc_lo
	v_add_co_u32 v47, vcc_lo, v47, s12
	v_add_co_ci_u32_e64 v48, null, s13, v48, vcc_lo
	v_add_co_u32 v51, vcc_lo, v51, s12
	v_add_co_ci_u32_e64 v52, null, s13, v52, vcc_lo
	v_add_co_u32 v59, vcc_lo, v59, s12
	v_add_co_ci_u32_e64 v60, null, s13, v60, vcc_lo
	v_add_co_u32 v71, vcc_lo, v71, s12
	v_add_co_ci_u32_e64 v72, null, s13, v72, vcc_lo
	v_add_co_u32 v75, vcc_lo, v75, s12
	v_add_co_ci_u32_e64 v76, null, s13, v76, vcc_lo
	v_add_co_u32 v79, vcc_lo, v79, s12
	v_add_co_ci_u32_e64 v80, null, s13, v80, vcc_lo
	v_add_co_u32 v83, vcc_lo, v83, s12
	v_add_co_ci_u32_e64 v84, null, s13, v84, vcc_lo
	v_add_co_u32 v87, vcc_lo, v87, s12
	v_add_co_ci_u32_e64 v88, null, s13, v88, vcc_lo
	v_add_co_u32 v91, vcc_lo, v91, s12
	v_add_co_ci_u32_e64 v92, null, s13, v92, vcc_lo
	v_add_co_u32 v95, vcc_lo, v95, s12
	v_add_co_ci_u32_e64 v96, null, s13, v96, vcc_lo
	v_add_co_u32 v99, vcc_lo, v99, s12
	v_add_co_ci_u32_e64 v100, null, s13, v100, vcc_lo
	v_add_co_u32 v103, vcc_lo, v103, s12
	v_add_co_ci_u32_e64 v104, null, s13, v104, vcc_lo
	v_add_co_u32 v107, vcc_lo, v107, s12
	v_add_co_ci_u32_e64 v108, null, s13, v108, vcc_lo
	v_add_co_u32 v111, vcc_lo, v111, s12
	v_add_co_ci_u32_e64 v112, null, s13, v112, vcc_lo
	v_add_co_u32 v115, vcc_lo, v115, s12
	v_add_co_ci_u32_e64 v116, null, s13, v116, vcc_lo
	v_add_co_u32 v119, vcc_lo, v119, s12
	v_add_co_ci_u32_e64 v120, null, s13, v120, vcc_lo
	v_add_co_u32 v123, vcc_lo, v123, s12
	v_add_co_ci_u32_e64 v124, null, s13, v124, vcc_lo
	v_add_co_u32 v127, vcc_lo, v127, s12
	v_add_co_ci_u32_e64 v128, null, s13, v128, vcc_lo
	v_add_co_u32 v131, vcc_lo, v131, s12
	v_add_co_ci_u32_e64 v132, null, s13, v132, vcc_lo
	v_add_co_u32 v135, vcc_lo, v135, s12
	v_add_co_ci_u32_e64 v136, null, s13, v136, vcc_lo
	v_add_co_u32 v139, vcc_lo, v139, s12
	v_add_co_ci_u32_e64 v140, null, s13, v140, vcc_lo
	v_add_co_u32 v143, vcc_lo, v143, s12
	v_add_co_ci_u32_e64 v144, null, s13, v144, vcc_lo
	v_add_co_u32 v147, vcc_lo, v147, s12
	v_add_co_ci_u32_e64 v148, null, s13, v148, vcc_lo
	v_add_co_u32 v151, vcc_lo, v151, s12
	v_add_co_ci_u32_e64 v152, null, s13, v152, vcc_lo
	v_add_co_u32 v155, vcc_lo, v155, s12
	v_add_co_ci_u32_e64 v156, null, s13, v156, vcc_lo
	v_add_co_u32 v49, vcc_lo, v49, s12
	v_add_co_ci_u32_e64 v50, null, s13, v50, vcc_lo
	v_add_co_u32 v53, vcc_lo, v53, s12
	v_add_co_ci_u32_e64 v54, null, s13, v54, vcc_lo
	v_add_co_u32 v55, vcc_lo, v55, s12
	v_add_co_ci_u32_e64 v56, null, s13, v56, vcc_lo
	v_add_co_u32 v57, vcc_lo, v57, s12
	v_add_co_ci_u32_e64 v58, null, s13, v58, vcc_lo
	v_add_co_u32 v61, vcc_lo, v61, s12
	v_add_co_ci_u32_e64 v62, null, s13, v62, vcc_lo
	v_add_co_u32 v63, vcc_lo, v63, s12
	v_add_co_ci_u32_e64 v64, null, s13, v64, vcc_lo
	v_add_co_u32 v65, vcc_lo, v65, s12
	v_add_co_ci_u32_e64 v66, null, s13, v66, vcc_lo
	v_add_co_u32 v67, vcc_lo, v67, s12
	v_add_co_ci_u32_e64 v68, null, s13, v68, vcc_lo
	v_add_co_u32 v69, vcc_lo, v69, s12
	v_add_co_ci_u32_e64 v70, null, s13, v70, vcc_lo
	v_add_co_u32 v73, vcc_lo, v73, s12
	v_add_co_ci_u32_e64 v74, null, s13, v74, vcc_lo
	v_add_co_u32 v77, vcc_lo, v77, s12
	v_add_co_ci_u32_e64 v78, null, s13, v78, vcc_lo
	v_add_co_u32 v81, vcc_lo, v81, s12
	v_add_co_ci_u32_e64 v82, null, s13, v82, vcc_lo
	v_add_co_u32 v85, vcc_lo, v85, s12
	v_add_co_ci_u32_e64 v86, null, s13, v86, vcc_lo
	v_add_co_u32 v89, vcc_lo, v89, s12
	v_add_co_ci_u32_e64 v90, null, s13, v90, vcc_lo
	v_add_co_u32 v93, vcc_lo, v93, s12
	v_add_co_ci_u32_e64 v94, null, s13, v94, vcc_lo
	v_add_co_u32 v97, vcc_lo, v97, s12
	v_add_co_ci_u32_e64 v98, null, s13, v98, vcc_lo
	v_add_co_u32 v101, vcc_lo, v101, s12
	v_add_co_ci_u32_e64 v102, null, s13, v102, vcc_lo
	v_add_co_u32 v105, vcc_lo, v105, s12
	v_add_co_ci_u32_e64 v106, null, s13, v106, vcc_lo
	v_add_co_u32 v109, vcc_lo, v109, s12
	v_add_co_ci_u32_e64 v110, null, s13, v110, vcc_lo
	v_add_co_u32 v113, vcc_lo, v113, s12
	v_add_co_ci_u32_e64 v114, null, s13, v114, vcc_lo
	v_add_co_u32 v117, vcc_lo, v117, s12
	v_add_co_ci_u32_e64 v118, null, s13, v118, vcc_lo
	v_add_co_u32 v121, vcc_lo, v121, s12
	v_add_co_ci_u32_e64 v122, null, s13, v122, vcc_lo
	v_add_co_u32 v125, vcc_lo, v125, s12
	v_add_co_ci_u32_e64 v126, null, s13, v126, vcc_lo
	v_add_co_u32 v129, vcc_lo, v129, s12
	v_add_co_ci_u32_e64 v130, null, s13, v130, vcc_lo
	v_add_co_u32 v133, vcc_lo, v133, s12
	v_add_co_ci_u32_e64 v134, null, s13, v134, vcc_lo
	v_add_co_u32 v137, vcc_lo, v137, s12
	v_add_co_ci_u32_e64 v138, null, s13, v138, vcc_lo
	v_add_co_u32 v141, vcc_lo, v141, s12
	v_add_co_ci_u32_e64 v142, null, s13, v142, vcc_lo
	v_add_co_u32 v145, vcc_lo, v145, s12
	v_add_co_ci_u32_e64 v146, null, s13, v146, vcc_lo
	v_add_co_u32 v149, vcc_lo, v149, s12
	v_add_co_ci_u32_e64 v150, null, s13, v150, vcc_lo
	v_add_co_u32 v153, vcc_lo, v153, s12
	v_add_co_ci_u32_e64 v154, null, s13, v154, vcc_lo
	v_add_co_u32 v157, vcc_lo, v157, s12
	v_add_co_ci_u32_e64 v158, null, s13, v158, vcc_lo
	s_add_u32 s22, s22, s1
	s_addc_u32 s23, s23, 0
	s_add_u32 s14, s14, s1
	v_cmp_ge_i64_e64 s7, s[22:23], s[8:9]
	s_addc_u32 s15, 0, s15
	s_waitcnt vmcnt(1)
	v_add_co_u32 v5, vcc_lo, v5, s1
	v_add_co_ci_u32_e64 v201, null, 0, v201, vcc_lo
	s_waitcnt vmcnt(0)
	v_add_co_u32 v3, vcc_lo, v3, s12
	buffer_store_dword v3, off, s[36:39], 0 ; 4-byte Folded Spill
	buffer_load_dword v3, off, s[36:39], 0 offset:4 ; 4-byte Folded Reload
	s_waitcnt vmcnt(0)
	v_add_co_ci_u32_e64 v3, null, s13, v3, vcc_lo
	buffer_store_dword v3, off, s[36:39], 0 offset:4 ; 4-byte Folded Spill
	buffer_load_dword v3, off, s[36:39], 0 offset:8 ; 4-byte Folded Reload
	s_waitcnt vmcnt(0)
	v_add_co_u32 v3, vcc_lo, v3, s12
	buffer_store_dword v3, off, s[36:39], 0 offset:8 ; 4-byte Folded Spill
	buffer_load_dword v3, off, s[36:39], 0 offset:12 ; 4-byte Folded Reload
	s_waitcnt vmcnt(0)
	v_add_co_ci_u32_e64 v3, null, s13, v3, vcc_lo
	buffer_store_dword v3, off, s[36:39], 0 offset:12 ; 4-byte Folded Spill
	buffer_load_dword v3, off, s[36:39], 0 offset:16 ; 4-byte Folded Reload
	s_waitcnt vmcnt(0)
	v_add_co_u32 v3, vcc_lo, v3, s12
	buffer_store_dword v3, off, s[36:39], 0 offset:16 ; 4-byte Folded Spill
	buffer_load_dword v3, off, s[36:39], 0 offset:20 ; 4-byte Folded Reload
	s_waitcnt vmcnt(0)
	v_add_co_ci_u32_e64 v3, null, s13, v3, vcc_lo
	buffer_store_dword v3, off, s[36:39], 0 offset:20 ; 4-byte Folded Spill
	buffer_load_dword v3, off, s[36:39], 0 offset:24 ; 4-byte Folded Reload
	s_waitcnt vmcnt(0)
	v_add_co_u32 v3, vcc_lo, v3, s12
	buffer_store_dword v3, off, s[36:39], 0 offset:24 ; 4-byte Folded Spill
	buffer_load_dword v3, off, s[36:39], 0 offset:28 ; 4-byte Folded Reload
	s_waitcnt vmcnt(0)
	v_add_co_ci_u32_e64 v3, null, s13, v3, vcc_lo
	buffer_store_dword v3, off, s[36:39], 0 offset:28 ; 4-byte Folded Spill
	buffer_load_dword v3, off, s[36:39], 0 offset:32 ; 4-byte Folded Reload
	s_waitcnt vmcnt(0)
	v_add_co_u32 v3, vcc_lo, v3, s12
	buffer_store_dword v3, off, s[36:39], 0 offset:32 ; 4-byte Folded Spill
	buffer_load_dword v3, off, s[36:39], 0 offset:36 ; 4-byte Folded Reload
	s_waitcnt vmcnt(0)
	v_add_co_ci_u32_e64 v3, null, s13, v3, vcc_lo
	buffer_store_dword v3, off, s[36:39], 0 offset:36 ; 4-byte Folded Spill
	buffer_load_dword v3, off, s[36:39], 0 offset:40 ; 4-byte Folded Reload
	s_waitcnt vmcnt(0)
	v_add_co_u32 v3, vcc_lo, v3, s12
	buffer_store_dword v3, off, s[36:39], 0 offset:40 ; 4-byte Folded Spill
	buffer_load_dword v3, off, s[36:39], 0 offset:44 ; 4-byte Folded Reload
	s_waitcnt vmcnt(0)
	v_add_co_ci_u32_e64 v3, null, s13, v3, vcc_lo
	buffer_store_dword v3, off, s[36:39], 0 offset:44 ; 4-byte Folded Spill
	buffer_load_dword v3, off, s[36:39], 0 offset:48 ; 4-byte Folded Reload
	s_waitcnt vmcnt(0)
	v_add_co_u32 v3, vcc_lo, v3, s12
	buffer_store_dword v3, off, s[36:39], 0 offset:48 ; 4-byte Folded Spill
	buffer_load_dword v3, off, s[36:39], 0 offset:52 ; 4-byte Folded Reload
	s_waitcnt vmcnt(0)
	v_add_co_ci_u32_e64 v3, null, s13, v3, vcc_lo
	buffer_store_dword v3, off, s[36:39], 0 offset:52 ; 4-byte Folded Spill
	buffer_load_dword v3, off, s[36:39], 0 offset:56 ; 4-byte Folded Reload
	s_waitcnt vmcnt(0)
	v_add_co_u32 v3, vcc_lo, v3, s12
	buffer_store_dword v3, off, s[36:39], 0 offset:56 ; 4-byte Folded Spill
	buffer_load_dword v3, off, s[36:39], 0 offset:60 ; 4-byte Folded Reload
	s_waitcnt vmcnt(0)
	v_add_co_ci_u32_e64 v3, null, s13, v3, vcc_lo
	buffer_store_dword v3, off, s[36:39], 0 offset:60 ; 4-byte Folded Spill
	buffer_load_dword v3, off, s[36:39], 0 offset:64 ; 4-byte Folded Reload
	s_waitcnt vmcnt(0)
	v_add_co_u32 v3, vcc_lo, v3, s12
	buffer_store_dword v3, off, s[36:39], 0 offset:64 ; 4-byte Folded Spill
	buffer_load_dword v3, off, s[36:39], 0 offset:68 ; 4-byte Folded Reload
	s_waitcnt vmcnt(0)
	v_add_co_ci_u32_e64 v3, null, s13, v3, vcc_lo
	buffer_store_dword v3, off, s[36:39], 0 offset:68 ; 4-byte Folded Spill
	buffer_load_dword v3, off, s[36:39], 0 offset:72 ; 4-byte Folded Reload
	s_waitcnt vmcnt(0)
	v_add_co_u32 v3, vcc_lo, v3, s12
	buffer_store_dword v3, off, s[36:39], 0 offset:72 ; 4-byte Folded Spill
	buffer_load_dword v3, off, s[36:39], 0 offset:76 ; 4-byte Folded Reload
	s_waitcnt vmcnt(0)
	v_add_co_ci_u32_e64 v3, null, s13, v3, vcc_lo
	buffer_store_dword v3, off, s[36:39], 0 offset:76 ; 4-byte Folded Spill
	buffer_load_dword v3, off, s[36:39], 0 offset:80 ; 4-byte Folded Reload
	s_waitcnt vmcnt(0)
	v_add_co_u32 v3, vcc_lo, v3, s12
	buffer_store_dword v3, off, s[36:39], 0 offset:80 ; 4-byte Folded Spill
	buffer_load_dword v3, off, s[36:39], 0 offset:84 ; 4-byte Folded Reload
	s_waitcnt vmcnt(0)
	v_add_co_ci_u32_e64 v3, null, s13, v3, vcc_lo
	buffer_store_dword v3, off, s[36:39], 0 offset:84 ; 4-byte Folded Spill
	buffer_load_dword v3, off, s[36:39], 0 offset:88 ; 4-byte Folded Reload
	s_waitcnt vmcnt(0)
	v_add_co_u32 v3, vcc_lo, v3, s12
	buffer_store_dword v3, off, s[36:39], 0 offset:88 ; 4-byte Folded Spill
	buffer_load_dword v3, off, s[36:39], 0 offset:92 ; 4-byte Folded Reload
	s_waitcnt vmcnt(0)
	v_add_co_ci_u32_e64 v3, null, s13, v3, vcc_lo
	buffer_store_dword v3, off, s[36:39], 0 offset:92 ; 4-byte Folded Spill
	buffer_load_dword v3, off, s[36:39], 0 offset:96 ; 4-byte Folded Reload
	s_waitcnt vmcnt(0)
	v_add_co_u32 v3, vcc_lo, v3, s12
	buffer_store_dword v3, off, s[36:39], 0 offset:96 ; 4-byte Folded Spill
	buffer_load_dword v3, off, s[36:39], 0 offset:100 ; 4-byte Folded Reload
	s_waitcnt vmcnt(0)
	v_add_co_ci_u32_e64 v3, null, s13, v3, vcc_lo
	buffer_store_dword v3, off, s[36:39], 0 offset:100 ; 4-byte Folded Spill
	buffer_load_dword v3, off, s[36:39], 0 offset:104 ; 4-byte Folded Reload
	s_waitcnt vmcnt(0)
	v_add_co_u32 v3, vcc_lo, v3, s12
	buffer_store_dword v3, off, s[36:39], 0 offset:104 ; 4-byte Folded Spill
	buffer_load_dword v3, off, s[36:39], 0 offset:108 ; 4-byte Folded Reload
	s_waitcnt vmcnt(0)
	v_add_co_ci_u32_e64 v3, null, s13, v3, vcc_lo
	buffer_store_dword v3, off, s[36:39], 0 offset:108 ; 4-byte Folded Spill
	buffer_load_dword v3, off, s[36:39], 0 offset:112 ; 4-byte Folded Reload
	s_waitcnt vmcnt(0)
	v_add_co_u32 v3, vcc_lo, v3, s12
	buffer_store_dword v3, off, s[36:39], 0 offset:112 ; 4-byte Folded Spill
	buffer_load_dword v3, off, s[36:39], 0 offset:116 ; 4-byte Folded Reload
	s_waitcnt vmcnt(0)
	v_add_co_ci_u32_e64 v3, null, s13, v3, vcc_lo
	buffer_store_dword v3, off, s[36:39], 0 offset:116 ; 4-byte Folded Spill
	buffer_load_dword v3, off, s[36:39], 0 offset:120 ; 4-byte Folded Reload
	s_waitcnt vmcnt(0)
	v_add_co_u32 v3, vcc_lo, v3, s12
	buffer_store_dword v3, off, s[36:39], 0 offset:120 ; 4-byte Folded Spill
	buffer_load_dword v3, off, s[36:39], 0 offset:124 ; 4-byte Folded Reload
	s_waitcnt vmcnt(0)
	v_add_co_ci_u32_e64 v3, null, s13, v3, vcc_lo
	buffer_store_dword v3, off, s[36:39], 0 offset:124 ; 4-byte Folded Spill
	buffer_load_dword v3, off, s[36:39], 0 offset:128 ; 4-byte Folded Reload
	s_waitcnt vmcnt(0)
	v_add_co_u32 v3, vcc_lo, v3, s12
	buffer_store_dword v3, off, s[36:39], 0 offset:128 ; 4-byte Folded Spill
	buffer_load_dword v3, off, s[36:39], 0 offset:132 ; 4-byte Folded Reload
	s_waitcnt vmcnt(0)
	v_add_co_ci_u32_e64 v3, null, s13, v3, vcc_lo
	buffer_store_dword v3, off, s[36:39], 0 offset:132 ; 4-byte Folded Spill
	buffer_load_dword v3, off, s[36:39], 0 offset:136 ; 4-byte Folded Reload
	s_waitcnt vmcnt(0)
	v_add_co_u32 v3, vcc_lo, v3, s12
	buffer_store_dword v3, off, s[36:39], 0 offset:136 ; 4-byte Folded Spill
	buffer_load_dword v3, off, s[36:39], 0 offset:140 ; 4-byte Folded Reload
	s_waitcnt vmcnt(0)
	v_add_co_ci_u32_e64 v3, null, s13, v3, vcc_lo
	buffer_store_dword v3, off, s[36:39], 0 offset:140 ; 4-byte Folded Spill
	buffer_load_dword v3, off, s[36:39], 0 offset:144 ; 4-byte Folded Reload
	s_waitcnt vmcnt(0)
	v_add_co_u32 v3, vcc_lo, v3, s12
	buffer_store_dword v3, off, s[36:39], 0 offset:144 ; 4-byte Folded Spill
	buffer_load_dword v3, off, s[36:39], 0 offset:148 ; 4-byte Folded Reload
	s_waitcnt vmcnt(0)
	v_add_co_ci_u32_e64 v3, null, s13, v3, vcc_lo
	buffer_store_dword v3, off, s[36:39], 0 offset:148 ; 4-byte Folded Spill
	buffer_load_dword v3, off, s[36:39], 0 offset:152 ; 4-byte Folded Reload
	s_waitcnt vmcnt(0)
	v_add_co_u32 v3, vcc_lo, v3, s12
	buffer_store_dword v3, off, s[36:39], 0 offset:152 ; 4-byte Folded Spill
	buffer_load_dword v3, off, s[36:39], 0 offset:156 ; 4-byte Folded Reload
	s_waitcnt vmcnt(0)
	v_add_co_ci_u32_e64 v3, null, s13, v3, vcc_lo
	buffer_store_dword v3, off, s[36:39], 0 offset:156 ; 4-byte Folded Spill
	buffer_load_dword v3, off, s[36:39], 0 offset:160 ; 4-byte Folded Reload
	s_waitcnt vmcnt(0)
	v_add_co_u32 v3, vcc_lo, v3, s12
	buffer_store_dword v3, off, s[36:39], 0 offset:160 ; 4-byte Folded Spill
	buffer_load_dword v3, off, s[36:39], 0 offset:164 ; 4-byte Folded Reload
	s_waitcnt vmcnt(0)
	v_add_co_ci_u32_e64 v3, null, s13, v3, vcc_lo
	buffer_store_dword v3, off, s[36:39], 0 offset:164 ; 4-byte Folded Spill
	buffer_load_dword v3, off, s[36:39], 0 offset:168 ; 4-byte Folded Reload
	s_waitcnt vmcnt(0)
	v_add_co_u32 v3, vcc_lo, v3, s12
	buffer_store_dword v3, off, s[36:39], 0 offset:168 ; 4-byte Folded Spill
	buffer_load_dword v3, off, s[36:39], 0 offset:172 ; 4-byte Folded Reload
	s_waitcnt vmcnt(0)
	v_add_co_ci_u32_e64 v3, null, s13, v3, vcc_lo
	buffer_store_dword v3, off, s[36:39], 0 offset:172 ; 4-byte Folded Spill
	buffer_load_dword v3, off, s[36:39], 0 offset:176 ; 4-byte Folded Reload
	s_waitcnt vmcnt(0)
	v_add_co_u32 v3, vcc_lo, v3, s12
	buffer_store_dword v3, off, s[36:39], 0 offset:176 ; 4-byte Folded Spill
	buffer_load_dword v3, off, s[36:39], 0 offset:180 ; 4-byte Folded Reload
	s_waitcnt vmcnt(0)
	v_add_co_ci_u32_e64 v3, null, s13, v3, vcc_lo
	buffer_store_dword v3, off, s[36:39], 0 offset:180 ; 4-byte Folded Spill
	buffer_load_dword v3, off, s[36:39], 0 offset:184 ; 4-byte Folded Reload
	s_waitcnt vmcnt(0)
	v_add_co_u32 v3, vcc_lo, v3, s12
	buffer_store_dword v3, off, s[36:39], 0 offset:184 ; 4-byte Folded Spill
	buffer_load_dword v3, off, s[36:39], 0 offset:188 ; 4-byte Folded Reload
	s_waitcnt vmcnt(0)
	v_add_co_ci_u32_e64 v3, null, s13, v3, vcc_lo
	buffer_store_dword v3, off, s[36:39], 0 offset:188 ; 4-byte Folded Spill
	buffer_load_dword v3, off, s[36:39], 0 offset:192 ; 4-byte Folded Reload
	s_waitcnt vmcnt(0)
	v_add_co_u32 v3, vcc_lo, v3, s12
	buffer_store_dword v3, off, s[36:39], 0 offset:192 ; 4-byte Folded Spill
	buffer_load_dword v3, off, s[36:39], 0 offset:196 ; 4-byte Folded Reload
	s_waitcnt vmcnt(0)
	v_add_co_ci_u32_e64 v3, null, s13, v3, vcc_lo
	buffer_store_dword v3, off, s[36:39], 0 offset:196 ; 4-byte Folded Spill
	buffer_load_dword v3, off, s[36:39], 0 offset:200 ; 4-byte Folded Reload
	s_waitcnt vmcnt(0)
	v_add_co_u32 v3, vcc_lo, v3, s12
	buffer_store_dword v3, off, s[36:39], 0 offset:200 ; 4-byte Folded Spill
	buffer_load_dword v3, off, s[36:39], 0 offset:204 ; 4-byte Folded Reload
	s_waitcnt vmcnt(0)
	v_add_co_ci_u32_e64 v3, null, s13, v3, vcc_lo
	buffer_store_dword v3, off, s[36:39], 0 offset:204 ; 4-byte Folded Spill
	buffer_load_dword v3, off, s[36:39], 0 offset:208 ; 4-byte Folded Reload
	s_waitcnt vmcnt(0)
	v_add_co_u32 v3, vcc_lo, v3, s12
	buffer_store_dword v3, off, s[36:39], 0 offset:208 ; 4-byte Folded Spill
	buffer_load_dword v3, off, s[36:39], 0 offset:212 ; 4-byte Folded Reload
	s_waitcnt vmcnt(0)
	v_add_co_ci_u32_e64 v3, null, s13, v3, vcc_lo
	buffer_store_dword v3, off, s[36:39], 0 offset:212 ; 4-byte Folded Spill
	buffer_load_dword v3, off, s[36:39], 0 offset:216 ; 4-byte Folded Reload
	s_waitcnt vmcnt(0)
	v_add_co_u32 v3, vcc_lo, v3, s12
	buffer_store_dword v3, off, s[36:39], 0 offset:216 ; 4-byte Folded Spill
	buffer_load_dword v3, off, s[36:39], 0 offset:220 ; 4-byte Folded Reload
	s_waitcnt vmcnt(0)
	v_add_co_ci_u32_e64 v3, null, s13, v3, vcc_lo
	buffer_store_dword v3, off, s[36:39], 0 offset:220 ; 4-byte Folded Spill
	buffer_load_dword v3, off, s[36:39], 0 offset:224 ; 4-byte Folded Reload
	s_waitcnt vmcnt(0)
	v_add_co_u32 v3, vcc_lo, v3, s12
	v_add_co_ci_u32_e64 v225, null, s13, v225, vcc_lo
	v_add_co_u32 v226, vcc_lo, v226, s12
	v_add_co_ci_u32_e64 v227, null, s13, v227, vcc_lo
	;; [unrolled: 2-line block ×34, first 2 shown]
	s_and_b32 vcc_lo, exec_lo, s7
	buffer_store_dword v3, off, s[36:39], 0 offset:224 ; 4-byte Folded Spill
	s_cbranch_vccnz .LBB176_219
; %bb.218:                              ;   in Loop: Header=BB176_145 Depth=1
	v_mov_b32_e32 v203, v202
	s_branch .LBB176_145
.LBB176_219:
	s_mov_b32 s7, 0
	s_lshl_b64 s[6:7], s[6:7], 5
	s_waitcnt lgkmcnt(0)
	s_cmp_lg_u64 s[2:3], 0
	v_or_b32_e32 v3, s6, v224
	v_mov_b32_e32 v4, s7
	s_cselect_b32 s1, -1, 0
	v_cmp_gt_i64_e32 vcc_lo, s[10:11], v[3:4]
	s_and_b32 s1, vcc_lo, s1
	s_and_saveexec_b32 s6, s1
	s_cbranch_execz .LBB176_221
; %bb.220:
	s_load_dword s1, s[4:5], 0x4c
	v_mov_b32_e32 v224, 0
	s_waitcnt lgkmcnt(0)
	s_lshr_b32 s1, s1, 16
	v_mad_u64_u32 v[0:1], null, s1, s0, v[223:224]
	v_mul_lo_u32 v2, v1, s10
	v_mul_lo_u32 v5, v0, s11
	v_mad_u64_u32 v[0:1], null, v0, s10, 0
	v_add3_u32 v1, v1, v5, v2
	v_lshlrev_b64 v[2:3], 1, v[3:4]
	v_cvt_f16_f32_e32 v4, v202
	v_lshlrev_b64 v[0:1], 1, v[0:1]
	v_add_co_u32 v0, vcc_lo, s2, v0
	v_add_co_ci_u32_e64 v1, null, s3, v1, vcc_lo
	v_add_co_u32 v0, vcc_lo, v0, v2
	v_add_co_ci_u32_e64 v1, null, v1, v3, vcc_lo
	global_store_short v[0:1], v4, off
.LBB176_221:
	s_endpgm
	.section	.rodata,"a",@progbits
	.p2align	6, 0x0
	.amdhsa_kernel _ZN2at6native12_GLOBAL__N_135GammaBetaBackwardCUDAKernelTemplateIN3c104HalfEfLj32ELj1ELj32ELb1ELb0ELb1EEEvllPKT_S7_PKT0_SA_PS5_SB_
		.amdhsa_group_segment_fixed_size 0
		.amdhsa_private_segment_fixed_size 300
		.amdhsa_kernarg_size 320
		.amdhsa_user_sgpr_count 6
		.amdhsa_user_sgpr_private_segment_buffer 1
		.amdhsa_user_sgpr_dispatch_ptr 0
		.amdhsa_user_sgpr_queue_ptr 0
		.amdhsa_user_sgpr_kernarg_segment_ptr 1
		.amdhsa_user_sgpr_dispatch_id 0
		.amdhsa_user_sgpr_flat_scratch_init 0
		.amdhsa_user_sgpr_private_segment_size 0
		.amdhsa_wavefront_size32 1
		.amdhsa_uses_dynamic_stack 0
		.amdhsa_system_sgpr_private_segment_wavefront_offset 1
		.amdhsa_system_sgpr_workgroup_id_x 1
		.amdhsa_system_sgpr_workgroup_id_y 1
		.amdhsa_system_sgpr_workgroup_id_z 0
		.amdhsa_system_sgpr_workgroup_info 0
		.amdhsa_system_vgpr_workitem_id 1
		.amdhsa_next_free_vgpr 256
		.amdhsa_next_free_sgpr 40
		.amdhsa_reserve_vcc 1
		.amdhsa_reserve_flat_scratch 0
		.amdhsa_float_round_mode_32 0
		.amdhsa_float_round_mode_16_64 0
		.amdhsa_float_denorm_mode_32 3
		.amdhsa_float_denorm_mode_16_64 3
		.amdhsa_dx10_clamp 1
		.amdhsa_ieee_mode 1
		.amdhsa_fp16_overflow 0
		.amdhsa_workgroup_processor_mode 1
		.amdhsa_memory_ordered 1
		.amdhsa_forward_progress 1
		.amdhsa_shared_vgpr_count 0
		.amdhsa_exception_fp_ieee_invalid_op 0
		.amdhsa_exception_fp_denorm_src 0
		.amdhsa_exception_fp_ieee_div_zero 0
		.amdhsa_exception_fp_ieee_overflow 0
		.amdhsa_exception_fp_ieee_underflow 0
		.amdhsa_exception_fp_ieee_inexact 0
		.amdhsa_exception_int_div_zero 0
	.end_amdhsa_kernel
	.section	.text._ZN2at6native12_GLOBAL__N_135GammaBetaBackwardCUDAKernelTemplateIN3c104HalfEfLj32ELj1ELj32ELb1ELb0ELb1EEEvllPKT_S7_PKT0_SA_PS5_SB_,"axG",@progbits,_ZN2at6native12_GLOBAL__N_135GammaBetaBackwardCUDAKernelTemplateIN3c104HalfEfLj32ELj1ELj32ELb1ELb0ELb1EEEvllPKT_S7_PKT0_SA_PS5_SB_,comdat
.Lfunc_end176:
	.size	_ZN2at6native12_GLOBAL__N_135GammaBetaBackwardCUDAKernelTemplateIN3c104HalfEfLj32ELj1ELj32ELb1ELb0ELb1EEEvllPKT_S7_PKT0_SA_PS5_SB_, .Lfunc_end176-_ZN2at6native12_GLOBAL__N_135GammaBetaBackwardCUDAKernelTemplateIN3c104HalfEfLj32ELj1ELj32ELb1ELb0ELb1EEEvllPKT_S7_PKT0_SA_PS5_SB_
                                        ; -- End function
	.set _ZN2at6native12_GLOBAL__N_135GammaBetaBackwardCUDAKernelTemplateIN3c104HalfEfLj32ELj1ELj32ELb1ELb0ELb1EEEvllPKT_S7_PKT0_SA_PS5_SB_.num_vgpr, 256
	.set _ZN2at6native12_GLOBAL__N_135GammaBetaBackwardCUDAKernelTemplateIN3c104HalfEfLj32ELj1ELj32ELb1ELb0ELb1EEEvllPKT_S7_PKT0_SA_PS5_SB_.num_agpr, 0
	.set _ZN2at6native12_GLOBAL__N_135GammaBetaBackwardCUDAKernelTemplateIN3c104HalfEfLj32ELj1ELj32ELb1ELb0ELb1EEEvllPKT_S7_PKT0_SA_PS5_SB_.numbered_sgpr, 40
	.set _ZN2at6native12_GLOBAL__N_135GammaBetaBackwardCUDAKernelTemplateIN3c104HalfEfLj32ELj1ELj32ELb1ELb0ELb1EEEvllPKT_S7_PKT0_SA_PS5_SB_.num_named_barrier, 0
	.set _ZN2at6native12_GLOBAL__N_135GammaBetaBackwardCUDAKernelTemplateIN3c104HalfEfLj32ELj1ELj32ELb1ELb0ELb1EEEvllPKT_S7_PKT0_SA_PS5_SB_.private_seg_size, 300
	.set _ZN2at6native12_GLOBAL__N_135GammaBetaBackwardCUDAKernelTemplateIN3c104HalfEfLj32ELj1ELj32ELb1ELb0ELb1EEEvllPKT_S7_PKT0_SA_PS5_SB_.uses_vcc, 1
	.set _ZN2at6native12_GLOBAL__N_135GammaBetaBackwardCUDAKernelTemplateIN3c104HalfEfLj32ELj1ELj32ELb1ELb0ELb1EEEvllPKT_S7_PKT0_SA_PS5_SB_.uses_flat_scratch, 0
	.set _ZN2at6native12_GLOBAL__N_135GammaBetaBackwardCUDAKernelTemplateIN3c104HalfEfLj32ELj1ELj32ELb1ELb0ELb1EEEvllPKT_S7_PKT0_SA_PS5_SB_.has_dyn_sized_stack, 0
	.set _ZN2at6native12_GLOBAL__N_135GammaBetaBackwardCUDAKernelTemplateIN3c104HalfEfLj32ELj1ELj32ELb1ELb0ELb1EEEvllPKT_S7_PKT0_SA_PS5_SB_.has_recursion, 0
	.set _ZN2at6native12_GLOBAL__N_135GammaBetaBackwardCUDAKernelTemplateIN3c104HalfEfLj32ELj1ELj32ELb1ELb0ELb1EEEvllPKT_S7_PKT0_SA_PS5_SB_.has_indirect_call, 0
	.section	.AMDGPU.csdata,"",@progbits
; Kernel info:
; codeLenInByte = 29448
; TotalNumSgprs: 42
; NumVgprs: 256
; ScratchSize: 300
; MemoryBound: 0
; FloatMode: 240
; IeeeMode: 1
; LDSByteSize: 0 bytes/workgroup (compile time only)
; SGPRBlocks: 0
; VGPRBlocks: 31
; NumSGPRsForWavesPerEU: 42
; NumVGPRsForWavesPerEU: 256
; Occupancy: 4
; WaveLimiterHint : 0
; COMPUTE_PGM_RSRC2:SCRATCH_EN: 1
; COMPUTE_PGM_RSRC2:USER_SGPR: 6
; COMPUTE_PGM_RSRC2:TRAP_HANDLER: 0
; COMPUTE_PGM_RSRC2:TGID_X_EN: 1
; COMPUTE_PGM_RSRC2:TGID_Y_EN: 1
; COMPUTE_PGM_RSRC2:TGID_Z_EN: 0
; COMPUTE_PGM_RSRC2:TIDIG_COMP_CNT: 1
	.section	.text._ZN2at6native12_GLOBAL__N_135GammaBetaBackwardCUDAKernelTemplateIN3c104HalfEfLj32ELj1ELj8ELb1ELb1ELb1EEEvllPKT_S7_PKT0_SA_PS5_SB_,"axG",@progbits,_ZN2at6native12_GLOBAL__N_135GammaBetaBackwardCUDAKernelTemplateIN3c104HalfEfLj32ELj1ELj8ELb1ELb1ELb1EEEvllPKT_S7_PKT0_SA_PS5_SB_,comdat
	.globl	_ZN2at6native12_GLOBAL__N_135GammaBetaBackwardCUDAKernelTemplateIN3c104HalfEfLj32ELj1ELj8ELb1ELb1ELb1EEEvllPKT_S7_PKT0_SA_PS5_SB_ ; -- Begin function _ZN2at6native12_GLOBAL__N_135GammaBetaBackwardCUDAKernelTemplateIN3c104HalfEfLj32ELj1ELj8ELb1ELb1ELb1EEEvllPKT_S7_PKT0_SA_PS5_SB_
	.p2align	8
	.type	_ZN2at6native12_GLOBAL__N_135GammaBetaBackwardCUDAKernelTemplateIN3c104HalfEfLj32ELj1ELj8ELb1ELb1ELb1EEEvllPKT_S7_PKT0_SA_PS5_SB_,@function
_ZN2at6native12_GLOBAL__N_135GammaBetaBackwardCUDAKernelTemplateIN3c104HalfEfLj32ELj1ELj8ELb1ELb1ELb1EEEvllPKT_S7_PKT0_SA_PS5_SB_: ; @_ZN2at6native12_GLOBAL__N_135GammaBetaBackwardCUDAKernelTemplateIN3c104HalfEfLj32ELj1ELj8ELb1ELb1ELb1EEEvllPKT_S7_PKT0_SA_PS5_SB_
; %bb.0:
	s_clause 0x1
	s_load_dwordx4 s[8:11], s[4:5], 0x0
	s_load_dwordx2 s[2:3], s[4:5], 0x30
	s_lshl_b32 s16, s7, 3
	s_mov_b32 s17, 0
	v_mov_b32_e32 v3, 0
	s_waitcnt lgkmcnt(0)
	v_cmp_le_i64_e64 s0, s[8:9], s[16:17]
	s_and_b32 vcc_lo, exec_lo, s0
	s_cbranch_vccnz .LBB177_8
; %bb.1:
	s_clause 0x3
	s_load_dword s0, s[4:5], 0x4c
	s_load_dword s1, s[4:5], 0x44
	s_load_dwordx4 s[12:15], s[4:5], 0x10
	s_load_dwordx2 s[20:21], s[4:5], 0x28
	v_lshlrev_b32_e32 v4, 3, v1
	v_mov_b32_e32 v3, 0
	v_lshl_or_b32 v2, s6, 5, v0
	v_mov_b32_e32 v8, 8
	v_mov_b32_e32 v9, 4
	v_add_co_u32 v4, s18, v4, s16
	v_add_co_ci_u32_e64 v5, null, 0, 0, s18
	v_lshlrev_b64 v[15:16], 1, v[2:3]
	v_mul_lo_u32 v17, s11, v4
	v_mov_b32_e32 v10, 12
	v_mul_lo_u32 v18, s10, v5
	v_mov_b32_e32 v11, 16
	v_mov_b32_e32 v12, 20
	;; [unrolled: 1-line block ×3, first 2 shown]
	s_waitcnt lgkmcnt(0)
	s_and_b32 s0, s0, 0xffff
	s_lshl_b32 s18, s1, 3
	v_mad_u32_u24 v6, v1, s0, v0
	s_mul_i32 s1, s11, s18
	s_mul_hi_u32 s22, s10, s18
	v_mov_b32_e32 v14, 28
	s_mov_b32 s19, s17
	v_and_b32_e32 v21, 31, v6
	v_mad_u64_u32 v[6:7], null, s10, v4, 0
	s_add_i32 s23, s22, s1
	s_mul_i32 s22, s10, s18
	v_add_co_u32 v4, vcc_lo, v4, v21
	v_add_co_ci_u32_e64 v5, null, 0, v5, vcc_lo
	v_add3_u32 v7, v7, v18, v17
	v_cmp_gt_u32_e64 s0, 8, v21
	s_lshl_b64 s[22:23], s[22:23], 1
	v_lshlrev_b64 v[17:18], 2, v[4:5]
	s_lshl_b64 s[24:25], s[10:11], 1
	v_lshlrev_b64 v[19:20], 1, v[6:7]
	v_add_co_u32 v6, vcc_lo, s20, v17
	v_add_co_ci_u32_e64 v7, null, s21, v18, vcc_lo
	v_add_co_u32 v2, vcc_lo, v19, v15
	v_add_co_ci_u32_e64 v15, null, v20, v16, vcc_lo
	v_mov_b32_e32 v16, 0
	s_lshl_b64 s[20:21], s[18:19], 2
	s_branch .LBB177_4
.LBB177_2:                              ;   in Loop: Header=BB177_4 Depth=1
	s_or_b32 exec_lo, exec_lo, s19
.LBB177_3:                              ;   in Loop: Header=BB177_4 Depth=1
	s_or_b32 exec_lo, exec_lo, s1
	v_add_co_u32 v18, vcc_lo, s12, v2
	v_add_co_ci_u32_e64 v19, null, s13, v15, vcc_lo
	v_add_co_u32 v20, vcc_lo, s14, v2
	v_add_co_ci_u32_e64 v21, null, s15, v15, vcc_lo
	;; [unrolled: 2-line block ×3, first 2 shown]
	global_load_ushort v28, v[18:19], off
	global_load_ushort v29, v[20:21], off
	;; [unrolled: 1-line block ×3, first 2 shown]
	v_add_co_u32 v18, vcc_lo, v20, s24
	v_add_co_ci_u32_e64 v19, null, s25, v21, vcc_lo
	v_add_co_u32 v20, vcc_lo, v22, s24
	v_add_co_ci_u32_e64 v21, null, s25, v23, vcc_lo
	v_add_co_u32 v22, vcc_lo, v18, s24
	v_add_co_ci_u32_e64 v23, null, s25, v19, vcc_lo
	v_add_co_u32 v24, vcc_lo, v20, s24
	v_add_co_ci_u32_e64 v25, null, s25, v21, vcc_lo
	v_add_co_u32 v26, vcc_lo, v22, s24
	v_add_co_ci_u32_e64 v27, null, s25, v23, vcc_lo
	global_load_ushort v31, v[18:19], off
	global_load_ushort v32, v[20:21], off
	;; [unrolled: 1-line block ×5, first 2 shown]
	v_add_co_u32 v18, vcc_lo, v24, s24
	v_add_co_ci_u32_e64 v19, null, s25, v25, vcc_lo
	v_add_co_u32 v20, vcc_lo, v26, s24
	v_add_co_ci_u32_e64 v21, null, s25, v27, vcc_lo
	;; [unrolled: 2-line block ×5, first 2 shown]
	global_load_ushort v36, v[18:19], off
	global_load_ushort v37, v[20:21], off
	;; [unrolled: 1-line block ×5, first 2 shown]
	v_add_co_u32 v18, vcc_lo, v24, s24
	v_add_co_ci_u32_e64 v19, null, s25, v25, vcc_lo
	v_add_co_u32 v20, vcc_lo, v26, s24
	v_add_co_ci_u32_e64 v21, null, s25, v27, vcc_lo
	;; [unrolled: 2-line block ×3, first 2 shown]
	global_load_ushort v18, v[18:19], off
	global_load_ushort v19, v[20:21], off
	;; [unrolled: 1-line block ×3, first 2 shown]
	s_waitcnt vmcnt(16)
	ds_bpermute_b32 v21, v3, v17
	ds_bpermute_b32 v22, v9, v17
	;; [unrolled: 1-line block ×4, first 2 shown]
	s_add_u32 s16, s16, s18
	v_add_co_u32 v6, vcc_lo, v6, s20
	s_addc_u32 s17, s17, 0
	v_add_co_ci_u32_e64 v7, null, s21, v7, vcc_lo
	v_add_co_u32 v4, vcc_lo, v4, s18
	v_cmp_lt_i64_e64 s1, s[16:17], s[8:9]
	v_add_co_ci_u32_e64 v5, null, 0, v5, vcc_lo
	v_add_co_u32 v2, vcc_lo, v2, s22
	v_add_co_ci_u32_e64 v15, null, s23, v15, vcc_lo
	s_and_b32 vcc_lo, exec_lo, s1
	s_waitcnt vmcnt(15)
	v_cvt_f32_f16_e32 v23, v28
	s_waitcnt vmcnt(14)
	v_cvt_f32_f16_e32 v24, v29
	;; [unrolled: 2-line block ×3, first 2 shown]
	v_mul_f32_e32 v23, v23, v24
	s_waitcnt lgkmcnt(3)
	v_fmac_f32_e32 v16, v23, v21
	s_waitcnt vmcnt(12)
	v_cvt_f32_f16_e32 v24, v31
	s_waitcnt vmcnt(11)
	v_cvt_f32_f16_e32 v28, v32
	;; [unrolled: 2-line block ×4, first 2 shown]
	v_mul_f32_e32 v21, v26, v24
	ds_bpermute_b32 v24, v11, v17
	ds_bpermute_b32 v26, v12, v17
	s_waitcnt lgkmcnt(4)
	v_fmac_f32_e32 v16, v21, v22
	v_mul_f32_e32 v21, v28, v23
	s_waitcnt vmcnt(8)
	v_cvt_f32_f16_e32 v22, v35
	ds_bpermute_b32 v23, v13, v17
	ds_bpermute_b32 v17, v14, v17
	s_waitcnt lgkmcnt(5)
	v_fmac_f32_e32 v16, v21, v25
	v_mul_f32_e32 v21, v29, v22
	s_waitcnt vmcnt(7)
	v_cvt_f32_f16_e32 v28, v36
	s_waitcnt vmcnt(6)
	v_cvt_f32_f16_e32 v22, v37
	;; [unrolled: 2-line block ×4, first 2 shown]
	s_waitcnt lgkmcnt(4)
	v_fmac_f32_e32 v16, v21, v27
	v_mul_f32_e32 v21, v28, v22
	s_waitcnt vmcnt(3)
	v_cvt_f32_f16_e32 v22, v40
	s_waitcnt lgkmcnt(3)
	v_fmac_f32_e32 v16, v21, v24
	v_mul_f32_e32 v21, v25, v29
	s_waitcnt vmcnt(2)
	v_cvt_f32_f16_e32 v18, v18
	s_waitcnt vmcnt(1)
	v_cvt_f32_f16_e32 v19, v19
	;; [unrolled: 2-line block ×3, first 2 shown]
	s_waitcnt lgkmcnt(2)
	v_fmac_f32_e32 v16, v21, v26
	v_mul_f32_e32 v18, v22, v18
	s_waitcnt lgkmcnt(1)
	v_fmac_f32_e32 v16, v18, v23
	v_mul_f32_e32 v18, v19, v20
	s_waitcnt lgkmcnt(0)
	v_fmac_f32_e32 v16, v18, v17
	s_cbranch_vccz .LBB177_7
.LBB177_4:                              ; =>This Inner Loop Header: Depth=1
	v_mov_b32_e32 v17, 0
	s_and_saveexec_b32 s1, s0
	s_cbranch_execz .LBB177_3
; %bb.5:                                ;   in Loop: Header=BB177_4 Depth=1
	v_mov_b32_e32 v17, 0
	s_mov_b32 s19, exec_lo
	v_cmpx_gt_i64_e64 s[8:9], v[4:5]
	s_cbranch_execz .LBB177_2
; %bb.6:                                ;   in Loop: Header=BB177_4 Depth=1
	global_load_dword v17, v[6:7], off
	s_branch .LBB177_2
.LBB177_7:
	v_cvt_f16_f32_e32 v3, v16
.LBB177_8:
	s_cmp_eq_u64 s[2:3], 0
	s_cbranch_scc1 .LBB177_10
; %bb.9:
	s_load_dword s0, s[4:5], 0x4c
	v_mov_b32_e32 v2, 0
	v_lshlrev_b32_e32 v0, 1, v0
	s_waitcnt lgkmcnt(0)
	s_lshr_b32 s0, s0, 16
	v_mad_u64_u32 v[1:2], null, s0, s7, v[1:2]
	s_mov_b32 s7, 0
	s_lshl_b64 s[0:1], s[6:7], 6
	v_mul_lo_u32 v4, v2, s10
	v_mul_lo_u32 v5, v1, s11
	v_mad_u64_u32 v[1:2], null, v1, s10, 0
	v_add3_u32 v2, v2, v5, v4
	v_lshlrev_b64 v[1:2], 1, v[1:2]
	v_add_co_u32 v1, vcc_lo, s2, v1
	v_add_co_ci_u32_e64 v2, null, s3, v2, vcc_lo
	v_add_co_u32 v1, vcc_lo, v1, s0
	v_add_co_ci_u32_e64 v2, null, s1, v2, vcc_lo
	v_add_co_u32 v0, vcc_lo, v1, v0
	v_add_co_ci_u32_e64 v1, null, 0, v2, vcc_lo
	global_store_short v[0:1], v3, off
.LBB177_10:
	s_endpgm
	.section	.rodata,"a",@progbits
	.p2align	6, 0x0
	.amdhsa_kernel _ZN2at6native12_GLOBAL__N_135GammaBetaBackwardCUDAKernelTemplateIN3c104HalfEfLj32ELj1ELj8ELb1ELb1ELb1EEEvllPKT_S7_PKT0_SA_PS5_SB_
		.amdhsa_group_segment_fixed_size 0
		.amdhsa_private_segment_fixed_size 0
		.amdhsa_kernarg_size 320
		.amdhsa_user_sgpr_count 6
		.amdhsa_user_sgpr_private_segment_buffer 1
		.amdhsa_user_sgpr_dispatch_ptr 0
		.amdhsa_user_sgpr_queue_ptr 0
		.amdhsa_user_sgpr_kernarg_segment_ptr 1
		.amdhsa_user_sgpr_dispatch_id 0
		.amdhsa_user_sgpr_flat_scratch_init 0
		.amdhsa_user_sgpr_private_segment_size 0
		.amdhsa_wavefront_size32 1
		.amdhsa_uses_dynamic_stack 0
		.amdhsa_system_sgpr_private_segment_wavefront_offset 0
		.amdhsa_system_sgpr_workgroup_id_x 1
		.amdhsa_system_sgpr_workgroup_id_y 1
		.amdhsa_system_sgpr_workgroup_id_z 0
		.amdhsa_system_sgpr_workgroup_info 0
		.amdhsa_system_vgpr_workitem_id 1
		.amdhsa_next_free_vgpr 41
		.amdhsa_next_free_sgpr 26
		.amdhsa_reserve_vcc 1
		.amdhsa_reserve_flat_scratch 0
		.amdhsa_float_round_mode_32 0
		.amdhsa_float_round_mode_16_64 0
		.amdhsa_float_denorm_mode_32 3
		.amdhsa_float_denorm_mode_16_64 3
		.amdhsa_dx10_clamp 1
		.amdhsa_ieee_mode 1
		.amdhsa_fp16_overflow 0
		.amdhsa_workgroup_processor_mode 1
		.amdhsa_memory_ordered 1
		.amdhsa_forward_progress 1
		.amdhsa_shared_vgpr_count 0
		.amdhsa_exception_fp_ieee_invalid_op 0
		.amdhsa_exception_fp_denorm_src 0
		.amdhsa_exception_fp_ieee_div_zero 0
		.amdhsa_exception_fp_ieee_overflow 0
		.amdhsa_exception_fp_ieee_underflow 0
		.amdhsa_exception_fp_ieee_inexact 0
		.amdhsa_exception_int_div_zero 0
	.end_amdhsa_kernel
	.section	.text._ZN2at6native12_GLOBAL__N_135GammaBetaBackwardCUDAKernelTemplateIN3c104HalfEfLj32ELj1ELj8ELb1ELb1ELb1EEEvllPKT_S7_PKT0_SA_PS5_SB_,"axG",@progbits,_ZN2at6native12_GLOBAL__N_135GammaBetaBackwardCUDAKernelTemplateIN3c104HalfEfLj32ELj1ELj8ELb1ELb1ELb1EEEvllPKT_S7_PKT0_SA_PS5_SB_,comdat
.Lfunc_end177:
	.size	_ZN2at6native12_GLOBAL__N_135GammaBetaBackwardCUDAKernelTemplateIN3c104HalfEfLj32ELj1ELj8ELb1ELb1ELb1EEEvllPKT_S7_PKT0_SA_PS5_SB_, .Lfunc_end177-_ZN2at6native12_GLOBAL__N_135GammaBetaBackwardCUDAKernelTemplateIN3c104HalfEfLj32ELj1ELj8ELb1ELb1ELb1EEEvllPKT_S7_PKT0_SA_PS5_SB_
                                        ; -- End function
	.set _ZN2at6native12_GLOBAL__N_135GammaBetaBackwardCUDAKernelTemplateIN3c104HalfEfLj32ELj1ELj8ELb1ELb1ELb1EEEvllPKT_S7_PKT0_SA_PS5_SB_.num_vgpr, 41
	.set _ZN2at6native12_GLOBAL__N_135GammaBetaBackwardCUDAKernelTemplateIN3c104HalfEfLj32ELj1ELj8ELb1ELb1ELb1EEEvllPKT_S7_PKT0_SA_PS5_SB_.num_agpr, 0
	.set _ZN2at6native12_GLOBAL__N_135GammaBetaBackwardCUDAKernelTemplateIN3c104HalfEfLj32ELj1ELj8ELb1ELb1ELb1EEEvllPKT_S7_PKT0_SA_PS5_SB_.numbered_sgpr, 26
	.set _ZN2at6native12_GLOBAL__N_135GammaBetaBackwardCUDAKernelTemplateIN3c104HalfEfLj32ELj1ELj8ELb1ELb1ELb1EEEvllPKT_S7_PKT0_SA_PS5_SB_.num_named_barrier, 0
	.set _ZN2at6native12_GLOBAL__N_135GammaBetaBackwardCUDAKernelTemplateIN3c104HalfEfLj32ELj1ELj8ELb1ELb1ELb1EEEvllPKT_S7_PKT0_SA_PS5_SB_.private_seg_size, 0
	.set _ZN2at6native12_GLOBAL__N_135GammaBetaBackwardCUDAKernelTemplateIN3c104HalfEfLj32ELj1ELj8ELb1ELb1ELb1EEEvllPKT_S7_PKT0_SA_PS5_SB_.uses_vcc, 1
	.set _ZN2at6native12_GLOBAL__N_135GammaBetaBackwardCUDAKernelTemplateIN3c104HalfEfLj32ELj1ELj8ELb1ELb1ELb1EEEvllPKT_S7_PKT0_SA_PS5_SB_.uses_flat_scratch, 0
	.set _ZN2at6native12_GLOBAL__N_135GammaBetaBackwardCUDAKernelTemplateIN3c104HalfEfLj32ELj1ELj8ELb1ELb1ELb1EEEvllPKT_S7_PKT0_SA_PS5_SB_.has_dyn_sized_stack, 0
	.set _ZN2at6native12_GLOBAL__N_135GammaBetaBackwardCUDAKernelTemplateIN3c104HalfEfLj32ELj1ELj8ELb1ELb1ELb1EEEvllPKT_S7_PKT0_SA_PS5_SB_.has_recursion, 0
	.set _ZN2at6native12_GLOBAL__N_135GammaBetaBackwardCUDAKernelTemplateIN3c104HalfEfLj32ELj1ELj8ELb1ELb1ELb1EEEvllPKT_S7_PKT0_SA_PS5_SB_.has_indirect_call, 0
	.section	.AMDGPU.csdata,"",@progbits
; Kernel info:
; codeLenInByte = 1280
; TotalNumSgprs: 28
; NumVgprs: 41
; ScratchSize: 0
; MemoryBound: 0
; FloatMode: 240
; IeeeMode: 1
; LDSByteSize: 0 bytes/workgroup (compile time only)
; SGPRBlocks: 0
; VGPRBlocks: 5
; NumSGPRsForWavesPerEU: 28
; NumVGPRsForWavesPerEU: 41
; Occupancy: 16
; WaveLimiterHint : 0
; COMPUTE_PGM_RSRC2:SCRATCH_EN: 0
; COMPUTE_PGM_RSRC2:USER_SGPR: 6
; COMPUTE_PGM_RSRC2:TRAP_HANDLER: 0
; COMPUTE_PGM_RSRC2:TGID_X_EN: 1
; COMPUTE_PGM_RSRC2:TGID_Y_EN: 1
; COMPUTE_PGM_RSRC2:TGID_Z_EN: 0
; COMPUTE_PGM_RSRC2:TIDIG_COMP_CNT: 1
	.section	.text._ZN2at6native12_GLOBAL__N_135GammaBetaBackwardCUDAKernelTemplateIN3c104HalfEfLj32ELj1ELj8ELb1ELb0ELb1EEEvllPKT_S7_PKT0_SA_PS5_SB_,"axG",@progbits,_ZN2at6native12_GLOBAL__N_135GammaBetaBackwardCUDAKernelTemplateIN3c104HalfEfLj32ELj1ELj8ELb1ELb0ELb1EEEvllPKT_S7_PKT0_SA_PS5_SB_,comdat
	.globl	_ZN2at6native12_GLOBAL__N_135GammaBetaBackwardCUDAKernelTemplateIN3c104HalfEfLj32ELj1ELj8ELb1ELb0ELb1EEEvllPKT_S7_PKT0_SA_PS5_SB_ ; -- Begin function _ZN2at6native12_GLOBAL__N_135GammaBetaBackwardCUDAKernelTemplateIN3c104HalfEfLj32ELj1ELj8ELb1ELb0ELb1EEEvllPKT_S7_PKT0_SA_PS5_SB_
	.p2align	8
	.type	_ZN2at6native12_GLOBAL__N_135GammaBetaBackwardCUDAKernelTemplateIN3c104HalfEfLj32ELj1ELj8ELb1ELb0ELb1EEEvllPKT_S7_PKT0_SA_PS5_SB_,@function
_ZN2at6native12_GLOBAL__N_135GammaBetaBackwardCUDAKernelTemplateIN3c104HalfEfLj32ELj1ELj8ELb1ELb0ELb1EEEvllPKT_S7_PKT0_SA_PS5_SB_: ; @_ZN2at6native12_GLOBAL__N_135GammaBetaBackwardCUDAKernelTemplateIN3c104HalfEfLj32ELj1ELj8ELb1ELb0ELb1EEEvllPKT_S7_PKT0_SA_PS5_SB_
; %bb.0:
	s_clause 0x1
	s_load_dwordx8 s[8:15], s[4:5], 0x0
	s_load_dwordx2 s[16:17], s[4:5], 0x28
	s_mov_b32 s0, s7
	s_lshl_b32 s7, s6, 5
	s_mov_b32 s19, 0
	s_or_b32 s18, s7, 31
	s_waitcnt lgkmcnt(0)
	v_cmp_le_i64_e64 s1, s[10:11], s[18:19]
	s_lshl_b32 s18, s0, 3
	v_cmp_gt_i64_e64 s26, s[8:9], s[18:19]
	s_and_b32 vcc_lo, exec_lo, s1
	v_cndmask_b32_e64 v2, 0, 1, s26
	v_cmp_ne_u32_e64 s1, 1, v2
	s_cbranch_vccz .LBB178_49
; %bb.1:
	v_mov_b32_e32 v86, 0
	s_and_b32 vcc_lo, exec_lo, s1
	s_cbranch_vccnz .LBB178_50
; %bb.2:
	v_lshlrev_b32_e32 v23, 3, v1
	v_mov_b32_e32 v2, 0
	v_add_nc_u32_e32 v3, s7, v0
	s_load_dword s2, s[4:5], 0x44
	s_add_u32 s20, s4, 64
	v_add_co_u32 v11, s1, v23, s18
	v_add_co_ci_u32_e64 v12, null, 0, 0, s1
	v_mov_b32_e32 v4, v2
	v_mul_lo_u32 v7, s11, v11
	v_mad_u64_u32 v[5:6], null, s10, v11, 0
	v_mul_lo_u32 v8, s10, v12
	v_cmp_gt_i64_e64 s1, s[10:11], v[3:4]
	v_lshlrev_b64 v[19:20], 1, v[3:4]
	s_addc_u32 s21, s5, 0
	v_mov_b32_e32 v24, v2
	v_mov_b32_e32 v57, 0
	s_mov_b64 s[24:25], s[18:19]
	v_add3_u32 v6, v6, v8, v7
	v_add_co_u32 v7, vcc_lo, v11, 7
	v_add_co_ci_u32_e64 v8, null, 0, v12, vcc_lo
	v_add_co_u32 v9, vcc_lo, v11, 6
	v_add_co_ci_u32_e64 v10, null, 0, v12, vcc_lo
	v_lshlrev_b64 v[3:4], 1, v[5:6]
	v_mul_lo_u32 v13, s11, v7
	v_mul_lo_u32 v14, s10, v8
	v_mad_u64_u32 v[7:8], null, s10, v7, 0
	v_mul_lo_u32 v15, s11, v9
	v_mul_lo_u32 v16, s10, v10
	v_mad_u64_u32 v[9:10], null, s10, v9, 0
	v_add_co_u32 v25, vcc_lo, s12, v3
	v_add_co_ci_u32_e64 v26, null, s13, v4, vcc_lo
	v_add_co_u32 v27, vcc_lo, s14, v3
	v_add3_u32 v8, v8, v14, v13
	v_add_co_ci_u32_e64 v28, null, s15, v4, vcc_lo
	v_add_co_u32 v13, vcc_lo, v11, 5
	v_add3_u32 v10, v10, v16, v15
	v_add_co_ci_u32_e64 v14, null, 0, v12, vcc_lo
	v_lshlrev_b64 v[3:4], 1, v[7:8]
	v_mul_lo_u32 v15, s11, v13
	v_lshlrev_b64 v[7:8], 1, v[9:10]
	v_mul_lo_u32 v14, s10, v14
	v_mad_u64_u32 v[9:10], null, s10, v13, 0
	v_add_co_u32 v29, vcc_lo, s12, v3
	v_add_co_ci_u32_e64 v30, null, s13, v4, vcc_lo
	v_add_co_u32 v31, vcc_lo, s14, v3
	s_waitcnt lgkmcnt(0)
	s_lshl_b32 s27, s2, 3
	v_add_co_ci_u32_e64 v32, null, s15, v4, vcc_lo
	v_add_co_u32 v33, vcc_lo, s12, v7
	v_add3_u32 v10, v10, v14, v15
	s_mul_i32 s2, s11, s27
	s_mul_hi_u32 s3, s10, s27
	v_add_co_ci_u32_e64 v34, null, s13, v8, vcc_lo
	v_add_co_u32 v13, vcc_lo, v11, 4
	s_add_i32 s23, s3, s2
	v_add_co_u32 v35, s2, s14, v7
	v_add_co_ci_u32_e64 v7, null, 0, v12, vcc_lo
	v_lshlrev_b64 v[3:4], 1, v[9:10]
	v_add_co_u32 v9, vcc_lo, v11, 3
	v_add_co_ci_u32_e64 v10, null, 0, v12, vcc_lo
	v_add_co_ci_u32_e64 v36, null, s15, v8, s2
	v_mul_lo_u32 v14, s11, v13
	v_mul_lo_u32 v15, s10, v7
	v_mad_u64_u32 v[7:8], null, s10, v13, 0
	v_mul_lo_u32 v13, s11, v9
	v_mul_lo_u32 v16, s10, v10
	v_mad_u64_u32 v[9:10], null, s10, v9, 0
	v_add_co_u32 v37, vcc_lo, s12, v3
	v_add_co_ci_u32_e64 v38, null, s13, v4, vcc_lo
	v_add3_u32 v8, v8, v15, v14
	v_add_co_u32 v39, vcc_lo, s14, v3
	v_add_co_ci_u32_e64 v40, null, s15, v4, vcc_lo
	v_add_co_u32 v11, vcc_lo, v11, 2
	v_add3_u32 v10, v10, v16, v13
	v_add_co_ci_u32_e64 v12, null, 0, v12, vcc_lo
	v_lshlrev_b64 v[3:4], 1, v[7:8]
	v_mul_lo_u32 v13, s11, v11
	v_lshlrev_b64 v[7:8], 1, v[9:10]
	v_mul_lo_u32 v12, s10, v12
	v_mad_u64_u32 v[9:10], null, s10, v11, 0
	v_add_co_u32 v41, vcc_lo, s12, v3
	v_add_co_ci_u32_e64 v42, null, s13, v4, vcc_lo
	v_add_co_u32 v43, vcc_lo, s14, v3
	v_add_co_ci_u32_e64 v44, null, s15, v4, vcc_lo
	;; [unrolled: 2-line block ×3, first 2 shown]
	v_add3_u32 v10, v10, v12, v13
	v_add_co_u32 v47, vcc_lo, s14, v7
	v_add_co_ci_u32_e64 v48, null, s15, v8, vcc_lo
	v_add_co_u32 v5, vcc_lo, v5, s10
	v_add_co_ci_u32_e64 v6, null, s11, v6, vcc_lo
	v_lshlrev_b64 v[3:4], 1, v[9:10]
	s_mul_i32 s22, s10, s27
	v_lshlrev_b64 v[5:6], 1, v[5:6]
	s_lshl_b64 s[2:3], s[22:23], 1
	s_mov_b64 s[22:23], 7
	v_add_co_u32 v49, vcc_lo, s12, v3
	v_add_co_ci_u32_e64 v50, null, s13, v4, vcc_lo
	v_add_co_u32 v51, vcc_lo, s14, v3
	v_add_co_ci_u32_e64 v52, null, s15, v4, vcc_lo
	;; [unrolled: 2-line block ×4, first 2 shown]
.LBB178_3:                              ; =>This Inner Loop Header: Depth=1
	s_add_u32 s28, s18, s22
	s_addc_u32 s29, 0, s23
	v_add_co_u32 v21, vcc_lo, s18, v23
	v_cmp_ge_i64_e64 s28, s[28:29], s[8:9]
	v_add_co_ci_u32_e64 v22, null, 0, v24, vcc_lo
                                        ; implicit-def: $vgpr3_vgpr4_vgpr5_vgpr6_vgpr7_vgpr8_vgpr9_vgpr10
                                        ; implicit-def: $vgpr86
                                        ; implicit-def: $vgpr11_vgpr12_vgpr13_vgpr14_vgpr15_vgpr16_vgpr17_vgpr18
                                        ; implicit-def: $vgpr3
	s_and_b32 vcc_lo, exec_lo, s28
	s_mov_b32 s28, -1
	s_cbranch_vccz .LBB178_25
; %bb.4:                                ;   in Loop: Header=BB178_3 Depth=1
	s_load_dword s28, s[20:21], 0xc
	v_mov_b32_e32 v58, 0
	s_waitcnt lgkmcnt(0)
	s_and_b32 s28, s28, 0xffff
	v_mad_u32_u24 v3, v1, s28, v0
	s_mov_b32 s28, exec_lo
	v_and_b32_e32 v3, 31, v3
	v_cmpx_gt_u32_e32 8, v3
	s_cbranch_execz .LBB178_8
; %bb.5:                                ;   in Loop: Header=BB178_3 Depth=1
	v_add_co_u32 v3, vcc_lo, v21, v3
	v_add_co_ci_u32_e64 v4, null, 0, v22, vcc_lo
	v_mov_b32_e32 v58, 0
	s_mov_b32 s29, exec_lo
	v_cmpx_gt_i64_e64 s[8:9], v[3:4]
	s_cbranch_execz .LBB178_7
; %bb.6:                                ;   in Loop: Header=BB178_3 Depth=1
	v_lshlrev_b64 v[3:4], 2, v[3:4]
	v_add_co_u32 v3, vcc_lo, s16, v3
	v_add_co_ci_u32_e64 v4, null, s17, v4, vcc_lo
	global_load_dword v58, v[3:4], off
.LBB178_7:                              ;   in Loop: Header=BB178_3 Depth=1
	s_or_b32 exec_lo, exec_lo, s29
.LBB178_8:                              ;   in Loop: Header=BB178_3 Depth=1
	s_or_b32 exec_lo, exec_lo, s28
	v_mov_b32_e32 v9, v2
	v_mov_b32_e32 v3, v2
	;; [unrolled: 1-line block ×7, first 2 shown]
	v_cmp_gt_i64_e32 vcc_lo, s[8:9], v[21:22]
	v_mov_b32_e32 v18, v9
	v_mov_b32_e32 v15, v6
	v_mov_b32_e32 v16, v7
	v_mov_b32_e32 v17, v8
	v_mov_b32_e32 v14, v5
	v_mov_b32_e32 v13, v4
	v_mov_b32_e32 v12, v3
	v_mov_b32_e32 v11, v2
	v_mov_b32_e32 v10, v9
	v_mov_b32_e32 v9, v8
	v_mov_b32_e32 v8, v7
	v_mov_b32_e32 v7, v6
	v_mov_b32_e32 v6, v5
	v_mov_b32_e32 v5, v4
	v_mov_b32_e32 v4, v3
	v_mov_b32_e32 v3, v2
	s_and_b32 s29, s1, vcc_lo
	s_and_saveexec_b32 s28, s29
	s_cbranch_execz .LBB178_10
; %bb.9:                                ;   in Loop: Header=BB178_3 Depth=1
	v_add_co_u32 v3, vcc_lo, v25, v19
	v_add_co_ci_u32_e64 v4, null, v26, v20, vcc_lo
	v_add_co_u32 v5, vcc_lo, v27, v19
	v_add_co_ci_u32_e64 v6, null, v28, v20, vcc_lo
	global_load_ushort v3, v[3:4], off
	global_load_ushort v11, v[5:6], off
	v_mov_b32_e32 v4, v2
	v_mov_b32_e32 v5, v2
	;; [unrolled: 1-line block ×14, first 2 shown]
	s_waitcnt vmcnt(1)
	v_cvt_f32_f16_e32 v3, v3
	s_waitcnt vmcnt(0)
	v_cvt_f32_f16_e32 v11, v11
.LBB178_10:                             ;   in Loop: Header=BB178_3 Depth=1
	s_or_b32 exec_lo, exec_lo, s28
	v_add_co_u32 v59, vcc_lo, v21, 1
	v_add_co_ci_u32_e64 v60, null, 0, v22, vcc_lo
	v_cmp_gt_i64_e32 vcc_lo, s[8:9], v[59:60]
	s_and_b32 s29, s1, vcc_lo
	s_and_saveexec_b32 s28, s29
	s_cbranch_execz .LBB178_12
; %bb.11:                               ;   in Loop: Header=BB178_3 Depth=1
	v_add_co_u32 v59, vcc_lo, v53, v19
	v_add_co_ci_u32_e64 v60, null, v54, v20, vcc_lo
	v_add_co_u32 v61, vcc_lo, v55, v19
	v_add_co_ci_u32_e64 v62, null, v56, v20, vcc_lo
	global_load_ushort v4, v[59:60], off
	global_load_ushort v12, v[61:62], off
	s_waitcnt vmcnt(1)
	v_cvt_f32_f16_e32 v4, v4
	s_waitcnt vmcnt(0)
	v_cvt_f32_f16_e32 v12, v12
.LBB178_12:                             ;   in Loop: Header=BB178_3 Depth=1
	s_or_b32 exec_lo, exec_lo, s28
	v_add_co_u32 v59, vcc_lo, v21, 2
	v_add_co_ci_u32_e64 v60, null, 0, v22, vcc_lo
	v_cmp_gt_i64_e32 vcc_lo, s[8:9], v[59:60]
	s_and_b32 s29, s1, vcc_lo
	s_and_saveexec_b32 s28, s29
	s_cbranch_execz .LBB178_14
; %bb.13:                               ;   in Loop: Header=BB178_3 Depth=1
	v_add_co_u32 v59, vcc_lo, v49, v19
	v_add_co_ci_u32_e64 v60, null, v50, v20, vcc_lo
	v_add_co_u32 v61, vcc_lo, v51, v19
	v_add_co_ci_u32_e64 v62, null, v52, v20, vcc_lo
	global_load_ushort v5, v[59:60], off
	global_load_ushort v13, v[61:62], off
	s_waitcnt vmcnt(1)
	v_cvt_f32_f16_e32 v5, v5
	s_waitcnt vmcnt(0)
	v_cvt_f32_f16_e32 v13, v13
.LBB178_14:                             ;   in Loop: Header=BB178_3 Depth=1
	s_or_b32 exec_lo, exec_lo, s28
	v_add_co_u32 v59, vcc_lo, v21, 3
	v_add_co_ci_u32_e64 v60, null, 0, v22, vcc_lo
	v_cmp_gt_i64_e32 vcc_lo, s[8:9], v[59:60]
	s_and_b32 s29, s1, vcc_lo
	s_and_saveexec_b32 s28, s29
	s_cbranch_execz .LBB178_16
; %bb.15:                               ;   in Loop: Header=BB178_3 Depth=1
	v_add_co_u32 v59, vcc_lo, v45, v19
	v_add_co_ci_u32_e64 v60, null, v46, v20, vcc_lo
	v_add_co_u32 v61, vcc_lo, v47, v19
	v_add_co_ci_u32_e64 v62, null, v48, v20, vcc_lo
	global_load_ushort v6, v[59:60], off
	global_load_ushort v14, v[61:62], off
	s_waitcnt vmcnt(1)
	v_cvt_f32_f16_e32 v6, v6
	s_waitcnt vmcnt(0)
	v_cvt_f32_f16_e32 v14, v14
.LBB178_16:                             ;   in Loop: Header=BB178_3 Depth=1
	s_or_b32 exec_lo, exec_lo, s28
	v_add_co_u32 v59, vcc_lo, v21, 4
	v_add_co_ci_u32_e64 v60, null, 0, v22, vcc_lo
	v_cmp_gt_i64_e32 vcc_lo, s[8:9], v[59:60]
	s_and_b32 s29, s1, vcc_lo
	s_and_saveexec_b32 s28, s29
	s_cbranch_execz .LBB178_18
; %bb.17:                               ;   in Loop: Header=BB178_3 Depth=1
	v_add_co_u32 v59, vcc_lo, v41, v19
	v_add_co_ci_u32_e64 v60, null, v42, v20, vcc_lo
	v_add_co_u32 v61, vcc_lo, v43, v19
	v_add_co_ci_u32_e64 v62, null, v44, v20, vcc_lo
	global_load_ushort v7, v[59:60], off
	global_load_ushort v15, v[61:62], off
	s_waitcnt vmcnt(1)
	v_cvt_f32_f16_e32 v7, v7
	s_waitcnt vmcnt(0)
	v_cvt_f32_f16_e32 v15, v15
.LBB178_18:                             ;   in Loop: Header=BB178_3 Depth=1
	s_or_b32 exec_lo, exec_lo, s28
	v_add_co_u32 v59, vcc_lo, v21, 5
	v_add_co_ci_u32_e64 v60, null, 0, v22, vcc_lo
	v_cmp_gt_i64_e32 vcc_lo, s[8:9], v[59:60]
	s_and_b32 s29, s1, vcc_lo
	s_and_saveexec_b32 s28, s29
	s_cbranch_execz .LBB178_20
; %bb.19:                               ;   in Loop: Header=BB178_3 Depth=1
	v_add_co_u32 v59, vcc_lo, v37, v19
	v_add_co_ci_u32_e64 v60, null, v38, v20, vcc_lo
	v_add_co_u32 v61, vcc_lo, v39, v19
	v_add_co_ci_u32_e64 v62, null, v40, v20, vcc_lo
	global_load_ushort v8, v[59:60], off
	global_load_ushort v16, v[61:62], off
	s_waitcnt vmcnt(1)
	v_cvt_f32_f16_e32 v8, v8
	s_waitcnt vmcnt(0)
	v_cvt_f32_f16_e32 v16, v16
.LBB178_20:                             ;   in Loop: Header=BB178_3 Depth=1
	s_or_b32 exec_lo, exec_lo, s28
	v_add_co_u32 v59, vcc_lo, v21, 6
	v_add_co_ci_u32_e64 v60, null, 0, v22, vcc_lo
	v_cmp_gt_i64_e32 vcc_lo, s[8:9], v[59:60]
	s_and_b32 s29, s1, vcc_lo
	s_and_saveexec_b32 s28, s29
	s_cbranch_execz .LBB178_22
; %bb.21:                               ;   in Loop: Header=BB178_3 Depth=1
	v_add_co_u32 v59, vcc_lo, v33, v19
	v_add_co_ci_u32_e64 v60, null, v34, v20, vcc_lo
	v_add_co_u32 v61, vcc_lo, v35, v19
	v_add_co_ci_u32_e64 v62, null, v36, v20, vcc_lo
	global_load_ushort v9, v[59:60], off
	global_load_ushort v17, v[61:62], off
	s_waitcnt vmcnt(1)
	v_cvt_f32_f16_e32 v9, v9
	s_waitcnt vmcnt(0)
	v_cvt_f32_f16_e32 v17, v17
.LBB178_22:                             ;   in Loop: Header=BB178_3 Depth=1
	s_or_b32 exec_lo, exec_lo, s28
	v_add_co_u32 v59, vcc_lo, v21, 7
	v_add_co_ci_u32_e64 v60, null, 0, v22, vcc_lo
	v_cmp_gt_i64_e32 vcc_lo, s[8:9], v[59:60]
	s_and_b32 s29, s1, vcc_lo
	s_and_saveexec_b32 s28, s29
	s_cbranch_execz .LBB178_24
; %bb.23:                               ;   in Loop: Header=BB178_3 Depth=1
	v_add_co_u32 v59, vcc_lo, v29, v19
	v_add_co_ci_u32_e64 v60, null, v30, v20, vcc_lo
	v_add_co_u32 v61, vcc_lo, v31, v19
	v_add_co_ci_u32_e64 v62, null, v32, v20, vcc_lo
	global_load_ushort v10, v[59:60], off
	global_load_ushort v18, v[61:62], off
	s_waitcnt vmcnt(1)
	v_cvt_f32_f16_e32 v10, v10
	s_waitcnt vmcnt(0)
	v_cvt_f32_f16_e32 v18, v18
.LBB178_24:                             ;   in Loop: Header=BB178_3 Depth=1
	s_or_b32 exec_lo, exec_lo, s28
	s_waitcnt vmcnt(0)
	ds_bpermute_b32 v59, v2, v58
	ds_bpermute_b32 v60, v2, v58 offset:4
	ds_bpermute_b32 v61, v2, v58 offset:8
	v_mul_f32_e32 v3, v11, v3
	ds_bpermute_b32 v11, v2, v58 offset:12
	v_mul_f32_e32 v4, v12, v4
	;; [unrolled: 2-line block ×3, first 2 shown]
	s_mov_b32 s28, 0
	s_waitcnt lgkmcnt(4)
	v_fma_f32 v86, v3, v59, v57
	v_mul_f32_e32 v3, v13, v5
	ds_bpermute_b32 v5, v2, v58 offset:20
	s_waitcnt lgkmcnt(4)
	v_fmac_f32_e32 v86, v4, v60
	v_mul_f32_e32 v4, v14, v6
	ds_bpermute_b32 v6, v2, v58 offset:24
	s_waitcnt lgkmcnt(4)
	v_fmac_f32_e32 v86, v3, v61
	ds_bpermute_b32 v3, v2, v58 offset:28
	s_waitcnt lgkmcnt(4)
	v_fmac_f32_e32 v86, v4, v11
	v_mul_f32_e32 v4, v16, v8
	s_waitcnt lgkmcnt(3)
	v_fmac_f32_e32 v86, v7, v12
	s_waitcnt lgkmcnt(2)
	v_fmac_f32_e32 v86, v4, v5
	v_mul_f32_e32 v4, v17, v9
	s_waitcnt lgkmcnt(1)
	v_fmac_f32_e32 v86, v4, v6
.LBB178_25:                             ;   in Loop: Header=BB178_3 Depth=1
	s_and_b32 vcc_lo, exec_lo, s28
	s_cbranch_vccz .LBB178_40
; %bb.26:                               ;   in Loop: Header=BB178_3 Depth=1
	s_load_dword s28, s[20:21], 0x0
	v_mov_b32_e32 v58, 0
	s_waitcnt lgkmcnt(0)
	s_cmp_lt_u32 s6, s28
	s_cselect_b32 s28, 12, 18
	s_add_u32 s28, s20, s28
	s_addc_u32 s29, s21, 0
	global_load_ushort v3, v2, s[28:29]
	s_mov_b32 s28, exec_lo
	s_waitcnt vmcnt(0)
	v_mad_u32_u24 v3, v1, v3, v0
	v_and_b32_e32 v3, 31, v3
	v_cmpx_gt_u32_e32 8, v3
	s_cbranch_execz .LBB178_30
; %bb.27:                               ;   in Loop: Header=BB178_3 Depth=1
	v_add_co_u32 v3, vcc_lo, v21, v3
	v_add_co_ci_u32_e64 v4, null, 0, v22, vcc_lo
	v_mov_b32_e32 v58, 0
	s_mov_b32 s29, exec_lo
	v_cmpx_gt_i64_e64 s[8:9], v[3:4]
	s_cbranch_execz .LBB178_29
; %bb.28:                               ;   in Loop: Header=BB178_3 Depth=1
	v_lshlrev_b64 v[3:4], 2, v[3:4]
	v_add_co_u32 v3, vcc_lo, s16, v3
	v_add_co_ci_u32_e64 v4, null, s17, v4, vcc_lo
	global_load_dword v58, v[3:4], off
.LBB178_29:                             ;   in Loop: Header=BB178_3 Depth=1
	s_or_b32 exec_lo, exec_lo, s29
.LBB178_30:                             ;   in Loop: Header=BB178_3 Depth=1
	s_or_b32 exec_lo, exec_lo, s28
	v_mov_b32_e32 v9, v2
	v_mov_b32_e32 v3, v2
	;; [unrolled: 1-line block ×23, first 2 shown]
	s_and_saveexec_b32 s28, s1
	s_cbranch_execnz .LBB178_42
; %bb.31:                               ;   in Loop: Header=BB178_3 Depth=1
	s_or_b32 exec_lo, exec_lo, s28
	s_and_saveexec_b32 s28, s1
	s_cbranch_execnz .LBB178_43
.LBB178_32:                             ;   in Loop: Header=BB178_3 Depth=1
	s_or_b32 exec_lo, exec_lo, s28
	s_and_saveexec_b32 s28, s1
	s_cbranch_execnz .LBB178_44
.LBB178_33:                             ;   in Loop: Header=BB178_3 Depth=1
	s_or_b32 exec_lo, exec_lo, s28
	s_and_saveexec_b32 s28, s1
	s_cbranch_execnz .LBB178_45
.LBB178_34:                             ;   in Loop: Header=BB178_3 Depth=1
	s_or_b32 exec_lo, exec_lo, s28
	s_and_saveexec_b32 s28, s1
	s_cbranch_execnz .LBB178_46
.LBB178_35:                             ;   in Loop: Header=BB178_3 Depth=1
	s_or_b32 exec_lo, exec_lo, s28
	s_and_saveexec_b32 s28, s1
	s_cbranch_execnz .LBB178_47
.LBB178_36:                             ;   in Loop: Header=BB178_3 Depth=1
	s_or_b32 exec_lo, exec_lo, s28
	s_and_saveexec_b32 s28, s1
	s_cbranch_execnz .LBB178_48
.LBB178_37:                             ;   in Loop: Header=BB178_3 Depth=1
	s_or_b32 exec_lo, exec_lo, s28
	s_and_saveexec_b32 s28, s1
	s_cbranch_execz .LBB178_39
.LBB178_38:                             ;   in Loop: Header=BB178_3 Depth=1
	v_add_co_u32 v21, vcc_lo, v29, v19
	v_add_co_ci_u32_e64 v22, null, v30, v20, vcc_lo
	v_add_co_u32 v59, vcc_lo, v31, v19
	v_add_co_ci_u32_e64 v60, null, v32, v20, vcc_lo
	global_load_ushort v10, v[21:22], off
	global_load_ushort v18, v[59:60], off
	s_waitcnt vmcnt(1)
	v_cvt_f32_f16_e32 v10, v10
	s_waitcnt vmcnt(0)
	v_cvt_f32_f16_e32 v18, v18
.LBB178_39:                             ;   in Loop: Header=BB178_3 Depth=1
	s_or_b32 exec_lo, exec_lo, s28
	s_waitcnt vmcnt(0)
	ds_bpermute_b32 v21, v2, v58
	ds_bpermute_b32 v22, v2, v58 offset:4
	ds_bpermute_b32 v59, v2, v58 offset:8
	v_mul_f32_e32 v3, v11, v3
	ds_bpermute_b32 v11, v2, v58 offset:12
	v_mul_f32_e32 v4, v12, v4
	ds_bpermute_b32 v12, v2, v58 offset:16
	s_waitcnt lgkmcnt(4)
	v_fmac_f32_e32 v57, v3, v21
	v_mul_f32_e32 v3, v13, v5
	ds_bpermute_b32 v5, v2, v58 offset:20
	s_waitcnt lgkmcnt(4)
	v_fmac_f32_e32 v57, v4, v22
	;; [unrolled: 4-line block ×3, first 2 shown]
	v_mul_f32_e32 v3, v15, v7
	s_waitcnt lgkmcnt(3)
	v_fmac_f32_e32 v57, v4, v11
	v_mul_f32_e32 v4, v16, v8
	s_waitcnt lgkmcnt(2)
	v_fmac_f32_e32 v57, v3, v12
	ds_bpermute_b32 v3, v2, v58 offset:28
	s_waitcnt lgkmcnt(2)
	v_fmac_f32_e32 v57, v4, v5
	v_mul_f32_e32 v4, v17, v9
	s_waitcnt lgkmcnt(1)
	v_fmac_f32_e32 v57, v4, v6
	v_mov_b32_e32 v86, v57
.LBB178_40:                             ;   in Loop: Header=BB178_3 Depth=1
	v_add_co_u32 v25, vcc_lo, v25, s2
	v_add_co_ci_u32_e64 v26, null, s3, v26, vcc_lo
	v_add_co_u32 v27, vcc_lo, v27, s2
	v_add_co_ci_u32_e64 v28, null, s3, v28, vcc_lo
	;; [unrolled: 2-line block ×13, first 2 shown]
	v_add_co_u32 v51, vcc_lo, v51, s2
	s_add_u32 s24, s24, s27
	v_add_co_ci_u32_e64 v52, null, s3, v52, vcc_lo
	v_add_co_u32 v53, vcc_lo, v53, s2
	v_mul_f32_e32 v4, v10, v18
	s_addc_u32 s25, s25, 0
	v_add_co_ci_u32_e64 v54, null, s3, v54, vcc_lo
	v_add_co_u32 v55, vcc_lo, v55, s2
	v_cmp_lt_i64_e64 s28, s[24:25], s[8:9]
	v_add_co_ci_u32_e64 v56, null, s3, v56, vcc_lo
	v_add_co_u32 v23, vcc_lo, v23, s27
	s_waitcnt lgkmcnt(0)
	v_fmac_f32_e32 v86, v4, v3
	v_add_co_ci_u32_e64 v24, null, 0, v24, vcc_lo
	s_add_u32 s22, s22, s27
	s_addc_u32 s23, 0, s23
	s_and_b32 vcc_lo, exec_lo, s28
	s_cbranch_vccz .LBB178_50
; %bb.41:                               ;   in Loop: Header=BB178_3 Depth=1
	v_mov_b32_e32 v57, v86
	s_branch .LBB178_3
.LBB178_42:                             ;   in Loop: Header=BB178_3 Depth=1
	v_add_co_u32 v3, vcc_lo, v25, v19
	v_add_co_ci_u32_e64 v4, null, v26, v20, vcc_lo
	v_add_co_u32 v5, vcc_lo, v27, v19
	v_add_co_ci_u32_e64 v6, null, v28, v20, vcc_lo
	global_load_ushort v3, v[3:4], off
	global_load_ushort v11, v[5:6], off
	v_mov_b32_e32 v4, v2
	v_mov_b32_e32 v5, v2
	v_mov_b32_e32 v6, v2
	v_mov_b32_e32 v7, v2
	v_mov_b32_e32 v8, v2
	v_mov_b32_e32 v9, v2
	v_mov_b32_e32 v10, v2
	v_mov_b32_e32 v12, v2
	v_mov_b32_e32 v13, v2
	v_mov_b32_e32 v14, v2
	v_mov_b32_e32 v15, v2
	v_mov_b32_e32 v16, v2
	v_mov_b32_e32 v17, v2
	v_mov_b32_e32 v18, v2
	s_waitcnt vmcnt(1)
	v_cvt_f32_f16_e32 v3, v3
	s_waitcnt vmcnt(0)
	v_cvt_f32_f16_e32 v11, v11
	s_or_b32 exec_lo, exec_lo, s28
	s_and_saveexec_b32 s28, s1
	s_cbranch_execz .LBB178_32
.LBB178_43:                             ;   in Loop: Header=BB178_3 Depth=1
	v_add_co_u32 v21, vcc_lo, v53, v19
	v_add_co_ci_u32_e64 v22, null, v54, v20, vcc_lo
	v_add_co_u32 v59, vcc_lo, v55, v19
	v_add_co_ci_u32_e64 v60, null, v56, v20, vcc_lo
	global_load_ushort v4, v[21:22], off
	global_load_ushort v12, v[59:60], off
	s_waitcnt vmcnt(1)
	v_cvt_f32_f16_e32 v4, v4
	s_waitcnt vmcnt(0)
	v_cvt_f32_f16_e32 v12, v12
	s_or_b32 exec_lo, exec_lo, s28
	s_and_saveexec_b32 s28, s1
	s_cbranch_execz .LBB178_33
.LBB178_44:                             ;   in Loop: Header=BB178_3 Depth=1
	v_add_co_u32 v21, vcc_lo, v49, v19
	v_add_co_ci_u32_e64 v22, null, v50, v20, vcc_lo
	v_add_co_u32 v59, vcc_lo, v51, v19
	v_add_co_ci_u32_e64 v60, null, v52, v20, vcc_lo
	global_load_ushort v5, v[21:22], off
	global_load_ushort v13, v[59:60], off
	s_waitcnt vmcnt(1)
	v_cvt_f32_f16_e32 v5, v5
	s_waitcnt vmcnt(0)
	v_cvt_f32_f16_e32 v13, v13
	s_or_b32 exec_lo, exec_lo, s28
	s_and_saveexec_b32 s28, s1
	s_cbranch_execz .LBB178_34
.LBB178_45:                             ;   in Loop: Header=BB178_3 Depth=1
	v_add_co_u32 v21, vcc_lo, v45, v19
	v_add_co_ci_u32_e64 v22, null, v46, v20, vcc_lo
	v_add_co_u32 v59, vcc_lo, v47, v19
	v_add_co_ci_u32_e64 v60, null, v48, v20, vcc_lo
	global_load_ushort v6, v[21:22], off
	global_load_ushort v14, v[59:60], off
	s_waitcnt vmcnt(1)
	v_cvt_f32_f16_e32 v6, v6
	s_waitcnt vmcnt(0)
	v_cvt_f32_f16_e32 v14, v14
	s_or_b32 exec_lo, exec_lo, s28
	s_and_saveexec_b32 s28, s1
	s_cbranch_execz .LBB178_35
.LBB178_46:                             ;   in Loop: Header=BB178_3 Depth=1
	v_add_co_u32 v21, vcc_lo, v41, v19
	v_add_co_ci_u32_e64 v22, null, v42, v20, vcc_lo
	v_add_co_u32 v59, vcc_lo, v43, v19
	v_add_co_ci_u32_e64 v60, null, v44, v20, vcc_lo
	global_load_ushort v7, v[21:22], off
	global_load_ushort v15, v[59:60], off
	s_waitcnt vmcnt(1)
	v_cvt_f32_f16_e32 v7, v7
	s_waitcnt vmcnt(0)
	v_cvt_f32_f16_e32 v15, v15
	s_or_b32 exec_lo, exec_lo, s28
	s_and_saveexec_b32 s28, s1
	s_cbranch_execz .LBB178_36
.LBB178_47:                             ;   in Loop: Header=BB178_3 Depth=1
	v_add_co_u32 v21, vcc_lo, v37, v19
	v_add_co_ci_u32_e64 v22, null, v38, v20, vcc_lo
	v_add_co_u32 v59, vcc_lo, v39, v19
	v_add_co_ci_u32_e64 v60, null, v40, v20, vcc_lo
	global_load_ushort v8, v[21:22], off
	global_load_ushort v16, v[59:60], off
	s_waitcnt vmcnt(1)
	v_cvt_f32_f16_e32 v8, v8
	s_waitcnt vmcnt(0)
	v_cvt_f32_f16_e32 v16, v16
	s_or_b32 exec_lo, exec_lo, s28
	s_and_saveexec_b32 s28, s1
	s_cbranch_execz .LBB178_37
.LBB178_48:                             ;   in Loop: Header=BB178_3 Depth=1
	v_add_co_u32 v21, vcc_lo, v33, v19
	v_add_co_ci_u32_e64 v22, null, v34, v20, vcc_lo
	v_add_co_u32 v59, vcc_lo, v35, v19
	v_add_co_ci_u32_e64 v60, null, v36, v20, vcc_lo
	global_load_ushort v9, v[21:22], off
	global_load_ushort v17, v[59:60], off
	s_waitcnt vmcnt(1)
	v_cvt_f32_f16_e32 v9, v9
	s_waitcnt vmcnt(0)
	v_cvt_f32_f16_e32 v17, v17
	s_or_b32 exec_lo, exec_lo, s28
	s_and_saveexec_b32 s28, s1
	s_cbranch_execnz .LBB178_38
	s_branch .LBB178_39
.LBB178_49:
                                        ; implicit-def: $vgpr86
	s_load_dwordx2 s[2:3], s[4:5], 0x30
	s_branch .LBB178_51
.LBB178_50:
	s_load_dwordx2 s[2:3], s[4:5], 0x30
	s_cbranch_execnz .LBB178_83
.LBB178_51:
	v_mov_b32_e32 v86, 0
	s_andn2_b32 vcc_lo, exec_lo, s26
	s_cbranch_vccnz .LBB178_83
; %bb.52:
	v_lshlrev_b32_e32 v51, 3, v1
	v_lshlrev_b32_e32 v4, 4, v1
	s_add_u32 s20, s4, 64
	s_addc_u32 s21, s5, 0
	s_lshl_b64 s[22:23], s[18:19], 1
	v_add_co_u32 v10, s1, v51, s18
	v_add_co_ci_u32_e64 v11, null, 0, 0, s1
	v_add_co_u32 v7, s1, v4, s22
	v_mul_lo_u32 v5, s11, v10
	v_mul_lo_u32 v6, s10, v11
	v_mad_u64_u32 v[2:3], null, s10, v10, 0
	v_add_co_ci_u32_e64 v8, null, 0, s23, s1
	v_mov_b32_e32 v85, 0
	s_mov_b64 s[22:23], s[18:19]
	v_add3_u32 v3, v3, v6, v5
	v_add_co_u32 v6, vcc_lo, v7, 2
	v_add_co_ci_u32_e64 v9, null, 0, v8, vcc_lo
	v_lshlrev_b64 v[4:5], 1, v[2:3]
	v_mad_u64_u32 v[19:20], null, s10, v6, s[12:13]
	v_mul_lo_u32 v9, s10, v9
	v_mul_lo_u32 v12, s11, v6
	v_mad_u64_u32 v[33:34], null, s10, v6, s[14:15]
	v_add_co_u32 v52, vcc_lo, s12, v4
	v_add_co_ci_u32_e64 v53, null, s13, v5, vcc_lo
	v_add_co_u32 v54, vcc_lo, s14, v4
	v_add_co_ci_u32_e64 v55, null, s15, v5, vcc_lo
	;; [unrolled: 2-line block ×4, first 2 shown]
	v_add_co_u32 v16, vcc_lo, v7, 8
	v_mad_u64_u32 v[21:22], null, s10, v4, s[12:13]
	v_mul_lo_u32 v5, s10, v5
	v_mul_lo_u32 v15, s11, v4
	v_add_co_ci_u32_e64 v18, null, 0, v8, vcc_lo
	v_add_co_u32 v41, vcc_lo, v7, 10
	v_mad_u64_u32 v[35:36], null, s10, v4, s[14:15]
	v_add_co_ci_u32_e64 v29, null, 0, v8, vcc_lo
	v_add_co_u32 v44, vcc_lo, v7, 12
	v_add_co_ci_u32_e64 v31, null, 0, v8, vcc_lo
	v_add_co_u32 v7, vcc_lo, v7, 14
	;; [unrolled: 2-line block ×3, first 2 shown]
	v_add3_u32 v22, v15, v22, v5
	v_add3_u32 v36, v15, v36, v5
	v_add_co_ci_u32_e64 v5, null, 0, v11, vcc_lo
	v_add3_u32 v20, v12, v20, v9
	v_add3_u32 v34, v12, v34, v9
	v_mul_lo_u32 v6, s11, v4
	v_mul_lo_u32 v9, s10, v5
	v_mad_u64_u32 v[4:5], null, s10, v4, 0
	v_mul_lo_u32 v49, s10, v31
	v_mad_u64_u32 v[31:32], null, s10, v7, s[12:13]
	v_mul_lo_u32 v8, s10, v8
	v_mul_lo_u32 v56, s11, v7
	v_mad_u64_u32 v[45:46], null, s10, v7, s[14:15]
	v_add3_u32 v5, v5, v9, v6
	v_add_co_u32 v6, vcc_lo, v10, 6
	v_add_co_ci_u32_e64 v7, null, 0, v11, vcc_lo
	v_mad_u64_u32 v[23:24], null, s10, v13, s[12:13]
	v_mul_lo_u32 v14, s10, v14
	v_mul_lo_u32 v17, s11, v13
	v_add3_u32 v32, v56, v32, v8
	v_mad_u64_u32 v[37:38], null, s10, v13, s[14:15]
	v_add3_u32 v46, v56, v46, v8
	v_mul_lo_u32 v8, s11, v6
	v_mul_lo_u32 v9, s10, v7
	v_mad_u64_u32 v[6:7], null, s10, v6, 0
	v_lshlrev_b64 v[4:5], 1, v[4:5]
	v_add_co_u32 v12, vcc_lo, v10, 5
	v_add_co_ci_u32_e64 v13, null, 0, v11, vcc_lo
	v_add3_u32 v24, v17, v24, v14
	v_add_co_u32 v56, vcc_lo, s12, v4
	v_add3_u32 v38, v17, v38, v14
	v_add3_u32 v7, v7, v9, v8
	v_mul_lo_u32 v14, s11, v12
	v_mul_lo_u32 v13, s10, v13
	v_mad_u64_u32 v[8:9], null, s10, v12, 0
	v_add_co_ci_u32_e64 v57, null, s13, v5, vcc_lo
	v_add_co_u32 v12, vcc_lo, v10, 4
	v_add_co_ci_u32_e64 v15, null, 0, v11, vcc_lo
	v_add_co_u32 v58, vcc_lo, s14, v4
	v_add_co_ci_u32_e64 v59, null, s15, v5, vcc_lo
	v_lshlrev_b64 v[4:5], 1, v[6:7]
	v_add3_u32 v9, v9, v13, v14
	v_mul_lo_u32 v13, s11, v12
	v_mul_lo_u32 v14, s10, v15
	v_mad_u64_u32 v[6:7], null, s10, v12, 0
	v_lshlrev_b64 v[8:9], 1, v[8:9]
	v_add_co_u32 v60, vcc_lo, s12, v4
	v_add_co_ci_u32_e64 v61, null, s13, v5, vcc_lo
	v_add_co_u32 v62, vcc_lo, s14, v4
	v_add3_u32 v7, v7, v14, v13
	v_add_co_ci_u32_e64 v63, null, s15, v5, vcc_lo
	v_add_co_u32 v64, vcc_lo, s12, v8
	v_add_co_ci_u32_e64 v65, null, s13, v9, vcc_lo
	v_lshlrev_b64 v[4:5], 1, v[6:7]
	v_add_co_u32 v6, vcc_lo, v10, 3
	v_add_co_ci_u32_e64 v7, null, 0, v11, vcc_lo
	v_add_co_u32 v66, s1, s14, v8
	v_add_co_u32 v8, vcc_lo, v10, 2
	v_add_co_ci_u32_e64 v67, null, s15, v9, s1
	v_mul_lo_u32 v12, s11, v6
	v_add_co_ci_u32_e64 v9, null, 0, v11, vcc_lo
	v_mul_lo_u32 v10, s10, v7
	v_mad_u64_u32 v[6:7], null, s10, v6, 0
	v_mul_lo_u32 v11, s11, v8
	v_mul_lo_u32 v13, s10, v9
	v_mad_u64_u32 v[8:9], null, s10, v8, 0
	v_add_co_u32 v68, vcc_lo, s12, v4
	v_add3_u32 v7, v7, v10, v12
	s_load_dword s1, s[4:5], 0x44
	v_add_co_ci_u32_e64 v69, null, s13, v5, vcc_lo
	v_add_co_u32 v70, vcc_lo, s14, v4
	v_add_co_ci_u32_e64 v71, null, s15, v5, vcc_lo
	v_lshlrev_b64 v[4:5], 1, v[6:7]
	v_add3_u32 v9, v9, v13, v11
	v_add_co_u32 v2, vcc_lo, v2, s10
	v_mad_u64_u32 v[25:26], null, s10, v16, s[12:13]
	v_mul_lo_u32 v18, s10, v18
	v_mul_lo_u32 v43, s11, v16
	v_mad_u64_u32 v[39:40], null, s10, v16, s[14:15]
	v_add_co_ci_u32_e64 v3, null, s11, v3, vcc_lo
	v_lshlrev_b64 v[6:7], 1, v[8:9]
	v_add_co_u32 v72, vcc_lo, s12, v4
	v_add_co_ci_u32_e64 v73, null, s13, v5, vcc_lo
	v_add_co_u32 v74, vcc_lo, s14, v4
	v_lshlrev_b64 v[3:4], 1, v[2:3]
	v_mov_b32_e32 v2, 0
	v_mad_u64_u32 v[27:28], null, s10, v41, s[12:13]
	v_mul_lo_u32 v47, s10, v29
	v_mul_lo_u32 v48, s11, v41
	v_mad_u64_u32 v[41:42], null, s10, v41, s[14:15]
	v_mad_u64_u32 v[29:30], null, s10, v44, s[12:13]
	v_mul_lo_u32 v50, s11, v44
	v_add3_u32 v26, v43, v26, v18
	v_add3_u32 v40, v43, v40, v18
	v_mad_u64_u32 v[43:44], null, s10, v44, s[14:15]
	v_add_co_ci_u32_e64 v75, null, s15, v5, vcc_lo
	v_add_co_u32 v76, vcc_lo, s12, v6
	v_add_co_ci_u32_e64 v77, null, s13, v7, vcc_lo
	v_add_co_u32 v78, vcc_lo, s14, v6
	v_add_nc_u32_e32 v5, s7, v0
	v_mov_b32_e32 v6, v2
	v_add_co_ci_u32_e64 v79, null, s15, v7, vcc_lo
	v_add_co_u32 v80, vcc_lo, s12, v3
	s_waitcnt lgkmcnt(0)
	s_lshl_b32 s1, s1, 3
	v_add_co_ci_u32_e64 v81, null, s13, v4, vcc_lo
	v_add_co_u32 v82, vcc_lo, s14, v3
	v_add3_u32 v28, v48, v28, v47
	v_add3_u32 v42, v48, v42, v47
	s_mul_i32 s7, s11, s1
	s_mul_hi_u32 s12, s10, s1
	v_lshlrev_b64 v[47:48], 1, v[5:6]
	v_add3_u32 v30, v50, v30, v49
	v_add3_u32 v44, v50, v44, v49
	v_add_co_ci_u32_e64 v83, null, s15, v4, vcc_lo
	v_mov_b32_e32 v84, v2
	s_add_i32 s13, s12, s7
	s_mul_i32 s12, s10, s1
	s_mov_b64 s[14:15], 7
	s_lshl_b64 s[12:13], s[12:13], 1
.LBB178_53:                             ; =>This Inner Loop Header: Depth=1
	s_add_u32 s24, s18, s14
	s_addc_u32 s25, 0, s15
	v_add_co_u32 v49, vcc_lo, s18, v51
	v_cmp_ge_i64_e64 s7, s[24:25], s[8:9]
	v_add_co_ci_u32_e64 v50, null, 0, v84, vcc_lo
                                        ; implicit-def: $vgpr86
	s_and_b32 vcc_lo, exec_lo, s7
	s_mov_b32 s7, -1
	s_cbranch_vccz .LBB178_75
; %bb.54:                               ;   in Loop: Header=BB178_53 Depth=1
	s_load_dword s7, s[20:21], 0xc
	v_mov_b32_e32 v87, 0
	s_waitcnt lgkmcnt(0)
	s_and_b32 s7, s7, 0xffff
	v_mad_u32_u24 v3, v1, s7, v0
	s_mov_b32 s7, exec_lo
	v_and_b32_e32 v3, 31, v3
	v_cmpx_gt_u32_e32 8, v3
	s_cbranch_execz .LBB178_58
; %bb.55:                               ;   in Loop: Header=BB178_53 Depth=1
	v_add_co_u32 v3, vcc_lo, v49, v3
	v_add_co_ci_u32_e64 v4, null, 0, v50, vcc_lo
	v_mov_b32_e32 v87, 0
	s_mov_b32 s19, exec_lo
	v_cmpx_gt_i64_e64 s[8:9], v[3:4]
	s_cbranch_execz .LBB178_57
; %bb.56:                               ;   in Loop: Header=BB178_53 Depth=1
	v_lshlrev_b64 v[3:4], 2, v[3:4]
	v_add_co_u32 v3, vcc_lo, s16, v3
	v_add_co_ci_u32_e64 v4, null, s17, v4, vcc_lo
	global_load_dword v87, v[3:4], off
.LBB178_57:                             ;   in Loop: Header=BB178_53 Depth=1
	s_or_b32 exec_lo, exec_lo, s19
.LBB178_58:                             ;   in Loop: Header=BB178_53 Depth=1
	s_or_b32 exec_lo, exec_lo, s7
	v_mov_b32_e32 v9, v2
	v_mov_b32_e32 v3, v2
	;; [unrolled: 1-line block ×23, first 2 shown]
	s_mov_b32 s7, exec_lo
	v_cmpx_gt_i64_e64 s[8:9], v[49:50]
	s_cbranch_execz .LBB178_60
; %bb.59:                               ;   in Loop: Header=BB178_53 Depth=1
	v_add_co_u32 v3, vcc_lo, v52, v47
	v_add_co_ci_u32_e64 v4, null, v53, v48, vcc_lo
	v_add_co_u32 v5, vcc_lo, v54, v47
	v_add_co_ci_u32_e64 v6, null, v55, v48, vcc_lo
	global_load_ushort v3, v[3:4], off
	global_load_ushort v11, v[5:6], off
	v_mov_b32_e32 v4, v2
	v_mov_b32_e32 v5, v2
	;; [unrolled: 1-line block ×14, first 2 shown]
	s_waitcnt vmcnt(1)
	v_cvt_f32_f16_e32 v3, v3
	s_waitcnt vmcnt(0)
	v_cvt_f32_f16_e32 v11, v11
.LBB178_60:                             ;   in Loop: Header=BB178_53 Depth=1
	s_or_b32 exec_lo, exec_lo, s7
	v_add_co_u32 v88, vcc_lo, v49, 1
	v_add_co_ci_u32_e64 v89, null, 0, v50, vcc_lo
	s_mov_b32 s7, exec_lo
	v_cmpx_gt_i64_e64 s[8:9], v[88:89]
	s_cbranch_execz .LBB178_62
; %bb.61:                               ;   in Loop: Header=BB178_53 Depth=1
	v_add_co_u32 v88, vcc_lo, v80, v47
	v_add_co_ci_u32_e64 v89, null, v81, v48, vcc_lo
	v_add_co_u32 v90, vcc_lo, v82, v47
	v_add_co_ci_u32_e64 v91, null, v83, v48, vcc_lo
	global_load_ushort v4, v[88:89], off
	global_load_ushort v12, v[90:91], off
	s_waitcnt vmcnt(1)
	v_cvt_f32_f16_e32 v4, v4
	s_waitcnt vmcnt(0)
	v_cvt_f32_f16_e32 v12, v12
.LBB178_62:                             ;   in Loop: Header=BB178_53 Depth=1
	s_or_b32 exec_lo, exec_lo, s7
	v_add_co_u32 v88, vcc_lo, v49, 2
	v_add_co_ci_u32_e64 v89, null, 0, v50, vcc_lo
	s_mov_b32 s7, exec_lo
	v_cmpx_gt_i64_e64 s[8:9], v[88:89]
	s_cbranch_execz .LBB178_64
; %bb.63:                               ;   in Loop: Header=BB178_53 Depth=1
	v_add_co_u32 v88, vcc_lo, v76, v47
	v_add_co_ci_u32_e64 v89, null, v77, v48, vcc_lo
	v_add_co_u32 v90, vcc_lo, v78, v47
	v_add_co_ci_u32_e64 v91, null, v79, v48, vcc_lo
	global_load_ushort v5, v[88:89], off
	global_load_ushort v13, v[90:91], off
	s_waitcnt vmcnt(1)
	v_cvt_f32_f16_e32 v5, v5
	s_waitcnt vmcnt(0)
	v_cvt_f32_f16_e32 v13, v13
.LBB178_64:                             ;   in Loop: Header=BB178_53 Depth=1
	;; [unrolled: 18-line block ×7, first 2 shown]
	s_or_b32 exec_lo, exec_lo, s7
	s_waitcnt vmcnt(0)
	ds_bpermute_b32 v86, v2, v87
	ds_bpermute_b32 v88, v2, v87 offset:4
	ds_bpermute_b32 v89, v2, v87 offset:8
	v_mul_f32_e32 v3, v11, v3
	ds_bpermute_b32 v11, v2, v87 offset:12
	v_mul_f32_e32 v4, v12, v4
	ds_bpermute_b32 v12, v2, v87 offset:16
	s_mov_b32 s7, 0
	s_waitcnt lgkmcnt(4)
	v_fma_f32 v86, v3, v86, v85
	v_mul_f32_e32 v3, v13, v5
	ds_bpermute_b32 v5, v2, v87 offset:20
	s_waitcnt lgkmcnt(4)
	v_fmac_f32_e32 v86, v4, v88
	v_mul_f32_e32 v4, v14, v6
	ds_bpermute_b32 v6, v2, v87 offset:24
	s_waitcnt lgkmcnt(4)
	v_fmac_f32_e32 v86, v3, v89
	v_mul_f32_e32 v3, v15, v7
	v_mul_f32_e32 v7, v16, v8
	s_waitcnt lgkmcnt(3)
	v_fmac_f32_e32 v86, v4, v11
	ds_bpermute_b32 v4, v2, v87 offset:28
	s_waitcnt lgkmcnt(3)
	v_fmac_f32_e32 v86, v3, v12
	v_mul_f32_e32 v3, v17, v9
	s_waitcnt lgkmcnt(2)
	v_fmac_f32_e32 v86, v7, v5
	s_waitcnt lgkmcnt(1)
	v_fmac_f32_e32 v86, v3, v6
	v_mul_f32_e32 v3, v18, v10
	s_waitcnt lgkmcnt(0)
	v_fmac_f32_e32 v86, v3, v4
.LBB178_75:                             ;   in Loop: Header=BB178_53 Depth=1
	s_and_b32 vcc_lo, exec_lo, s7
	s_cbranch_vccz .LBB178_81
; %bb.76:                               ;   in Loop: Header=BB178_53 Depth=1
	s_load_dword s7, s[20:21], 0x0
	v_mov_b32_e32 v5, 0
	s_waitcnt lgkmcnt(0)
	s_cmp_lt_u32 s6, s7
	s_cselect_b32 s7, 12, 18
	s_add_u32 s24, s20, s7
	s_addc_u32 s25, s21, 0
	s_mov_b32 s7, exec_lo
	global_load_ushort v3, v2, s[24:25]
	s_waitcnt vmcnt(0)
	v_mad_u32_u24 v3, v1, v3, v0
	v_and_b32_e32 v3, 31, v3
	v_cmpx_gt_u32_e32 8, v3
	s_cbranch_execz .LBB178_80
; %bb.77:                               ;   in Loop: Header=BB178_53 Depth=1
	v_add_co_u32 v3, vcc_lo, v49, v3
	v_add_co_ci_u32_e64 v4, null, 0, v50, vcc_lo
	v_mov_b32_e32 v5, 0
	s_mov_b32 s19, exec_lo
	v_cmpx_gt_i64_e64 s[8:9], v[3:4]
	s_cbranch_execz .LBB178_79
; %bb.78:                               ;   in Loop: Header=BB178_53 Depth=1
	v_lshlrev_b64 v[3:4], 2, v[3:4]
	v_add_co_u32 v3, vcc_lo, s16, v3
	v_add_co_ci_u32_e64 v4, null, s17, v4, vcc_lo
	global_load_dword v5, v[3:4], off
.LBB178_79:                             ;   in Loop: Header=BB178_53 Depth=1
	s_or_b32 exec_lo, exec_lo, s19
.LBB178_80:                             ;   in Loop: Header=BB178_53 Depth=1
	s_or_b32 exec_lo, exec_lo, s7
	v_add_co_u32 v3, vcc_lo, v52, v47
	v_add_co_ci_u32_e64 v4, null, v53, v48, vcc_lo
	v_add_co_u32 v6, vcc_lo, v54, v47
	v_add_co_ci_u32_e64 v7, null, v55, v48, vcc_lo
	;; [unrolled: 2-line block ×5, first 2 shown]
	global_load_ushort v14, v[3:4], off
	global_load_ushort v15, v[6:7], off
	;; [unrolled: 1-line block ×5, first 2 shown]
	v_add_co_u32 v3, vcc_lo, v35, v47
	v_add_co_ci_u32_e64 v4, null, v36, v48, vcc_lo
	v_add_co_u32 v6, vcc_lo, v23, v47
	v_add_co_ci_u32_e64 v7, null, v24, v48, vcc_lo
	;; [unrolled: 2-line block ×5, first 2 shown]
	global_load_ushort v49, v[3:4], off
	global_load_ushort v50, v[6:7], off
	;; [unrolled: 1-line block ×5, first 2 shown]
	v_add_co_u32 v3, vcc_lo, v27, v47
	v_add_co_ci_u32_e64 v4, null, v28, v48, vcc_lo
	v_add_co_u32 v6, vcc_lo, v41, v47
	v_add_co_ci_u32_e64 v7, null, v42, v48, vcc_lo
	;; [unrolled: 2-line block ×4, first 2 shown]
	global_load_ushort v13, v[3:4], off
	global_load_ushort v88, v[6:7], off
	;; [unrolled: 1-line block ×4, first 2 shown]
	v_add_co_u32 v3, vcc_lo, v31, v47
	v_add_co_ci_u32_e64 v4, null, v32, v48, vcc_lo
	v_add_co_u32 v6, vcc_lo, v45, v47
	v_add_co_ci_u32_e64 v7, null, v46, v48, vcc_lo
	global_load_ushort v3, v[3:4], off
	global_load_ushort v4, v[6:7], off
	s_waitcnt vmcnt(16)
	ds_bpermute_b32 v6, v2, v5
	ds_bpermute_b32 v7, v2, v5 offset:4
	ds_bpermute_b32 v10, v2, v5 offset:8
	s_waitcnt vmcnt(15)
	v_cvt_f32_f16_e32 v11, v14
	s_waitcnt vmcnt(14)
	v_cvt_f32_f16_e32 v14, v15
	ds_bpermute_b32 v15, v2, v5 offset:12
	s_waitcnt vmcnt(13)
	v_cvt_f32_f16_e32 v16, v16
	s_waitcnt vmcnt(12)
	v_cvt_f32_f16_e32 v17, v17
	;; [unrolled: 2-line block ×3, first 2 shown]
	v_mul_f32_e32 v11, v11, v14
	ds_bpermute_b32 v14, v2, v5 offset:16
	v_mul_f32_e32 v16, v16, v17
	s_waitcnt lgkmcnt(4)
	v_fmac_f32_e32 v85, v11, v6
	ds_bpermute_b32 v6, v2, v5 offset:20
	s_waitcnt lgkmcnt(4)
	v_fmac_f32_e32 v85, v16, v7
	ds_bpermute_b32 v7, v2, v5 offset:24
	ds_bpermute_b32 v5, v2, v5 offset:28
	s_waitcnt vmcnt(10)
	v_cvt_f32_f16_e32 v49, v49
	s_waitcnt vmcnt(9)
	v_cvt_f32_f16_e32 v11, v50
	;; [unrolled: 2-line block ×5, first 2 shown]
	v_mul_f32_e32 v18, v18, v49
	v_mul_f32_e32 v11, v11, v17
	;; [unrolled: 1-line block ×3, first 2 shown]
	s_waitcnt lgkmcnt(5)
	v_fmac_f32_e32 v85, v18, v10
	s_waitcnt lgkmcnt(4)
	v_fmac_f32_e32 v85, v11, v15
	s_waitcnt vmcnt(5)
	v_cvt_f32_f16_e32 v10, v13
	s_waitcnt vmcnt(4)
	v_cvt_f32_f16_e32 v13, v88
	;; [unrolled: 2-line block ×4, first 2 shown]
	s_waitcnt lgkmcnt(3)
	v_fmac_f32_e32 v85, v12, v14
	v_mul_f32_e32 v10, v10, v13
	v_mul_f32_e32 v8, v8, v9
	s_waitcnt lgkmcnt(2)
	v_fmac_f32_e32 v85, v10, v6
	s_waitcnt vmcnt(1)
	v_cvt_f32_f16_e32 v3, v3
	s_waitcnt vmcnt(0)
	v_cvt_f32_f16_e32 v4, v4
	s_waitcnt lgkmcnt(1)
	v_fmac_f32_e32 v85, v8, v7
	v_mul_f32_e32 v3, v3, v4
	s_waitcnt lgkmcnt(0)
	v_fmac_f32_e32 v85, v3, v5
	v_mov_b32_e32 v86, v85
.LBB178_81:                             ;   in Loop: Header=BB178_53 Depth=1
	v_add_co_u32 v52, vcc_lo, v52, s12
	v_add_co_ci_u32_e64 v53, null, s13, v53, vcc_lo
	v_add_co_u32 v54, vcc_lo, v54, s12
	v_add_co_ci_u32_e64 v55, null, s13, v55, vcc_lo
	;; [unrolled: 2-line block ×27, first 2 shown]
	v_add_co_u32 v76, vcc_lo, v76, s12
	s_add_u32 s22, s22, s1
	v_add_co_ci_u32_e64 v77, null, s13, v77, vcc_lo
	v_add_co_u32 v78, vcc_lo, v78, s12
	s_addc_u32 s23, s23, 0
	v_add_co_ci_u32_e64 v79, null, s13, v79, vcc_lo
	v_add_co_u32 v80, vcc_lo, v80, s12
	v_cmp_ge_i64_e64 s7, s[22:23], s[8:9]
	v_add_co_ci_u32_e64 v81, null, s13, v81, vcc_lo
	v_add_co_u32 v82, vcc_lo, v82, s12
	v_add_co_ci_u32_e64 v83, null, s13, v83, vcc_lo
	s_add_u32 s14, s14, s1
	s_addc_u32 s15, 0, s15
	s_and_b32 vcc_lo, exec_lo, s7
	s_cbranch_vccnz .LBB178_83
; %bb.82:                               ;   in Loop: Header=BB178_53 Depth=1
	v_mov_b32_e32 v85, v86
	s_branch .LBB178_53
.LBB178_83:
	s_mov_b32 s7, 0
	s_lshl_b64 s[6:7], s[6:7], 5
	s_waitcnt lgkmcnt(0)
	s_cmp_lg_u64 s[2:3], 0
	v_or_b32_e32 v3, s6, v0
	v_mov_b32_e32 v4, s7
	s_cselect_b32 s1, -1, 0
	v_cmp_gt_i64_e32 vcc_lo, s[10:11], v[3:4]
	s_and_b32 s1, vcc_lo, s1
	s_and_saveexec_b32 s6, s1
	s_cbranch_execz .LBB178_85
; %bb.84:
	s_load_dword s1, s[4:5], 0x4c
	v_mov_b32_e32 v2, 0
	s_waitcnt lgkmcnt(0)
	s_lshr_b32 s1, s1, 16
	v_mad_u64_u32 v[0:1], null, s1, s0, v[1:2]
	v_mul_lo_u32 v2, v1, s10
	v_mul_lo_u32 v5, v0, s11
	v_mad_u64_u32 v[0:1], null, v0, s10, 0
	v_add3_u32 v1, v1, v5, v2
	v_lshlrev_b64 v[2:3], 1, v[3:4]
	v_cvt_f16_f32_e32 v4, v86
	v_lshlrev_b64 v[0:1], 1, v[0:1]
	v_add_co_u32 v0, vcc_lo, s2, v0
	v_add_co_ci_u32_e64 v1, null, s3, v1, vcc_lo
	v_add_co_u32 v0, vcc_lo, v0, v2
	v_add_co_ci_u32_e64 v1, null, v1, v3, vcc_lo
	global_store_short v[0:1], v4, off
.LBB178_85:
	s_endpgm
	.section	.rodata,"a",@progbits
	.p2align	6, 0x0
	.amdhsa_kernel _ZN2at6native12_GLOBAL__N_135GammaBetaBackwardCUDAKernelTemplateIN3c104HalfEfLj32ELj1ELj8ELb1ELb0ELb1EEEvllPKT_S7_PKT0_SA_PS5_SB_
		.amdhsa_group_segment_fixed_size 0
		.amdhsa_private_segment_fixed_size 0
		.amdhsa_kernarg_size 320
		.amdhsa_user_sgpr_count 6
		.amdhsa_user_sgpr_private_segment_buffer 1
		.amdhsa_user_sgpr_dispatch_ptr 0
		.amdhsa_user_sgpr_queue_ptr 0
		.amdhsa_user_sgpr_kernarg_segment_ptr 1
		.amdhsa_user_sgpr_dispatch_id 0
		.amdhsa_user_sgpr_flat_scratch_init 0
		.amdhsa_user_sgpr_private_segment_size 0
		.amdhsa_wavefront_size32 1
		.amdhsa_uses_dynamic_stack 0
		.amdhsa_system_sgpr_private_segment_wavefront_offset 0
		.amdhsa_system_sgpr_workgroup_id_x 1
		.amdhsa_system_sgpr_workgroup_id_y 1
		.amdhsa_system_sgpr_workgroup_id_z 0
		.amdhsa_system_sgpr_workgroup_info 0
		.amdhsa_system_vgpr_workitem_id 1
		.amdhsa_next_free_vgpr 92
		.amdhsa_next_free_sgpr 30
		.amdhsa_reserve_vcc 1
		.amdhsa_reserve_flat_scratch 0
		.amdhsa_float_round_mode_32 0
		.amdhsa_float_round_mode_16_64 0
		.amdhsa_float_denorm_mode_32 3
		.amdhsa_float_denorm_mode_16_64 3
		.amdhsa_dx10_clamp 1
		.amdhsa_ieee_mode 1
		.amdhsa_fp16_overflow 0
		.amdhsa_workgroup_processor_mode 1
		.amdhsa_memory_ordered 1
		.amdhsa_forward_progress 1
		.amdhsa_shared_vgpr_count 0
		.amdhsa_exception_fp_ieee_invalid_op 0
		.amdhsa_exception_fp_denorm_src 0
		.amdhsa_exception_fp_ieee_div_zero 0
		.amdhsa_exception_fp_ieee_overflow 0
		.amdhsa_exception_fp_ieee_underflow 0
		.amdhsa_exception_fp_ieee_inexact 0
		.amdhsa_exception_int_div_zero 0
	.end_amdhsa_kernel
	.section	.text._ZN2at6native12_GLOBAL__N_135GammaBetaBackwardCUDAKernelTemplateIN3c104HalfEfLj32ELj1ELj8ELb1ELb0ELb1EEEvllPKT_S7_PKT0_SA_PS5_SB_,"axG",@progbits,_ZN2at6native12_GLOBAL__N_135GammaBetaBackwardCUDAKernelTemplateIN3c104HalfEfLj32ELj1ELj8ELb1ELb0ELb1EEEvllPKT_S7_PKT0_SA_PS5_SB_,comdat
.Lfunc_end178:
	.size	_ZN2at6native12_GLOBAL__N_135GammaBetaBackwardCUDAKernelTemplateIN3c104HalfEfLj32ELj1ELj8ELb1ELb0ELb1EEEvllPKT_S7_PKT0_SA_PS5_SB_, .Lfunc_end178-_ZN2at6native12_GLOBAL__N_135GammaBetaBackwardCUDAKernelTemplateIN3c104HalfEfLj32ELj1ELj8ELb1ELb0ELb1EEEvllPKT_S7_PKT0_SA_PS5_SB_
                                        ; -- End function
	.set _ZN2at6native12_GLOBAL__N_135GammaBetaBackwardCUDAKernelTemplateIN3c104HalfEfLj32ELj1ELj8ELb1ELb0ELb1EEEvllPKT_S7_PKT0_SA_PS5_SB_.num_vgpr, 92
	.set _ZN2at6native12_GLOBAL__N_135GammaBetaBackwardCUDAKernelTemplateIN3c104HalfEfLj32ELj1ELj8ELb1ELb0ELb1EEEvllPKT_S7_PKT0_SA_PS5_SB_.num_agpr, 0
	.set _ZN2at6native12_GLOBAL__N_135GammaBetaBackwardCUDAKernelTemplateIN3c104HalfEfLj32ELj1ELj8ELb1ELb0ELb1EEEvllPKT_S7_PKT0_SA_PS5_SB_.numbered_sgpr, 30
	.set _ZN2at6native12_GLOBAL__N_135GammaBetaBackwardCUDAKernelTemplateIN3c104HalfEfLj32ELj1ELj8ELb1ELb0ELb1EEEvllPKT_S7_PKT0_SA_PS5_SB_.num_named_barrier, 0
	.set _ZN2at6native12_GLOBAL__N_135GammaBetaBackwardCUDAKernelTemplateIN3c104HalfEfLj32ELj1ELj8ELb1ELb0ELb1EEEvllPKT_S7_PKT0_SA_PS5_SB_.private_seg_size, 0
	.set _ZN2at6native12_GLOBAL__N_135GammaBetaBackwardCUDAKernelTemplateIN3c104HalfEfLj32ELj1ELj8ELb1ELb0ELb1EEEvllPKT_S7_PKT0_SA_PS5_SB_.uses_vcc, 1
	.set _ZN2at6native12_GLOBAL__N_135GammaBetaBackwardCUDAKernelTemplateIN3c104HalfEfLj32ELj1ELj8ELb1ELb0ELb1EEEvllPKT_S7_PKT0_SA_PS5_SB_.uses_flat_scratch, 0
	.set _ZN2at6native12_GLOBAL__N_135GammaBetaBackwardCUDAKernelTemplateIN3c104HalfEfLj32ELj1ELj8ELb1ELb0ELb1EEEvllPKT_S7_PKT0_SA_PS5_SB_.has_dyn_sized_stack, 0
	.set _ZN2at6native12_GLOBAL__N_135GammaBetaBackwardCUDAKernelTemplateIN3c104HalfEfLj32ELj1ELj8ELb1ELb0ELb1EEEvllPKT_S7_PKT0_SA_PS5_SB_.has_recursion, 0
	.set _ZN2at6native12_GLOBAL__N_135GammaBetaBackwardCUDAKernelTemplateIN3c104HalfEfLj32ELj1ELj8ELb1ELb0ELb1EEEvllPKT_S7_PKT0_SA_PS5_SB_.has_indirect_call, 0
	.section	.AMDGPU.csdata,"",@progbits
; Kernel info:
; codeLenInByte = 7668
; TotalNumSgprs: 32
; NumVgprs: 92
; ScratchSize: 0
; MemoryBound: 0
; FloatMode: 240
; IeeeMode: 1
; LDSByteSize: 0 bytes/workgroup (compile time only)
; SGPRBlocks: 0
; VGPRBlocks: 11
; NumSGPRsForWavesPerEU: 32
; NumVGPRsForWavesPerEU: 92
; Occupancy: 10
; WaveLimiterHint : 0
; COMPUTE_PGM_RSRC2:SCRATCH_EN: 0
; COMPUTE_PGM_RSRC2:USER_SGPR: 6
; COMPUTE_PGM_RSRC2:TRAP_HANDLER: 0
; COMPUTE_PGM_RSRC2:TGID_X_EN: 1
; COMPUTE_PGM_RSRC2:TGID_Y_EN: 1
; COMPUTE_PGM_RSRC2:TGID_Z_EN: 0
; COMPUTE_PGM_RSRC2:TIDIG_COMP_CNT: 1
	.section	.text._ZN2at6native12_GLOBAL__N_135GammaBetaBackwardCUDAKernelTemplateIN3c104HalfEfLj32ELj8ELj64ELb0ELb1ELb1EEEvllPKT_S7_PKT0_SA_PS5_SB_,"axG",@progbits,_ZN2at6native12_GLOBAL__N_135GammaBetaBackwardCUDAKernelTemplateIN3c104HalfEfLj32ELj8ELj64ELb0ELb1ELb1EEEvllPKT_S7_PKT0_SA_PS5_SB_,comdat
	.globl	_ZN2at6native12_GLOBAL__N_135GammaBetaBackwardCUDAKernelTemplateIN3c104HalfEfLj32ELj8ELj64ELb0ELb1ELb1EEEvllPKT_S7_PKT0_SA_PS5_SB_ ; -- Begin function _ZN2at6native12_GLOBAL__N_135GammaBetaBackwardCUDAKernelTemplateIN3c104HalfEfLj32ELj8ELj64ELb0ELb1ELb1EEEvllPKT_S7_PKT0_SA_PS5_SB_
	.p2align	8
	.type	_ZN2at6native12_GLOBAL__N_135GammaBetaBackwardCUDAKernelTemplateIN3c104HalfEfLj32ELj8ELj64ELb0ELb1ELb1EEEvllPKT_S7_PKT0_SA_PS5_SB_,@function
_ZN2at6native12_GLOBAL__N_135GammaBetaBackwardCUDAKernelTemplateIN3c104HalfEfLj32ELj8ELj64ELb0ELb1ELb1EEEvllPKT_S7_PKT0_SA_PS5_SB_: ; @_ZN2at6native12_GLOBAL__N_135GammaBetaBackwardCUDAKernelTemplateIN3c104HalfEfLj32ELj8ELj64ELb0ELb1ELb1EEEvllPKT_S7_PKT0_SA_PS5_SB_
; %bb.0:
	s_load_dwordx4 s[8:11], s[4:5], 0x0
	s_lshl_b32 s16, s7, 6
	s_mov_b32 s17, 0
	s_waitcnt lgkmcnt(0)
	v_cmp_gt_i64_e64 s0, s[8:9], s[16:17]
	s_and_b32 vcc_lo, exec_lo, s0
	s_cbranch_vccnz .LBB179_2
; %bb.1:
	s_mov_b32 s0, s17
	s_load_dwordx2 s[2:3], s[4:5], 0x30
	v_mov_b32_e32 v2, 0
	s_andn2_b32 vcc_lo, exec_lo, s0
	s_cbranch_vccz .LBB179_3
	s_branch .LBB179_9
.LBB179_2:
	s_load_dwordx2 s[2:3], s[4:5], 0x30
	v_mov_b32_e32 v2, 0
.LBB179_3:
	s_clause 0x3
	s_load_dword s0, s[4:5], 0x4c
	s_load_dword s1, s[4:5], 0x44
	s_load_dwordx4 s[12:15], s[4:5], 0x10
	s_load_dwordx2 s[18:19], s[4:5], 0x28
	v_lshlrev_b32_e32 v4, 3, v1
	v_mov_b32_e32 v3, 0
	v_lshl_add_u32 v2, s6, 5, v0
	v_mov_b32_e32 v8, 8
	v_mov_b32_e32 v9, 4
	v_add_co_u32 v4, s4, v4, s16
	v_add_co_ci_u32_e64 v5, null, 0, 0, s4
	v_lshlrev_b64 v[15:16], 1, v[2:3]
	v_mul_lo_u32 v17, s11, v4
	v_mov_b32_e32 v10, 12
	v_mul_lo_u32 v18, s10, v5
	v_mov_b32_e32 v11, 16
	v_mov_b32_e32 v12, 20
	;; [unrolled: 1-line block ×3, first 2 shown]
	s_waitcnt lgkmcnt(0)
	s_and_b32 s0, s0, 0xffff
	s_lshl_b32 s4, s1, 6
	v_mad_u32_u24 v6, v1, s0, v0
	s_mul_i32 s1, s11, s4
	s_mul_hi_u32 s7, s10, s4
	v_mov_b32_e32 v14, 28
	v_mov_b32_e32 v2, 0
	v_and_b32_e32 v21, 31, v6
	v_mad_u64_u32 v[6:7], null, s10, v4, 0
	s_mov_b32 s5, 0
	s_add_i32 s21, s7, s1
	v_add_co_u32 v4, vcc_lo, v4, v21
	v_add_co_ci_u32_e64 v5, null, 0, v5, vcc_lo
	v_add3_u32 v7, v7, v18, v17
	v_cmp_gt_u32_e64 s0, 8, v21
	s_mul_i32 s20, s10, s4
	v_lshlrev_b64 v[17:18], 2, v[4:5]
	s_lshl_b64 s[20:21], s[20:21], 1
	v_lshlrev_b64 v[19:20], 1, v[6:7]
	s_lshl_b64 s[10:11], s[10:11], 1
	v_add_co_u32 v6, vcc_lo, s18, v17
	v_add_co_ci_u32_e64 v7, null, s19, v18, vcc_lo
	v_add_co_u32 v15, vcc_lo, v19, v15
	v_add_co_ci_u32_e64 v16, null, v20, v16, vcc_lo
	s_lshl_b64 s[18:19], s[4:5], 2
	s_branch .LBB179_6
.LBB179_4:                              ;   in Loop: Header=BB179_6 Depth=1
	s_or_b32 exec_lo, exec_lo, s5
.LBB179_5:                              ;   in Loop: Header=BB179_6 Depth=1
	s_or_b32 exec_lo, exec_lo, s1
	v_add_co_u32 v18, vcc_lo, s12, v15
	v_add_co_ci_u32_e64 v19, null, s13, v16, vcc_lo
	v_add_co_u32 v20, vcc_lo, s14, v15
	v_add_co_ci_u32_e64 v21, null, s15, v16, vcc_lo
	;; [unrolled: 2-line block ×3, first 2 shown]
	global_load_ushort v28, v[18:19], off
	global_load_ushort v29, v[20:21], off
	global_load_ushort v30, v[22:23], off
	v_add_co_u32 v18, vcc_lo, v20, s10
	v_add_co_ci_u32_e64 v19, null, s11, v21, vcc_lo
	v_add_co_u32 v20, vcc_lo, v22, s10
	v_add_co_ci_u32_e64 v21, null, s11, v23, vcc_lo
	;; [unrolled: 2-line block ×5, first 2 shown]
	global_load_ushort v31, v[18:19], off
	global_load_ushort v32, v[20:21], off
	;; [unrolled: 1-line block ×5, first 2 shown]
	v_add_co_u32 v18, vcc_lo, v24, s10
	v_add_co_ci_u32_e64 v19, null, s11, v25, vcc_lo
	v_add_co_u32 v20, vcc_lo, v26, s10
	v_add_co_ci_u32_e64 v21, null, s11, v27, vcc_lo
	v_add_co_u32 v22, vcc_lo, v18, s10
	v_add_co_ci_u32_e64 v23, null, s11, v19, vcc_lo
	v_add_co_u32 v24, vcc_lo, v20, s10
	v_add_co_ci_u32_e64 v25, null, s11, v21, vcc_lo
	v_add_co_u32 v26, vcc_lo, v22, s10
	v_add_co_ci_u32_e64 v27, null, s11, v23, vcc_lo
	global_load_ushort v36, v[18:19], off
	global_load_ushort v37, v[20:21], off
	;; [unrolled: 1-line block ×5, first 2 shown]
	v_add_co_u32 v18, vcc_lo, v24, s10
	v_add_co_ci_u32_e64 v19, null, s11, v25, vcc_lo
	v_add_co_u32 v20, vcc_lo, v26, s10
	v_add_co_ci_u32_e64 v21, null, s11, v27, vcc_lo
	;; [unrolled: 2-line block ×3, first 2 shown]
	global_load_ushort v18, v[18:19], off
	global_load_ushort v19, v[20:21], off
	;; [unrolled: 1-line block ×3, first 2 shown]
	s_waitcnt vmcnt(16)
	ds_bpermute_b32 v21, v3, v17
	ds_bpermute_b32 v22, v9, v17
	;; [unrolled: 1-line block ×4, first 2 shown]
	s_add_u32 s16, s16, s4
	v_add_co_u32 v6, vcc_lo, v6, s18
	s_addc_u32 s17, s17, 0
	v_add_co_ci_u32_e64 v7, null, s19, v7, vcc_lo
	v_add_co_u32 v4, vcc_lo, v4, s4
	v_cmp_lt_i64_e64 s1, s[16:17], s[8:9]
	v_add_co_ci_u32_e64 v5, null, 0, v5, vcc_lo
	v_add_co_u32 v15, vcc_lo, v15, s20
	v_add_co_ci_u32_e64 v16, null, s21, v16, vcc_lo
	s_and_b32 vcc_lo, exec_lo, s1
	s_waitcnt vmcnt(15)
	v_cvt_f32_f16_e32 v23, v28
	s_waitcnt vmcnt(14)
	v_cvt_f32_f16_e32 v24, v29
	;; [unrolled: 2-line block ×3, first 2 shown]
	v_mul_f32_e32 v23, v23, v24
	s_waitcnt lgkmcnt(3)
	v_fmac_f32_e32 v2, v23, v21
	s_waitcnt vmcnt(12)
	v_cvt_f32_f16_e32 v24, v31
	s_waitcnt vmcnt(11)
	v_cvt_f32_f16_e32 v28, v32
	;; [unrolled: 2-line block ×4, first 2 shown]
	v_mul_f32_e32 v21, v26, v24
	ds_bpermute_b32 v24, v11, v17
	ds_bpermute_b32 v26, v12, v17
	s_waitcnt lgkmcnt(4)
	v_fmac_f32_e32 v2, v21, v22
	v_mul_f32_e32 v21, v28, v23
	s_waitcnt vmcnt(8)
	v_cvt_f32_f16_e32 v22, v35
	ds_bpermute_b32 v23, v13, v17
	ds_bpermute_b32 v17, v14, v17
	s_waitcnt lgkmcnt(5)
	v_fmac_f32_e32 v2, v21, v25
	v_mul_f32_e32 v21, v29, v22
	s_waitcnt vmcnt(7)
	v_cvt_f32_f16_e32 v28, v36
	s_waitcnt vmcnt(6)
	v_cvt_f32_f16_e32 v22, v37
	;; [unrolled: 2-line block ×4, first 2 shown]
	s_waitcnt lgkmcnt(4)
	v_fmac_f32_e32 v2, v21, v27
	v_mul_f32_e32 v21, v28, v22
	s_waitcnt vmcnt(3)
	v_cvt_f32_f16_e32 v22, v40
	s_waitcnt lgkmcnt(3)
	v_fmac_f32_e32 v2, v21, v24
	v_mul_f32_e32 v21, v25, v29
	s_waitcnt vmcnt(2)
	v_cvt_f32_f16_e32 v18, v18
	s_waitcnt vmcnt(1)
	v_cvt_f32_f16_e32 v19, v19
	;; [unrolled: 2-line block ×3, first 2 shown]
	s_waitcnt lgkmcnt(2)
	v_fmac_f32_e32 v2, v21, v26
	v_mul_f32_e32 v18, v22, v18
	s_waitcnt lgkmcnt(1)
	v_fmac_f32_e32 v2, v18, v23
	v_mul_f32_e32 v18, v19, v20
	s_waitcnt lgkmcnt(0)
	v_fmac_f32_e32 v2, v18, v17
	s_cbranch_vccz .LBB179_9
.LBB179_6:                              ; =>This Inner Loop Header: Depth=1
	v_mov_b32_e32 v17, 0
	s_and_saveexec_b32 s1, s0
	s_cbranch_execz .LBB179_5
; %bb.7:                                ;   in Loop: Header=BB179_6 Depth=1
	v_mov_b32_e32 v17, 0
	s_mov_b32 s5, exec_lo
	v_cmpx_gt_i64_e64 s[8:9], v[4:5]
	s_cbranch_execz .LBB179_4
; %bb.8:                                ;   in Loop: Header=BB179_6 Depth=1
	global_load_dword v17, v[6:7], off
	s_branch .LBB179_4
.LBB179_9:
	v_mad_u32_u24 v3, v1, 33, v0
	v_lshrrev_b32_e32 v4, 5, v0
	s_mov_b32 s0, exec_lo
	v_lshl_add_u32 v3, v3, 2, 0
	v_add_nc_u32_e32 v1, v4, v1
	v_mov_b32_e32 v4, 0
	ds_write_b32 v3, v2
	ds_write_b32 v3, v4 offset:1056
	s_waitcnt lgkmcnt(0)
	s_barrier
	buffer_gl0_inv
	v_cmpx_gt_u32_e32 32, v1
	s_cbranch_execz .LBB179_29
; %bb.10:
	v_and_b32_e32 v2, 31, v0
	v_cmp_gt_u32_e32 vcc_lo, 8, v2
	v_mul_u32_u24_e32 v3, 33, v2
                                        ; implicit-def: $vgpr2
	s_and_saveexec_b32 s0, vcc_lo
	s_cbranch_execz .LBB179_12
; %bb.11:
	v_lshlrev_b32_e32 v2, 2, v1
	v_lshlrev_b32_e32 v4, 2, v3
	v_add3_u32 v2, 0, v2, v4
	ds_read_b32 v2, v2
.LBB179_12:
	s_or_b32 exec_lo, exec_lo, s0
	v_mbcnt_lo_u32_b32 v6, -1, 0
	s_cmp_lg_u64 s[2:3], 0
	s_mov_b32 s7, 0
	s_cselect_b32 s1, -1, 0
	s_lshl_b64 s[6:7], s[6:7], 6
	v_xor_b32_e32 v4, 4, v6
	v_xor_b32_e32 v5, 2, v6
	;; [unrolled: 1-line block ×3, first 2 shown]
	v_cmp_gt_i32_e64 s0, 32, v4
	v_cndmask_b32_e64 v4, v6, v4, s0
	v_cmp_gt_i32_e64 s0, 32, v5
	v_lshlrev_b32_e32 v4, 2, v4
	v_cndmask_b32_e64 v5, v6, v5, s0
	v_cmp_gt_i32_e64 s0, 32, v8
	s_waitcnt lgkmcnt(0)
	ds_bpermute_b32 v7, v4, v2
	v_lshlrev_b32_e32 v5, 2, v5
	v_cndmask_b32_e64 v6, v6, v8, s0
	v_cmp_eq_u32_e64 s0, 0, v0
	v_lshlrev_b32_e32 v6, 2, v6
	s_and_b32 s4, s0, s1
	s_add_u32 s1, s2, s6
	s_addc_u32 s2, s3, s7
	s_waitcnt lgkmcnt(0)
	v_add_f32_e32 v2, v2, v7
	ds_bpermute_b32 v7, v5, v2
	s_waitcnt lgkmcnt(0)
	v_add_f32_e32 v2, v2, v7
	ds_bpermute_b32 v7, v6, v2
	s_waitcnt lgkmcnt(0)
	v_add_f32_e32 v0, v2, v7
	s_and_saveexec_b32 s3, s4
	s_cbranch_execz .LBB179_14
; %bb.13:
	v_mov_b32_e32 v2, 0
	v_lshlrev_b64 v[7:8], 1, v[1:2]
	v_cvt_f16_f32_e32 v2, v0
	v_add_co_u32 v7, s0, s1, v7
	v_add_co_ci_u32_e64 v8, null, s2, v8, s0
	global_store_short v[7:8], v2, off
.LBB179_14:
	s_or_b32 exec_lo, exec_lo, s3
	v_cmp_gt_u32_e64 s0, 24, v1
	s_and_b32 exec_lo, exec_lo, s0
	s_cbranch_execz .LBB179_29
; %bb.15:
	s_and_saveexec_b32 s0, vcc_lo
	s_cbranch_execz .LBB179_17
; %bb.16:
	v_lshlrev_b32_e32 v0, 2, v1
	v_lshlrev_b32_e32 v2, 2, v3
	v_add3_u32 v0, 0, v0, v2
	ds_read_b32 v0, v0 offset:32
.LBB179_17:
	s_or_b32 exec_lo, exec_lo, s0
	s_waitcnt lgkmcnt(0)
	ds_bpermute_b32 v2, v4, v0
	s_waitcnt lgkmcnt(0)
	v_add_f32_e32 v0, v0, v2
	ds_bpermute_b32 v2, v5, v0
	s_waitcnt lgkmcnt(0)
	v_add_f32_e32 v0, v0, v2
	;; [unrolled: 3-line block ×3, first 2 shown]
	s_and_saveexec_b32 s3, s4
	s_cbranch_execz .LBB179_19
; %bb.18:
	v_mov_b32_e32 v2, 0
	v_lshlrev_b64 v[7:8], 1, v[1:2]
	v_cvt_f16_f32_e32 v2, v0
	v_add_co_u32 v7, s0, s1, v7
	v_add_co_ci_u32_e64 v8, null, s2, v8, s0
	global_store_short v[7:8], v2, off offset:16
.LBB179_19:
	s_or_b32 exec_lo, exec_lo, s3
	v_cmp_gt_u32_e64 s0, 16, v1
	s_and_b32 exec_lo, exec_lo, s0
	s_cbranch_execz .LBB179_29
; %bb.20:
	s_and_saveexec_b32 s0, vcc_lo
	s_cbranch_execz .LBB179_22
; %bb.21:
	v_lshlrev_b32_e32 v0, 2, v1
	v_lshlrev_b32_e32 v2, 2, v3
	v_add3_u32 v0, 0, v0, v2
	ds_read_b32 v0, v0 offset:64
.LBB179_22:
	s_or_b32 exec_lo, exec_lo, s0
	s_waitcnt lgkmcnt(0)
	ds_bpermute_b32 v2, v4, v0
	s_waitcnt lgkmcnt(0)
	v_add_f32_e32 v0, v0, v2
	ds_bpermute_b32 v2, v5, v0
	s_waitcnt lgkmcnt(0)
	v_add_f32_e32 v0, v0, v2
	;; [unrolled: 3-line block ×3, first 2 shown]
	s_and_saveexec_b32 s3, s4
	s_cbranch_execz .LBB179_24
; %bb.23:
	v_mov_b32_e32 v2, 0
	v_lshlrev_b64 v[7:8], 1, v[1:2]
	v_cvt_f16_f32_e32 v2, v0
	v_add_co_u32 v7, s0, s1, v7
	v_add_co_ci_u32_e64 v8, null, s2, v8, s0
	global_store_short v[7:8], v2, off offset:32
.LBB179_24:
	s_or_b32 exec_lo, exec_lo, s3
	v_cmp_gt_u32_e64 s0, 8, v1
	s_and_b32 exec_lo, exec_lo, s0
	s_cbranch_execz .LBB179_29
; %bb.25:
	s_and_saveexec_b32 s0, vcc_lo
	s_cbranch_execz .LBB179_27
; %bb.26:
	v_lshlrev_b32_e32 v0, 2, v1
	v_lshlrev_b32_e32 v2, 2, v3
	v_add3_u32 v0, 0, v0, v2
	ds_read_b32 v0, v0 offset:96
.LBB179_27:
	s_or_b32 exec_lo, exec_lo, s0
	s_waitcnt lgkmcnt(0)
	ds_bpermute_b32 v2, v4, v0
	s_waitcnt lgkmcnt(0)
	v_add_f32_e32 v0, v0, v2
	ds_bpermute_b32 v2, v5, v0
	s_waitcnt lgkmcnt(0)
	v_add_f32_e32 v0, v0, v2
	ds_bpermute_b32 v3, v6, v0
	s_and_saveexec_b32 s0, s4
	s_xor_b32 s0, exec_lo, s0
	s_cbranch_execz .LBB179_29
; %bb.28:
	v_mov_b32_e32 v2, 0
	s_waitcnt lgkmcnt(0)
	v_add_f32_e32 v3, v0, v3
	v_lshlrev_b64 v[0:1], 1, v[1:2]
	v_cvt_f16_f32_e32 v2, v3
	v_add_co_u32 v0, vcc_lo, s1, v0
	v_add_co_ci_u32_e64 v1, null, s2, v1, vcc_lo
	global_store_short v[0:1], v2, off offset:48
.LBB179_29:
	s_endpgm
	.section	.rodata,"a",@progbits
	.p2align	6, 0x0
	.amdhsa_kernel _ZN2at6native12_GLOBAL__N_135GammaBetaBackwardCUDAKernelTemplateIN3c104HalfEfLj32ELj8ELj64ELb0ELb1ELb1EEEvllPKT_S7_PKT0_SA_PS5_SB_
		.amdhsa_group_segment_fixed_size 0
		.amdhsa_private_segment_fixed_size 0
		.amdhsa_kernarg_size 320
		.amdhsa_user_sgpr_count 6
		.amdhsa_user_sgpr_private_segment_buffer 1
		.amdhsa_user_sgpr_dispatch_ptr 0
		.amdhsa_user_sgpr_queue_ptr 0
		.amdhsa_user_sgpr_kernarg_segment_ptr 1
		.amdhsa_user_sgpr_dispatch_id 0
		.amdhsa_user_sgpr_flat_scratch_init 0
		.amdhsa_user_sgpr_private_segment_size 0
		.amdhsa_wavefront_size32 1
		.amdhsa_uses_dynamic_stack 0
		.amdhsa_system_sgpr_private_segment_wavefront_offset 0
		.amdhsa_system_sgpr_workgroup_id_x 1
		.amdhsa_system_sgpr_workgroup_id_y 1
		.amdhsa_system_sgpr_workgroup_id_z 0
		.amdhsa_system_sgpr_workgroup_info 0
		.amdhsa_system_vgpr_workitem_id 1
		.amdhsa_next_free_vgpr 41
		.amdhsa_next_free_sgpr 22
		.amdhsa_reserve_vcc 1
		.amdhsa_reserve_flat_scratch 0
		.amdhsa_float_round_mode_32 0
		.amdhsa_float_round_mode_16_64 0
		.amdhsa_float_denorm_mode_32 3
		.amdhsa_float_denorm_mode_16_64 3
		.amdhsa_dx10_clamp 1
		.amdhsa_ieee_mode 1
		.amdhsa_fp16_overflow 0
		.amdhsa_workgroup_processor_mode 1
		.amdhsa_memory_ordered 1
		.amdhsa_forward_progress 1
		.amdhsa_shared_vgpr_count 0
		.amdhsa_exception_fp_ieee_invalid_op 0
		.amdhsa_exception_fp_denorm_src 0
		.amdhsa_exception_fp_ieee_div_zero 0
		.amdhsa_exception_fp_ieee_overflow 0
		.amdhsa_exception_fp_ieee_underflow 0
		.amdhsa_exception_fp_ieee_inexact 0
		.amdhsa_exception_int_div_zero 0
	.end_amdhsa_kernel
	.section	.text._ZN2at6native12_GLOBAL__N_135GammaBetaBackwardCUDAKernelTemplateIN3c104HalfEfLj32ELj8ELj64ELb0ELb1ELb1EEEvllPKT_S7_PKT0_SA_PS5_SB_,"axG",@progbits,_ZN2at6native12_GLOBAL__N_135GammaBetaBackwardCUDAKernelTemplateIN3c104HalfEfLj32ELj8ELj64ELb0ELb1ELb1EEEvllPKT_S7_PKT0_SA_PS5_SB_,comdat
.Lfunc_end179:
	.size	_ZN2at6native12_GLOBAL__N_135GammaBetaBackwardCUDAKernelTemplateIN3c104HalfEfLj32ELj8ELj64ELb0ELb1ELb1EEEvllPKT_S7_PKT0_SA_PS5_SB_, .Lfunc_end179-_ZN2at6native12_GLOBAL__N_135GammaBetaBackwardCUDAKernelTemplateIN3c104HalfEfLj32ELj8ELj64ELb0ELb1ELb1EEEvllPKT_S7_PKT0_SA_PS5_SB_
                                        ; -- End function
	.set _ZN2at6native12_GLOBAL__N_135GammaBetaBackwardCUDAKernelTemplateIN3c104HalfEfLj32ELj8ELj64ELb0ELb1ELb1EEEvllPKT_S7_PKT0_SA_PS5_SB_.num_vgpr, 41
	.set _ZN2at6native12_GLOBAL__N_135GammaBetaBackwardCUDAKernelTemplateIN3c104HalfEfLj32ELj8ELj64ELb0ELb1ELb1EEEvllPKT_S7_PKT0_SA_PS5_SB_.num_agpr, 0
	.set _ZN2at6native12_GLOBAL__N_135GammaBetaBackwardCUDAKernelTemplateIN3c104HalfEfLj32ELj8ELj64ELb0ELb1ELb1EEEvllPKT_S7_PKT0_SA_PS5_SB_.numbered_sgpr, 22
	.set _ZN2at6native12_GLOBAL__N_135GammaBetaBackwardCUDAKernelTemplateIN3c104HalfEfLj32ELj8ELj64ELb0ELb1ELb1EEEvllPKT_S7_PKT0_SA_PS5_SB_.num_named_barrier, 0
	.set _ZN2at6native12_GLOBAL__N_135GammaBetaBackwardCUDAKernelTemplateIN3c104HalfEfLj32ELj8ELj64ELb0ELb1ELb1EEEvllPKT_S7_PKT0_SA_PS5_SB_.private_seg_size, 0
	.set _ZN2at6native12_GLOBAL__N_135GammaBetaBackwardCUDAKernelTemplateIN3c104HalfEfLj32ELj8ELj64ELb0ELb1ELb1EEEvllPKT_S7_PKT0_SA_PS5_SB_.uses_vcc, 1
	.set _ZN2at6native12_GLOBAL__N_135GammaBetaBackwardCUDAKernelTemplateIN3c104HalfEfLj32ELj8ELj64ELb0ELb1ELb1EEEvllPKT_S7_PKT0_SA_PS5_SB_.uses_flat_scratch, 0
	.set _ZN2at6native12_GLOBAL__N_135GammaBetaBackwardCUDAKernelTemplateIN3c104HalfEfLj32ELj8ELj64ELb0ELb1ELb1EEEvllPKT_S7_PKT0_SA_PS5_SB_.has_dyn_sized_stack, 0
	.set _ZN2at6native12_GLOBAL__N_135GammaBetaBackwardCUDAKernelTemplateIN3c104HalfEfLj32ELj8ELj64ELb0ELb1ELb1EEEvllPKT_S7_PKT0_SA_PS5_SB_.has_recursion, 0
	.set _ZN2at6native12_GLOBAL__N_135GammaBetaBackwardCUDAKernelTemplateIN3c104HalfEfLj32ELj8ELj64ELb0ELb1ELb1EEEvllPKT_S7_PKT0_SA_PS5_SB_.has_indirect_call, 0
	.section	.AMDGPU.csdata,"",@progbits
; Kernel info:
; codeLenInByte = 1964
; TotalNumSgprs: 24
; NumVgprs: 41
; ScratchSize: 0
; MemoryBound: 0
; FloatMode: 240
; IeeeMode: 1
; LDSByteSize: 0 bytes/workgroup (compile time only)
; SGPRBlocks: 0
; VGPRBlocks: 5
; NumSGPRsForWavesPerEU: 24
; NumVGPRsForWavesPerEU: 41
; Occupancy: 16
; WaveLimiterHint : 0
; COMPUTE_PGM_RSRC2:SCRATCH_EN: 0
; COMPUTE_PGM_RSRC2:USER_SGPR: 6
; COMPUTE_PGM_RSRC2:TRAP_HANDLER: 0
; COMPUTE_PGM_RSRC2:TGID_X_EN: 1
; COMPUTE_PGM_RSRC2:TGID_Y_EN: 1
; COMPUTE_PGM_RSRC2:TGID_Z_EN: 0
; COMPUTE_PGM_RSRC2:TIDIG_COMP_CNT: 1
	.section	.text._ZN2at6native12_GLOBAL__N_135GammaBetaBackwardCUDAKernelTemplateIN3c104HalfEfLj32ELj8ELj64ELb0ELb0ELb1EEEvllPKT_S7_PKT0_SA_PS5_SB_,"axG",@progbits,_ZN2at6native12_GLOBAL__N_135GammaBetaBackwardCUDAKernelTemplateIN3c104HalfEfLj32ELj8ELj64ELb0ELb0ELb1EEEvllPKT_S7_PKT0_SA_PS5_SB_,comdat
	.globl	_ZN2at6native12_GLOBAL__N_135GammaBetaBackwardCUDAKernelTemplateIN3c104HalfEfLj32ELj8ELj64ELb0ELb0ELb1EEEvllPKT_S7_PKT0_SA_PS5_SB_ ; -- Begin function _ZN2at6native12_GLOBAL__N_135GammaBetaBackwardCUDAKernelTemplateIN3c104HalfEfLj32ELj8ELj64ELb0ELb0ELb1EEEvllPKT_S7_PKT0_SA_PS5_SB_
	.p2align	8
	.type	_ZN2at6native12_GLOBAL__N_135GammaBetaBackwardCUDAKernelTemplateIN3c104HalfEfLj32ELj8ELj64ELb0ELb0ELb1EEEvllPKT_S7_PKT0_SA_PS5_SB_,@function
_ZN2at6native12_GLOBAL__N_135GammaBetaBackwardCUDAKernelTemplateIN3c104HalfEfLj32ELj8ELj64ELb0ELb0ELb1EEEvllPKT_S7_PKT0_SA_PS5_SB_: ; @_ZN2at6native12_GLOBAL__N_135GammaBetaBackwardCUDAKernelTemplateIN3c104HalfEfLj32ELj8ELj64ELb0ELb0ELb1EEEvllPKT_S7_PKT0_SA_PS5_SB_
; %bb.0:
	s_clause 0x1
	s_load_dwordx8 s[8:15], s[4:5], 0x0
	s_load_dwordx2 s[2:3], s[4:5], 0x28
	s_lshl_b32 s26, s6, 5
	s_mov_b32 s17, 0
	s_or_b32 s16, s26, 31
	s_waitcnt lgkmcnt(0)
	v_cmp_le_i64_e64 s0, s[10:11], s[16:17]
	s_lshl_b32 s16, s7, 6
	v_cmp_gt_i64_e64 s7, s[8:9], s[16:17]
	s_and_b32 vcc_lo, exec_lo, s0
	v_cndmask_b32_e64 v2, 0, 1, s7
	v_cmp_ne_u32_e64 s0, 1, v2
	s_cbranch_vccz .LBB180_49
; %bb.1:
	v_mov_b32_e32 v85, 0
	s_and_b32 vcc_lo, exec_lo, s0
	s_cbranch_vccnz .LBB180_50
; %bb.2:
	v_lshlrev_b32_e32 v21, 3, v1
	v_mov_b32_e32 v2, 0
	v_add_nc_u32_e32 v5, s26, v0
	s_load_dword s1, s[4:5], 0x44
	s_add_u32 s18, s4, 64
	v_add_co_u32 v11, s0, v21, s16
	v_add_co_ci_u32_e64 v12, null, 0, 0, s0
	v_mov_b32_e32 v6, v2
	v_mul_lo_u32 v7, s11, v11
	v_mad_u64_u32 v[3:4], null, s10, v11, 0
	v_mul_lo_u32 v8, s10, v12
	v_cmp_gt_i64_e64 s0, s[10:11], v[5:6]
	v_lshlrev_b64 v[19:20], 1, v[5:6]
	s_addc_u32 s19, s5, 0
	v_mov_b32_e32 v54, 0
	s_mov_b64 s[24:25], s[16:17]
	v_add3_u32 v4, v4, v8, v7
	v_add_co_u32 v7, vcc_lo, v11, 7
	v_add_co_ci_u32_e64 v8, null, 0, v12, vcc_lo
	v_lshlrev_b64 v[5:6], 1, v[3:4]
	v_mul_lo_u32 v13, s11, v7
	s_waitcnt lgkmcnt(0)
	s_lshl_b32 s27, s1, 6
	v_mul_lo_u32 v14, s10, v8
	v_mad_u64_u32 v[7:8], null, s10, v7, 0
	v_add_co_u32 v22, vcc_lo, s12, v5
	v_add_co_ci_u32_e64 v23, null, s13, v6, vcc_lo
	v_add_co_u32 v9, vcc_lo, v11, 6
	v_add_co_ci_u32_e64 v10, null, 0, v12, vcc_lo
	v_add_co_u32 v24, vcc_lo, s14, v5
	v_mul_lo_u32 v15, s11, v9
	v_mul_lo_u32 v16, s10, v10
	v_mad_u64_u32 v[9:10], null, s10, v9, 0
	v_add3_u32 v8, v8, v14, v13
	v_add_co_ci_u32_e64 v25, null, s15, v6, vcc_lo
	v_add_co_u32 v13, vcc_lo, v11, 5
	v_add_co_ci_u32_e64 v14, null, 0, v12, vcc_lo
	v_add3_u32 v10, v10, v16, v15
	v_lshlrev_b64 v[5:6], 1, v[7:8]
	v_mul_lo_u32 v15, s11, v13
	v_mul_lo_u32 v14, s10, v14
	s_mul_i32 s1, s11, s27
	v_lshlrev_b64 v[7:8], 1, v[9:10]
	v_mad_u64_u32 v[9:10], null, s10, v13, 0
	v_add_co_u32 v26, vcc_lo, s12, v5
	v_add_co_ci_u32_e64 v27, null, s13, v6, vcc_lo
	v_add_co_u32 v28, vcc_lo, s14, v5
	v_add_co_ci_u32_e64 v29, null, s15, v6, vcc_lo
	v_add_co_u32 v30, vcc_lo, s12, v7
	v_add3_u32 v10, v10, v14, v15
	s_mul_hi_u32 s20, s10, s27
	v_add_co_ci_u32_e64 v31, null, s13, v8, vcc_lo
	v_add_co_u32 v13, vcc_lo, v11, 4
	s_add_i32 s21, s20, s1
	v_add_co_u32 v32, s1, s14, v7
	v_add_co_ci_u32_e64 v7, null, 0, v12, vcc_lo
	v_lshlrev_b64 v[5:6], 1, v[9:10]
	v_add_co_u32 v9, vcc_lo, v11, 3
	v_add_co_ci_u32_e64 v10, null, 0, v12, vcc_lo
	v_add_co_ci_u32_e64 v33, null, s15, v8, s1
	v_mul_lo_u32 v14, s11, v13
	v_mul_lo_u32 v15, s10, v7
	v_mad_u64_u32 v[7:8], null, s10, v13, 0
	v_mul_lo_u32 v13, s11, v9
	v_mul_lo_u32 v16, s10, v10
	v_mad_u64_u32 v[9:10], null, s10, v9, 0
	v_add_co_u32 v34, vcc_lo, s12, v5
	v_add_co_ci_u32_e64 v35, null, s13, v6, vcc_lo
	v_add3_u32 v8, v8, v15, v14
	v_add_co_u32 v36, vcc_lo, s14, v5
	v_add_co_ci_u32_e64 v37, null, s15, v6, vcc_lo
	v_add_co_u32 v11, vcc_lo, v11, 2
	v_add3_u32 v10, v10, v16, v13
	v_add_co_ci_u32_e64 v12, null, 0, v12, vcc_lo
	v_lshlrev_b64 v[5:6], 1, v[7:8]
	v_mul_lo_u32 v13, s11, v11
	v_lshlrev_b64 v[7:8], 1, v[9:10]
	v_mul_lo_u32 v12, s10, v12
	v_mad_u64_u32 v[9:10], null, s10, v11, 0
	v_add_co_u32 v38, vcc_lo, s12, v5
	v_add_co_ci_u32_e64 v39, null, s13, v6, vcc_lo
	v_add_co_u32 v40, vcc_lo, s14, v5
	v_add_co_ci_u32_e64 v41, null, s15, v6, vcc_lo
	v_add_co_u32 v42, vcc_lo, s12, v7
	v_add_co_ci_u32_e64 v43, null, s13, v8, vcc_lo
	v_add3_u32 v10, v10, v12, v13
	v_add_co_u32 v44, vcc_lo, s14, v7
	v_add_co_ci_u32_e64 v45, null, s15, v8, vcc_lo
	v_add_co_u32 v3, vcc_lo, v3, s10
	v_add_co_ci_u32_e64 v4, null, s11, v4, vcc_lo
	v_lshlrev_b64 v[5:6], 1, v[9:10]
	s_mul_i32 s20, s10, s27
	v_lshlrev_b64 v[3:4], 1, v[3:4]
	s_lshl_b64 s[20:21], s[20:21], 1
	s_add_u32 s22, s16, 63
	v_add_co_u32 v46, vcc_lo, s12, v5
	v_add_co_ci_u32_e64 v47, null, s13, v6, vcc_lo
	v_add_co_u32 v48, vcc_lo, s14, v5
	v_add_co_ci_u32_e64 v49, null, s15, v6, vcc_lo
	;; [unrolled: 2-line block ×4, first 2 shown]
	s_addc_u32 s23, 0, 0
.LBB180_3:                              ; =>This Inner Loop Header: Depth=1
	v_cmp_ge_i64_e64 s1, s[22:23], s[8:9]
	v_add_co_u32 v55, s28, v21, s22
	v_add_co_ci_u32_e64 v56, null, 0, s23, s28
                                        ; implicit-def: $vgpr3_vgpr4_vgpr5_vgpr6_vgpr7_vgpr8_vgpr9_vgpr10
                                        ; implicit-def: $vgpr85
                                        ; implicit-def: $vgpr11_vgpr12_vgpr13_vgpr14_vgpr15_vgpr16_vgpr17_vgpr18
                                        ; implicit-def: $vgpr3
	s_and_b32 vcc_lo, exec_lo, s1
	s_mov_b32 s1, -1
	s_cbranch_vccz .LBB180_25
; %bb.4:                                ;   in Loop: Header=BB180_3 Depth=1
	s_load_dword s1, s[18:19], 0xc
	v_mov_b32_e32 v57, 0
	s_waitcnt lgkmcnt(0)
	s_and_b32 s1, s1, 0xffff
	v_mad_u32_u24 v3, v1, s1, v0
	s_mov_b32 s1, exec_lo
	v_and_b32_e32 v3, 31, v3
	v_cmpx_gt_u32_e32 8, v3
	s_cbranch_execz .LBB180_8
; %bb.5:                                ;   in Loop: Header=BB180_3 Depth=1
	v_add_co_u32 v3, vcc_lo, v55, v3
	v_add_co_ci_u32_e64 v4, null, 0, v56, vcc_lo
	v_mov_b32_e32 v57, 0
	v_add_co_u32 v3, vcc_lo, 0xffffffc1, v3
	v_add_co_ci_u32_e64 v4, null, -1, v4, vcc_lo
	s_mov_b32 s28, exec_lo
	v_cmpx_gt_i64_e64 s[8:9], v[3:4]
	s_cbranch_execz .LBB180_7
; %bb.6:                                ;   in Loop: Header=BB180_3 Depth=1
	v_lshlrev_b64 v[3:4], 2, v[3:4]
	v_add_co_u32 v3, vcc_lo, s2, v3
	v_add_co_ci_u32_e64 v4, null, s3, v4, vcc_lo
	global_load_dword v57, v[3:4], off
.LBB180_7:                              ;   in Loop: Header=BB180_3 Depth=1
	s_or_b32 exec_lo, exec_lo, s28
.LBB180_8:                              ;   in Loop: Header=BB180_3 Depth=1
	s_or_b32 exec_lo, exec_lo, s1
	v_add_co_u32 v10, vcc_lo, 0xffffffc1, v55
	v_add_co_ci_u32_e64 v11, null, -1, v56, vcc_lo
	v_mov_b32_e32 v9, v2
	v_mov_b32_e32 v3, v2
	;; [unrolled: 1-line block ×7, first 2 shown]
	v_cmp_gt_i64_e32 vcc_lo, s[8:9], v[10:11]
	v_mov_b32_e32 v18, v9
	v_mov_b32_e32 v15, v6
	v_mov_b32_e32 v16, v7
	v_mov_b32_e32 v17, v8
	v_mov_b32_e32 v14, v5
	v_mov_b32_e32 v13, v4
	v_mov_b32_e32 v12, v3
	v_mov_b32_e32 v11, v2
	v_mov_b32_e32 v10, v9
	v_mov_b32_e32 v9, v8
	v_mov_b32_e32 v8, v7
	v_mov_b32_e32 v7, v6
	v_mov_b32_e32 v6, v5
	v_mov_b32_e32 v5, v4
	v_mov_b32_e32 v4, v3
	v_mov_b32_e32 v3, v2
	s_and_b32 s28, s0, vcc_lo
	s_and_saveexec_b32 s1, s28
	s_cbranch_execz .LBB180_10
; %bb.9:                                ;   in Loop: Header=BB180_3 Depth=1
	v_add_co_u32 v3, vcc_lo, v22, v19
	v_add_co_ci_u32_e64 v4, null, v23, v20, vcc_lo
	v_add_co_u32 v5, vcc_lo, v24, v19
	v_add_co_ci_u32_e64 v6, null, v25, v20, vcc_lo
	global_load_ushort v3, v[3:4], off
	global_load_ushort v11, v[5:6], off
	v_mov_b32_e32 v4, v2
	v_mov_b32_e32 v5, v2
	;; [unrolled: 1-line block ×14, first 2 shown]
	s_waitcnt vmcnt(1)
	v_cvt_f32_f16_e32 v3, v3
	s_waitcnt vmcnt(0)
	v_cvt_f32_f16_e32 v11, v11
.LBB180_10:                             ;   in Loop: Header=BB180_3 Depth=1
	s_or_b32 exec_lo, exec_lo, s1
	v_add_co_u32 v58, vcc_lo, 0xffffffc2, v55
	v_add_co_ci_u32_e64 v59, null, -1, v56, vcc_lo
	v_cmp_gt_i64_e32 vcc_lo, s[8:9], v[58:59]
	s_and_b32 s28, s0, vcc_lo
	s_and_saveexec_b32 s1, s28
	s_cbranch_execz .LBB180_12
; %bb.11:                               ;   in Loop: Header=BB180_3 Depth=1
	v_add_co_u32 v58, vcc_lo, v50, v19
	v_add_co_ci_u32_e64 v59, null, v51, v20, vcc_lo
	v_add_co_u32 v60, vcc_lo, v52, v19
	v_add_co_ci_u32_e64 v61, null, v53, v20, vcc_lo
	global_load_ushort v4, v[58:59], off
	global_load_ushort v12, v[60:61], off
	s_waitcnt vmcnt(1)
	v_cvt_f32_f16_e32 v4, v4
	s_waitcnt vmcnt(0)
	v_cvt_f32_f16_e32 v12, v12
.LBB180_12:                             ;   in Loop: Header=BB180_3 Depth=1
	s_or_b32 exec_lo, exec_lo, s1
	v_add_co_u32 v58, vcc_lo, 0xffffffc3, v55
	v_add_co_ci_u32_e64 v59, null, -1, v56, vcc_lo
	v_cmp_gt_i64_e32 vcc_lo, s[8:9], v[58:59]
	s_and_b32 s28, s0, vcc_lo
	s_and_saveexec_b32 s1, s28
	s_cbranch_execz .LBB180_14
; %bb.13:                               ;   in Loop: Header=BB180_3 Depth=1
	v_add_co_u32 v58, vcc_lo, v46, v19
	v_add_co_ci_u32_e64 v59, null, v47, v20, vcc_lo
	v_add_co_u32 v60, vcc_lo, v48, v19
	v_add_co_ci_u32_e64 v61, null, v49, v20, vcc_lo
	global_load_ushort v5, v[58:59], off
	global_load_ushort v13, v[60:61], off
	s_waitcnt vmcnt(1)
	v_cvt_f32_f16_e32 v5, v5
	s_waitcnt vmcnt(0)
	v_cvt_f32_f16_e32 v13, v13
.LBB180_14:                             ;   in Loop: Header=BB180_3 Depth=1
	;; [unrolled: 19-line block ×7, first 2 shown]
	s_or_b32 exec_lo, exec_lo, s1
	s_waitcnt vmcnt(0)
	ds_bpermute_b32 v58, v2, v57
	ds_bpermute_b32 v59, v2, v57 offset:4
	ds_bpermute_b32 v60, v2, v57 offset:8
	v_mul_f32_e32 v3, v11, v3
	ds_bpermute_b32 v11, v2, v57 offset:12
	v_mul_f32_e32 v4, v12, v4
	;; [unrolled: 2-line block ×3, first 2 shown]
	s_mov_b32 s1, 0
	s_waitcnt lgkmcnt(4)
	v_fma_f32 v85, v3, v58, v54
	v_mul_f32_e32 v3, v13, v5
	ds_bpermute_b32 v5, v2, v57 offset:20
	s_waitcnt lgkmcnt(4)
	v_fmac_f32_e32 v85, v4, v59
	v_mul_f32_e32 v4, v14, v6
	ds_bpermute_b32 v6, v2, v57 offset:24
	s_waitcnt lgkmcnt(4)
	v_fmac_f32_e32 v85, v3, v60
	ds_bpermute_b32 v3, v2, v57 offset:28
	s_waitcnt lgkmcnt(4)
	v_fmac_f32_e32 v85, v4, v11
	v_mul_f32_e32 v4, v16, v8
	s_waitcnt lgkmcnt(3)
	v_fmac_f32_e32 v85, v7, v12
	s_waitcnt lgkmcnt(2)
	v_fmac_f32_e32 v85, v4, v5
	v_mul_f32_e32 v4, v17, v9
	s_waitcnt lgkmcnt(1)
	v_fmac_f32_e32 v85, v4, v6
.LBB180_25:                             ;   in Loop: Header=BB180_3 Depth=1
	s_and_b32 vcc_lo, exec_lo, s1
	s_cbranch_vccz .LBB180_40
; %bb.26:                               ;   in Loop: Header=BB180_3 Depth=1
	s_load_dword s1, s[18:19], 0x0
	v_mov_b32_e32 v57, 0
	s_waitcnt lgkmcnt(0)
	s_cmp_lt_u32 s6, s1
	s_cselect_b32 s1, 12, 18
	s_add_u32 s28, s18, s1
	s_addc_u32 s29, s19, 0
	s_mov_b32 s1, exec_lo
	global_load_ushort v3, v2, s[28:29]
	s_waitcnt vmcnt(0)
	v_mad_u32_u24 v3, v1, v3, v0
	v_and_b32_e32 v3, 31, v3
	v_cmpx_gt_u32_e32 8, v3
	s_cbranch_execz .LBB180_30
; %bb.27:                               ;   in Loop: Header=BB180_3 Depth=1
	v_add_co_u32 v3, vcc_lo, v55, v3
	v_add_co_ci_u32_e64 v4, null, 0, v56, vcc_lo
	v_mov_b32_e32 v57, 0
	v_add_co_u32 v3, vcc_lo, 0xffffffc1, v3
	v_add_co_ci_u32_e64 v4, null, -1, v4, vcc_lo
	s_mov_b32 s28, exec_lo
	v_cmpx_gt_i64_e64 s[8:9], v[3:4]
	s_cbranch_execz .LBB180_29
; %bb.28:                               ;   in Loop: Header=BB180_3 Depth=1
	v_lshlrev_b64 v[3:4], 2, v[3:4]
	v_add_co_u32 v3, vcc_lo, s2, v3
	v_add_co_ci_u32_e64 v4, null, s3, v4, vcc_lo
	global_load_dword v57, v[3:4], off
.LBB180_29:                             ;   in Loop: Header=BB180_3 Depth=1
	s_or_b32 exec_lo, exec_lo, s28
.LBB180_30:                             ;   in Loop: Header=BB180_3 Depth=1
	s_or_b32 exec_lo, exec_lo, s1
	v_mov_b32_e32 v9, v2
	v_mov_b32_e32 v3, v2
	v_mov_b32_e32 v4, v2
	v_mov_b32_e32 v5, v2
	v_mov_b32_e32 v6, v2
	v_mov_b32_e32 v7, v2
	v_mov_b32_e32 v8, v2
	v_mov_b32_e32 v18, v9
	v_mov_b32_e32 v14, v5
	v_mov_b32_e32 v15, v6
	v_mov_b32_e32 v16, v7
	v_mov_b32_e32 v17, v8
	v_mov_b32_e32 v13, v4
	v_mov_b32_e32 v12, v3
	v_mov_b32_e32 v11, v2
	v_mov_b32_e32 v10, v9
	v_mov_b32_e32 v9, v8
	v_mov_b32_e32 v8, v7
	v_mov_b32_e32 v7, v6
	v_mov_b32_e32 v6, v5
	v_mov_b32_e32 v5, v4
	v_mov_b32_e32 v4, v3
	v_mov_b32_e32 v3, v2
	s_and_saveexec_b32 s1, s0
	s_cbranch_execnz .LBB180_42
; %bb.31:                               ;   in Loop: Header=BB180_3 Depth=1
	s_or_b32 exec_lo, exec_lo, s1
	s_and_saveexec_b32 s1, s0
	s_cbranch_execnz .LBB180_43
.LBB180_32:                             ;   in Loop: Header=BB180_3 Depth=1
	s_or_b32 exec_lo, exec_lo, s1
	s_and_saveexec_b32 s1, s0
	s_cbranch_execnz .LBB180_44
.LBB180_33:                             ;   in Loop: Header=BB180_3 Depth=1
	s_or_b32 exec_lo, exec_lo, s1
	s_and_saveexec_b32 s1, s0
	s_cbranch_execnz .LBB180_45
.LBB180_34:                             ;   in Loop: Header=BB180_3 Depth=1
	s_or_b32 exec_lo, exec_lo, s1
	s_and_saveexec_b32 s1, s0
	s_cbranch_execnz .LBB180_46
.LBB180_35:                             ;   in Loop: Header=BB180_3 Depth=1
	s_or_b32 exec_lo, exec_lo, s1
	s_and_saveexec_b32 s1, s0
	s_cbranch_execnz .LBB180_47
.LBB180_36:                             ;   in Loop: Header=BB180_3 Depth=1
	s_or_b32 exec_lo, exec_lo, s1
	s_and_saveexec_b32 s1, s0
	s_cbranch_execnz .LBB180_48
.LBB180_37:                             ;   in Loop: Header=BB180_3 Depth=1
	s_or_b32 exec_lo, exec_lo, s1
	s_and_saveexec_b32 s1, s0
	s_cbranch_execz .LBB180_39
.LBB180_38:                             ;   in Loop: Header=BB180_3 Depth=1
	v_add_co_u32 v55, vcc_lo, v26, v19
	v_add_co_ci_u32_e64 v56, null, v27, v20, vcc_lo
	v_add_co_u32 v58, vcc_lo, v28, v19
	v_add_co_ci_u32_e64 v59, null, v29, v20, vcc_lo
	global_load_ushort v10, v[55:56], off
	global_load_ushort v18, v[58:59], off
	s_waitcnt vmcnt(1)
	v_cvt_f32_f16_e32 v10, v10
	s_waitcnt vmcnt(0)
	v_cvt_f32_f16_e32 v18, v18
.LBB180_39:                             ;   in Loop: Header=BB180_3 Depth=1
	s_or_b32 exec_lo, exec_lo, s1
	s_waitcnt vmcnt(0)
	ds_bpermute_b32 v55, v2, v57
	ds_bpermute_b32 v56, v2, v57 offset:4
	ds_bpermute_b32 v58, v2, v57 offset:8
	v_mul_f32_e32 v3, v11, v3
	ds_bpermute_b32 v11, v2, v57 offset:12
	v_mul_f32_e32 v4, v12, v4
	ds_bpermute_b32 v12, v2, v57 offset:16
	s_waitcnt lgkmcnt(4)
	v_fmac_f32_e32 v54, v3, v55
	v_mul_f32_e32 v3, v13, v5
	ds_bpermute_b32 v5, v2, v57 offset:20
	s_waitcnt lgkmcnt(4)
	v_fmac_f32_e32 v54, v4, v56
	;; [unrolled: 4-line block ×3, first 2 shown]
	v_mul_f32_e32 v3, v15, v7
	s_waitcnt lgkmcnt(3)
	v_fmac_f32_e32 v54, v4, v11
	v_mul_f32_e32 v4, v16, v8
	s_waitcnt lgkmcnt(2)
	v_fmac_f32_e32 v54, v3, v12
	ds_bpermute_b32 v3, v2, v57 offset:28
	s_waitcnt lgkmcnt(2)
	v_fmac_f32_e32 v54, v4, v5
	v_mul_f32_e32 v4, v17, v9
	s_waitcnt lgkmcnt(1)
	v_fmac_f32_e32 v54, v4, v6
	v_mov_b32_e32 v85, v54
.LBB180_40:                             ;   in Loop: Header=BB180_3 Depth=1
	v_add_co_u32 v22, vcc_lo, v22, s20
	v_add_co_ci_u32_e64 v23, null, s21, v23, vcc_lo
	v_add_co_u32 v24, vcc_lo, v24, s20
	v_add_co_ci_u32_e64 v25, null, s21, v25, vcc_lo
	;; [unrolled: 2-line block ×12, first 2 shown]
	v_add_co_u32 v46, vcc_lo, v46, s20
	s_add_u32 s24, s24, s27
	v_add_co_ci_u32_e64 v47, null, s21, v47, vcc_lo
	v_add_co_u32 v48, vcc_lo, v48, s20
	v_mul_f32_e32 v4, v10, v18
	s_addc_u32 s25, s25, 0
	v_add_co_ci_u32_e64 v49, null, s21, v49, vcc_lo
	v_add_co_u32 v50, vcc_lo, v50, s20
	v_cmp_lt_i64_e64 s1, s[24:25], s[8:9]
	v_add_co_ci_u32_e64 v51, null, s21, v51, vcc_lo
	v_add_co_u32 v52, vcc_lo, v52, s20
	s_waitcnt lgkmcnt(0)
	v_fmac_f32_e32 v85, v4, v3
	v_add_co_ci_u32_e64 v53, null, s21, v53, vcc_lo
	s_add_u32 s22, s22, s27
	s_addc_u32 s23, s23, 0
	s_and_b32 vcc_lo, exec_lo, s1
	s_cbranch_vccz .LBB180_50
; %bb.41:                               ;   in Loop: Header=BB180_3 Depth=1
	v_mov_b32_e32 v54, v85
	s_branch .LBB180_3
.LBB180_42:                             ;   in Loop: Header=BB180_3 Depth=1
	v_add_co_u32 v3, vcc_lo, v22, v19
	v_add_co_ci_u32_e64 v4, null, v23, v20, vcc_lo
	v_add_co_u32 v5, vcc_lo, v24, v19
	v_add_co_ci_u32_e64 v6, null, v25, v20, vcc_lo
	global_load_ushort v3, v[3:4], off
	global_load_ushort v11, v[5:6], off
	v_mov_b32_e32 v4, v2
	v_mov_b32_e32 v5, v2
	;; [unrolled: 1-line block ×14, first 2 shown]
	s_waitcnt vmcnt(1)
	v_cvt_f32_f16_e32 v3, v3
	s_waitcnt vmcnt(0)
	v_cvt_f32_f16_e32 v11, v11
	s_or_b32 exec_lo, exec_lo, s1
	s_and_saveexec_b32 s1, s0
	s_cbranch_execz .LBB180_32
.LBB180_43:                             ;   in Loop: Header=BB180_3 Depth=1
	v_add_co_u32 v55, vcc_lo, v50, v19
	v_add_co_ci_u32_e64 v56, null, v51, v20, vcc_lo
	v_add_co_u32 v58, vcc_lo, v52, v19
	v_add_co_ci_u32_e64 v59, null, v53, v20, vcc_lo
	global_load_ushort v4, v[55:56], off
	global_load_ushort v12, v[58:59], off
	s_waitcnt vmcnt(1)
	v_cvt_f32_f16_e32 v4, v4
	s_waitcnt vmcnt(0)
	v_cvt_f32_f16_e32 v12, v12
	s_or_b32 exec_lo, exec_lo, s1
	s_and_saveexec_b32 s1, s0
	s_cbranch_execz .LBB180_33
.LBB180_44:                             ;   in Loop: Header=BB180_3 Depth=1
	v_add_co_u32 v55, vcc_lo, v46, v19
	v_add_co_ci_u32_e64 v56, null, v47, v20, vcc_lo
	v_add_co_u32 v58, vcc_lo, v48, v19
	v_add_co_ci_u32_e64 v59, null, v49, v20, vcc_lo
	global_load_ushort v5, v[55:56], off
	global_load_ushort v13, v[58:59], off
	s_waitcnt vmcnt(1)
	v_cvt_f32_f16_e32 v5, v5
	s_waitcnt vmcnt(0)
	v_cvt_f32_f16_e32 v13, v13
	s_or_b32 exec_lo, exec_lo, s1
	s_and_saveexec_b32 s1, s0
	s_cbranch_execz .LBB180_34
.LBB180_45:                             ;   in Loop: Header=BB180_3 Depth=1
	v_add_co_u32 v55, vcc_lo, v42, v19
	v_add_co_ci_u32_e64 v56, null, v43, v20, vcc_lo
	v_add_co_u32 v58, vcc_lo, v44, v19
	v_add_co_ci_u32_e64 v59, null, v45, v20, vcc_lo
	global_load_ushort v6, v[55:56], off
	global_load_ushort v14, v[58:59], off
	s_waitcnt vmcnt(1)
	v_cvt_f32_f16_e32 v6, v6
	s_waitcnt vmcnt(0)
	v_cvt_f32_f16_e32 v14, v14
	s_or_b32 exec_lo, exec_lo, s1
	s_and_saveexec_b32 s1, s0
	s_cbranch_execz .LBB180_35
.LBB180_46:                             ;   in Loop: Header=BB180_3 Depth=1
	v_add_co_u32 v55, vcc_lo, v38, v19
	v_add_co_ci_u32_e64 v56, null, v39, v20, vcc_lo
	v_add_co_u32 v58, vcc_lo, v40, v19
	v_add_co_ci_u32_e64 v59, null, v41, v20, vcc_lo
	global_load_ushort v7, v[55:56], off
	global_load_ushort v15, v[58:59], off
	s_waitcnt vmcnt(1)
	v_cvt_f32_f16_e32 v7, v7
	s_waitcnt vmcnt(0)
	v_cvt_f32_f16_e32 v15, v15
	s_or_b32 exec_lo, exec_lo, s1
	s_and_saveexec_b32 s1, s0
	s_cbranch_execz .LBB180_36
.LBB180_47:                             ;   in Loop: Header=BB180_3 Depth=1
	v_add_co_u32 v55, vcc_lo, v34, v19
	v_add_co_ci_u32_e64 v56, null, v35, v20, vcc_lo
	v_add_co_u32 v58, vcc_lo, v36, v19
	v_add_co_ci_u32_e64 v59, null, v37, v20, vcc_lo
	global_load_ushort v8, v[55:56], off
	global_load_ushort v16, v[58:59], off
	s_waitcnt vmcnt(1)
	v_cvt_f32_f16_e32 v8, v8
	s_waitcnt vmcnt(0)
	v_cvt_f32_f16_e32 v16, v16
	s_or_b32 exec_lo, exec_lo, s1
	s_and_saveexec_b32 s1, s0
	s_cbranch_execz .LBB180_37
.LBB180_48:                             ;   in Loop: Header=BB180_3 Depth=1
	v_add_co_u32 v55, vcc_lo, v30, v19
	v_add_co_ci_u32_e64 v56, null, v31, v20, vcc_lo
	v_add_co_u32 v58, vcc_lo, v32, v19
	v_add_co_ci_u32_e64 v59, null, v33, v20, vcc_lo
	global_load_ushort v9, v[55:56], off
	global_load_ushort v17, v[58:59], off
	s_waitcnt vmcnt(1)
	v_cvt_f32_f16_e32 v9, v9
	s_waitcnt vmcnt(0)
	v_cvt_f32_f16_e32 v17, v17
	s_or_b32 exec_lo, exec_lo, s1
	s_and_saveexec_b32 s1, s0
	s_cbranch_execnz .LBB180_38
	s_branch .LBB180_39
.LBB180_49:
                                        ; implicit-def: $vgpr85
	s_branch .LBB180_51
.LBB180_50:
	s_cbranch_execnz .LBB180_83
.LBB180_51:
	v_mov_b32_e32 v85, 0
	s_andn2_b32 vcc_lo, exec_lo, s7
	s_cbranch_vccnz .LBB180_83
; %bb.52:
	s_load_dword s7, s[4:5], 0x44
	v_lshlrev_b32_e32 v49, 3, v1
	v_lshlrev_b32_e32 v6, 4, v1
	v_mov_b32_e32 v82, 0
	v_add_co_u32 v10, s0, v49, s16
	v_add_co_ci_u32_e64 v11, null, 0, 0, s0
	s_add_u32 s0, s4, 64
	v_mul_lo_u32 v4, s11, v10
	v_mad_u64_u32 v[2:3], null, s10, v10, 0
	v_mul_lo_u32 v5, s10, v11
	s_addc_u32 s1, s5, 0
	s_waitcnt lgkmcnt(0)
	s_lshl_b32 s7, s7, 6
	v_add3_u32 v3, v3, v5, v4
	s_mul_i32 s19, s11, s7
	s_mul_hi_u32 s20, s10, s7
	s_mul_i32 s18, s10, s7
	s_add_i32 s19, s20, s19
	v_lshlrev_b64 v[4:5], 1, v[2:3]
	s_lshl_b64 s[18:19], s[18:19], 1
	s_add_u32 s20, s16, 63
	s_addc_u32 s21, 0, 0
	s_lshl_b64 s[22:23], s[16:17], 1
	v_add_co_u32 v6, s22, v6, s22
	v_add_co_ci_u32_e64 v7, null, 0, s23, s22
	v_add_co_u32 v8, vcc_lo, v6, 2
	v_add_co_ci_u32_e64 v9, null, 0, v7, vcc_lo
	v_add_co_u32 v50, vcc_lo, s12, v4
	v_add_co_ci_u32_e64 v51, null, s13, v5, vcc_lo
	;; [unrolled: 2-line block ×6, first 2 shown]
	v_add_co_u32 v41, vcc_lo, v6, 10
	v_mad_u64_u32 v[21:22], null, s10, v4, s[12:13]
	v_mul_lo_u32 v5, s10, v5
	v_mul_lo_u32 v15, s11, v4
	v_mad_u64_u32 v[35:36], null, s10, v4, s[14:15]
	v_add_co_ci_u32_e64 v29, null, 0, v7, vcc_lo
	v_add_co_u32 v43, vcc_lo, v6, 12
	v_add_co_ci_u32_e64 v31, null, 0, v7, vcc_lo
	v_add_co_u32 v6, vcc_lo, v6, 14
	v_mad_u64_u32 v[19:20], null, s10, v8, s[12:13]
	v_mul_lo_u32 v9, s10, v9
	v_mul_lo_u32 v12, s11, v8
	v_mad_u64_u32 v[33:34], null, s10, v8, s[14:15]
	v_add_co_ci_u32_e64 v7, null, 0, v7, vcc_lo
	v_add_co_u32 v4, vcc_lo, v10, 7
	v_add3_u32 v22, v15, v22, v5
	v_add3_u32 v36, v15, v36, v5
	v_add_co_ci_u32_e64 v5, null, 0, v11, vcc_lo
	v_mul_lo_u32 v57, s10, v7
	v_add_co_u32 v7, vcc_lo, v10, 6
	v_add3_u32 v20, v12, v20, v9
	v_add3_u32 v34, v12, v34, v9
	v_add_co_ci_u32_e64 v12, null, 0, v11, vcc_lo
	v_mul_lo_u32 v8, s11, v4
	v_mul_lo_u32 v9, s10, v5
	v_mad_u64_u32 v[4:5], null, s10, v4, 0
	v_mad_u64_u32 v[23:24], null, s10, v13, s[12:13]
	v_mul_lo_u32 v17, s11, v13
	v_mul_lo_u32 v55, s10, v31
	v_mad_u64_u32 v[31:32], null, s10, v6, s[12:13]
	v_mul_lo_u32 v58, s11, v6
	v_mad_u64_u32 v[37:38], null, s10, v13, s[14:15]
	v_mad_u64_u32 v[45:46], null, s10, v6, s[14:15]
	v_mul_lo_u32 v13, s11, v7
	v_mul_lo_u32 v12, s10, v12
	v_mad_u64_u32 v[6:7], null, s10, v7, 0
	v_add3_u32 v5, v5, v9, v8
	v_add_co_u32 v8, vcc_lo, v10, 5
	v_mad_u64_u32 v[27:28], null, s10, v41, s[12:13]
	v_mul_lo_u32 v48, s10, v29
	v_mul_lo_u32 v54, s11, v41
	v_mad_u64_u32 v[41:42], null, s10, v41, s[14:15]
	v_add3_u32 v7, v7, v12, v13
	v_add_co_ci_u32_e64 v9, null, 0, v11, vcc_lo
	v_mad_u64_u32 v[29:30], null, s10, v43, s[12:13]
	v_mul_lo_u32 v56, s11, v43
	v_mad_u64_u32 v[43:44], null, s10, v43, s[14:15]
	v_lshlrev_b64 v[4:5], 1, v[4:5]
	v_lshlrev_b64 v[6:7], 1, v[6:7]
	v_mul_lo_u32 v12, s11, v8
	v_mul_lo_u32 v13, s10, v9
	v_mad_u64_u32 v[8:9], null, s10, v8, 0
	v_add3_u32 v28, v54, v28, v48
	v_add3_u32 v42, v54, v42, v48
	v_add_co_u32 v54, vcc_lo, s12, v4
	v_add3_u32 v30, v56, v30, v55
	v_add3_u32 v44, v56, v44, v55
	v_add_co_ci_u32_e64 v55, null, s13, v5, vcc_lo
	v_add_co_u32 v56, vcc_lo, s14, v4
	v_add3_u32 v32, v58, v32, v57
	v_add3_u32 v46, v58, v46, v57
	v_add_co_ci_u32_e64 v57, null, s15, v5, vcc_lo
	v_add_co_u32 v58, vcc_lo, s12, v6
	v_add_co_ci_u32_e64 v59, null, s13, v7, vcc_lo
	v_add3_u32 v9, v9, v13, v12
	v_add_co_u32 v12, vcc_lo, v10, 4
	v_add_co_ci_u32_e64 v13, null, 0, v11, vcc_lo
	v_add_co_u32 v60, vcc_lo, s14, v6
	v_add_co_ci_u32_e64 v61, null, s15, v7, vcc_lo
	v_lshlrev_b64 v[4:5], 1, v[8:9]
	v_mul_lo_u32 v8, s11, v12
	v_mul_lo_u32 v9, s10, v13
	v_mad_u64_u32 v[6:7], null, s10, v12, 0
	v_mul_lo_u32 v14, s10, v14
	v_add_co_u32 v12, vcc_lo, v10, 3
	v_add_co_ci_u32_e64 v13, null, 0, v11, vcc_lo
	v_add_co_u32 v62, vcc_lo, s12, v4
	v_add_co_ci_u32_e64 v63, null, s13, v5, vcc_lo
	v_add3_u32 v7, v7, v9, v8
	v_add_co_u32 v10, vcc_lo, v10, 2
	v_add3_u32 v24, v17, v24, v14
	v_add3_u32 v38, v17, v38, v14
	v_mul_lo_u32 v14, s11, v12
	v_mul_lo_u32 v13, s10, v13
	v_mad_u64_u32 v[8:9], null, s10, v12, 0
	v_add_co_ci_u32_e64 v11, null, 0, v11, vcc_lo
	v_add_co_u32 v64, vcc_lo, s14, v4
	v_add_co_ci_u32_e64 v65, null, s15, v5, vcc_lo
	v_lshlrev_b64 v[4:5], 1, v[6:7]
	v_mul_lo_u32 v12, s11, v10
	v_mul_lo_u32 v11, s10, v11
	v_mad_u64_u32 v[6:7], null, s10, v10, 0
	v_add3_u32 v9, v9, v13, v14
	v_add_co_u32 v66, vcc_lo, s12, v4
	v_add_co_ci_u32_e64 v67, null, s13, v5, vcc_lo
	v_add_co_u32 v68, vcc_lo, s14, v4
	v_add_co_ci_u32_e64 v69, null, s15, v5, vcc_lo
	v_lshlrev_b64 v[4:5], 1, v[8:9]
	v_add3_u32 v7, v7, v11, v12
	v_add_co_u32 v2, vcc_lo, v2, s10
	v_add_co_ci_u32_e64 v3, null, s11, v3, vcc_lo
	v_lshlrev_b64 v[6:7], 1, v[6:7]
	v_add_co_u32 v70, vcc_lo, s12, v4
	v_add_co_ci_u32_e64 v71, null, s13, v5, vcc_lo
	v_add_co_u32 v72, vcc_lo, s14, v4
	v_lshlrev_b64 v[3:4], 1, v[2:3]
	v_mov_b32_e32 v2, 0
	v_mad_u64_u32 v[25:26], null, s10, v16, s[12:13]
	v_mul_lo_u32 v18, s10, v18
	v_mul_lo_u32 v47, s11, v16
	v_mad_u64_u32 v[39:40], null, s10, v16, s[14:15]
	v_add_co_ci_u32_e64 v73, null, s15, v5, vcc_lo
	v_add_co_u32 v74, vcc_lo, s12, v6
	v_add_co_ci_u32_e64 v75, null, s13, v7, vcc_lo
	v_add_co_u32 v76, vcc_lo, s14, v6
	v_add_nc_u32_e32 v5, s26, v0
	v_mov_b32_e32 v6, v2
	v_add_co_ci_u32_e64 v77, null, s15, v7, vcc_lo
	v_add_co_u32 v78, vcc_lo, s12, v3
	v_add_co_ci_u32_e64 v79, null, s13, v4, vcc_lo
	v_add_co_u32 v80, vcc_lo, s14, v3
	v_add3_u32 v26, v47, v26, v18
	v_add3_u32 v40, v47, v40, v18
	v_lshlrev_b64 v[47:48], 1, v[5:6]
	v_add_co_ci_u32_e64 v81, null, s15, v4, vcc_lo
.LBB180_53:                             ; =>This Inner Loop Header: Depth=1
	v_cmp_ge_i64_e64 s12, s[20:21], s[8:9]
	v_add_co_u32 v83, s13, v49, s20
	v_add_co_ci_u32_e64 v84, null, 0, s21, s13
                                        ; implicit-def: $vgpr85
	s_and_b32 vcc_lo, exec_lo, s12
	s_mov_b32 s12, -1
	s_cbranch_vccz .LBB180_75
; %bb.54:                               ;   in Loop: Header=BB180_53 Depth=1
	s_load_dword s12, s[0:1], 0xc
	v_mov_b32_e32 v86, 0
	s_waitcnt lgkmcnt(0)
	s_and_b32 s12, s12, 0xffff
	v_mad_u32_u24 v3, v1, s12, v0
	s_mov_b32 s12, exec_lo
	v_and_b32_e32 v3, 31, v3
	v_cmpx_gt_u32_e32 8, v3
	s_cbranch_execz .LBB180_58
; %bb.55:                               ;   in Loop: Header=BB180_53 Depth=1
	v_add_co_u32 v3, vcc_lo, v83, v3
	v_add_co_ci_u32_e64 v4, null, 0, v84, vcc_lo
	v_mov_b32_e32 v86, 0
	v_add_co_u32 v3, vcc_lo, 0xffffffc1, v3
	v_add_co_ci_u32_e64 v4, null, -1, v4, vcc_lo
	s_mov_b32 s13, exec_lo
	v_cmpx_gt_i64_e64 s[8:9], v[3:4]
	s_cbranch_execz .LBB180_57
; %bb.56:                               ;   in Loop: Header=BB180_53 Depth=1
	v_lshlrev_b64 v[3:4], 2, v[3:4]
	v_add_co_u32 v3, vcc_lo, s2, v3
	v_add_co_ci_u32_e64 v4, null, s3, v4, vcc_lo
	global_load_dword v86, v[3:4], off
.LBB180_57:                             ;   in Loop: Header=BB180_53 Depth=1
	s_or_b32 exec_lo, exec_lo, s13
.LBB180_58:                             ;   in Loop: Header=BB180_53 Depth=1
	s_or_b32 exec_lo, exec_lo, s12
	v_add_co_u32 v10, vcc_lo, 0xffffffc1, v83
	v_add_co_ci_u32_e64 v11, null, -1, v84, vcc_lo
	v_mov_b32_e32 v9, v2
	v_mov_b32_e32 v3, v2
	;; [unrolled: 1-line block ×7, first 2 shown]
	v_cmp_gt_i64_e32 vcc_lo, s[8:9], v[10:11]
	v_mov_b32_e32 v18, v9
	v_mov_b32_e32 v15, v6
	;; [unrolled: 1-line block ×16, first 2 shown]
	s_and_saveexec_b32 s12, vcc_lo
	s_cbranch_execz .LBB180_60
; %bb.59:                               ;   in Loop: Header=BB180_53 Depth=1
	v_add_co_u32 v3, vcc_lo, v50, v47
	v_add_co_ci_u32_e64 v4, null, v51, v48, vcc_lo
	v_add_co_u32 v5, vcc_lo, v52, v47
	v_add_co_ci_u32_e64 v6, null, v53, v48, vcc_lo
	global_load_ushort v3, v[3:4], off
	global_load_ushort v11, v[5:6], off
	v_mov_b32_e32 v4, v2
	v_mov_b32_e32 v5, v2
	;; [unrolled: 1-line block ×14, first 2 shown]
	s_waitcnt vmcnt(1)
	v_cvt_f32_f16_e32 v3, v3
	s_waitcnt vmcnt(0)
	v_cvt_f32_f16_e32 v11, v11
.LBB180_60:                             ;   in Loop: Header=BB180_53 Depth=1
	s_or_b32 exec_lo, exec_lo, s12
	v_add_co_u32 v87, vcc_lo, 0xffffffc2, v83
	v_add_co_ci_u32_e64 v88, null, -1, v84, vcc_lo
	s_mov_b32 s12, exec_lo
	v_cmpx_gt_i64_e64 s[8:9], v[87:88]
	s_cbranch_execz .LBB180_62
; %bb.61:                               ;   in Loop: Header=BB180_53 Depth=1
	v_add_co_u32 v87, vcc_lo, v78, v47
	v_add_co_ci_u32_e64 v88, null, v79, v48, vcc_lo
	v_add_co_u32 v89, vcc_lo, v80, v47
	v_add_co_ci_u32_e64 v90, null, v81, v48, vcc_lo
	global_load_ushort v4, v[87:88], off
	global_load_ushort v12, v[89:90], off
	s_waitcnt vmcnt(1)
	v_cvt_f32_f16_e32 v4, v4
	s_waitcnt vmcnt(0)
	v_cvt_f32_f16_e32 v12, v12
.LBB180_62:                             ;   in Loop: Header=BB180_53 Depth=1
	s_or_b32 exec_lo, exec_lo, s12
	v_add_co_u32 v87, vcc_lo, 0xffffffc3, v83
	v_add_co_ci_u32_e64 v88, null, -1, v84, vcc_lo
	s_mov_b32 s12, exec_lo
	v_cmpx_gt_i64_e64 s[8:9], v[87:88]
	s_cbranch_execz .LBB180_64
; %bb.63:                               ;   in Loop: Header=BB180_53 Depth=1
	v_add_co_u32 v87, vcc_lo, v74, v47
	v_add_co_ci_u32_e64 v88, null, v75, v48, vcc_lo
	v_add_co_u32 v89, vcc_lo, v76, v47
	v_add_co_ci_u32_e64 v90, null, v77, v48, vcc_lo
	global_load_ushort v5, v[87:88], off
	global_load_ushort v13, v[89:90], off
	s_waitcnt vmcnt(1)
	v_cvt_f32_f16_e32 v5, v5
	s_waitcnt vmcnt(0)
	v_cvt_f32_f16_e32 v13, v13
.LBB180_64:                             ;   in Loop: Header=BB180_53 Depth=1
	;; [unrolled: 18-line block ×7, first 2 shown]
	s_or_b32 exec_lo, exec_lo, s12
	s_waitcnt vmcnt(0)
	ds_bpermute_b32 v85, v2, v86
	ds_bpermute_b32 v87, v2, v86 offset:4
	ds_bpermute_b32 v88, v2, v86 offset:8
	v_mul_f32_e32 v3, v11, v3
	ds_bpermute_b32 v11, v2, v86 offset:12
	v_mul_f32_e32 v4, v12, v4
	ds_bpermute_b32 v12, v2, v86 offset:16
	s_mov_b32 s12, 0
	s_waitcnt lgkmcnt(4)
	v_fma_f32 v85, v3, v85, v82
	v_mul_f32_e32 v3, v13, v5
	ds_bpermute_b32 v5, v2, v86 offset:20
	s_waitcnt lgkmcnt(4)
	v_fmac_f32_e32 v85, v4, v87
	v_mul_f32_e32 v4, v14, v6
	ds_bpermute_b32 v6, v2, v86 offset:24
	s_waitcnt lgkmcnt(4)
	v_fmac_f32_e32 v85, v3, v88
	v_mul_f32_e32 v3, v15, v7
	v_mul_f32_e32 v7, v16, v8
	s_waitcnt lgkmcnt(3)
	v_fmac_f32_e32 v85, v4, v11
	ds_bpermute_b32 v4, v2, v86 offset:28
	s_waitcnt lgkmcnt(3)
	v_fmac_f32_e32 v85, v3, v12
	v_mul_f32_e32 v3, v17, v9
	s_waitcnt lgkmcnt(2)
	v_fmac_f32_e32 v85, v7, v5
	s_waitcnt lgkmcnt(1)
	v_fmac_f32_e32 v85, v3, v6
	v_mul_f32_e32 v3, v18, v10
	s_waitcnt lgkmcnt(0)
	v_fmac_f32_e32 v85, v3, v4
.LBB180_75:                             ;   in Loop: Header=BB180_53 Depth=1
	s_and_b32 vcc_lo, exec_lo, s12
	s_cbranch_vccz .LBB180_81
; %bb.76:                               ;   in Loop: Header=BB180_53 Depth=1
	s_load_dword s12, s[0:1], 0x0
	v_mov_b32_e32 v5, 0
	s_waitcnt lgkmcnt(0)
	s_cmp_lt_u32 s6, s12
	s_cselect_b32 s12, 12, 18
	s_add_u32 s12, s0, s12
	s_addc_u32 s13, s1, 0
	global_load_ushort v3, v2, s[12:13]
	s_mov_b32 s12, exec_lo
	s_waitcnt vmcnt(0)
	v_mad_u32_u24 v3, v1, v3, v0
	v_and_b32_e32 v3, 31, v3
	v_cmpx_gt_u32_e32 8, v3
	s_cbranch_execz .LBB180_80
; %bb.77:                               ;   in Loop: Header=BB180_53 Depth=1
	v_add_co_u32 v3, vcc_lo, v83, v3
	v_add_co_ci_u32_e64 v4, null, 0, v84, vcc_lo
	v_mov_b32_e32 v5, 0
	v_add_co_u32 v3, vcc_lo, 0xffffffc1, v3
	v_add_co_ci_u32_e64 v4, null, -1, v4, vcc_lo
	s_mov_b32 s13, exec_lo
	v_cmpx_gt_i64_e64 s[8:9], v[3:4]
	s_cbranch_execz .LBB180_79
; %bb.78:                               ;   in Loop: Header=BB180_53 Depth=1
	v_lshlrev_b64 v[3:4], 2, v[3:4]
	v_add_co_u32 v3, vcc_lo, s2, v3
	v_add_co_ci_u32_e64 v4, null, s3, v4, vcc_lo
	global_load_dword v5, v[3:4], off
.LBB180_79:                             ;   in Loop: Header=BB180_53 Depth=1
	s_or_b32 exec_lo, exec_lo, s13
.LBB180_80:                             ;   in Loop: Header=BB180_53 Depth=1
	s_or_b32 exec_lo, exec_lo, s12
	v_add_co_u32 v3, vcc_lo, v50, v47
	v_add_co_ci_u32_e64 v4, null, v51, v48, vcc_lo
	v_add_co_u32 v6, vcc_lo, v52, v47
	v_add_co_ci_u32_e64 v7, null, v53, v48, vcc_lo
	;; [unrolled: 2-line block ×5, first 2 shown]
	global_load_ushort v14, v[3:4], off
	global_load_ushort v15, v[6:7], off
	global_load_ushort v16, v[8:9], off
	global_load_ushort v17, v[10:11], off
	global_load_ushort v18, v[12:13], off
	v_add_co_u32 v3, vcc_lo, v35, v47
	v_add_co_ci_u32_e64 v4, null, v36, v48, vcc_lo
	v_add_co_u32 v6, vcc_lo, v23, v47
	v_add_co_ci_u32_e64 v7, null, v24, v48, vcc_lo
	;; [unrolled: 2-line block ×5, first 2 shown]
	global_load_ushort v83, v[3:4], off
	global_load_ushort v84, v[6:7], off
	;; [unrolled: 1-line block ×5, first 2 shown]
	v_add_co_u32 v3, vcc_lo, v27, v47
	v_add_co_ci_u32_e64 v4, null, v28, v48, vcc_lo
	v_add_co_u32 v6, vcc_lo, v41, v47
	v_add_co_ci_u32_e64 v7, null, v42, v48, vcc_lo
	;; [unrolled: 2-line block ×4, first 2 shown]
	global_load_ushort v13, v[3:4], off
	global_load_ushort v87, v[6:7], off
	;; [unrolled: 1-line block ×4, first 2 shown]
	v_add_co_u32 v3, vcc_lo, v31, v47
	v_add_co_ci_u32_e64 v4, null, v32, v48, vcc_lo
	v_add_co_u32 v6, vcc_lo, v45, v47
	v_add_co_ci_u32_e64 v7, null, v46, v48, vcc_lo
	global_load_ushort v3, v[3:4], off
	global_load_ushort v4, v[6:7], off
	s_waitcnt vmcnt(16)
	ds_bpermute_b32 v6, v2, v5
	ds_bpermute_b32 v7, v2, v5 offset:4
	ds_bpermute_b32 v10, v2, v5 offset:8
	s_waitcnt vmcnt(15)
	v_cvt_f32_f16_e32 v11, v14
	s_waitcnt vmcnt(14)
	v_cvt_f32_f16_e32 v14, v15
	ds_bpermute_b32 v15, v2, v5 offset:12
	s_waitcnt vmcnt(13)
	v_cvt_f32_f16_e32 v16, v16
	s_waitcnt vmcnt(12)
	v_cvt_f32_f16_e32 v17, v17
	;; [unrolled: 2-line block ×3, first 2 shown]
	v_mul_f32_e32 v11, v11, v14
	ds_bpermute_b32 v14, v2, v5 offset:16
	v_mul_f32_e32 v16, v16, v17
	s_waitcnt lgkmcnt(4)
	v_fmac_f32_e32 v82, v11, v6
	ds_bpermute_b32 v6, v2, v5 offset:20
	s_waitcnt lgkmcnt(4)
	v_fmac_f32_e32 v82, v16, v7
	ds_bpermute_b32 v7, v2, v5 offset:24
	ds_bpermute_b32 v5, v2, v5 offset:28
	s_waitcnt vmcnt(10)
	v_cvt_f32_f16_e32 v83, v83
	s_waitcnt vmcnt(9)
	v_cvt_f32_f16_e32 v11, v84
	;; [unrolled: 2-line block ×5, first 2 shown]
	v_mul_f32_e32 v18, v18, v83
	v_mul_f32_e32 v11, v11, v17
	;; [unrolled: 1-line block ×3, first 2 shown]
	s_waitcnt lgkmcnt(5)
	v_fmac_f32_e32 v82, v18, v10
	s_waitcnt lgkmcnt(4)
	v_fmac_f32_e32 v82, v11, v15
	s_waitcnt vmcnt(5)
	v_cvt_f32_f16_e32 v10, v13
	s_waitcnt vmcnt(4)
	v_cvt_f32_f16_e32 v13, v87
	;; [unrolled: 2-line block ×4, first 2 shown]
	s_waitcnt lgkmcnt(3)
	v_fmac_f32_e32 v82, v12, v14
	v_mul_f32_e32 v10, v10, v13
	v_mul_f32_e32 v8, v8, v9
	s_waitcnt lgkmcnt(2)
	v_fmac_f32_e32 v82, v10, v6
	s_waitcnt vmcnt(1)
	v_cvt_f32_f16_e32 v3, v3
	s_waitcnt vmcnt(0)
	v_cvt_f32_f16_e32 v4, v4
	s_waitcnt lgkmcnt(1)
	v_fmac_f32_e32 v82, v8, v7
	v_mul_f32_e32 v3, v3, v4
	s_waitcnt lgkmcnt(0)
	v_fmac_f32_e32 v82, v3, v5
	v_mov_b32_e32 v85, v82
.LBB180_81:                             ;   in Loop: Header=BB180_53 Depth=1
	v_add_co_u32 v50, vcc_lo, v50, s18
	v_add_co_ci_u32_e64 v51, null, s19, v51, vcc_lo
	v_add_co_u32 v52, vcc_lo, v52, s18
	v_add_co_ci_u32_e64 v53, null, s19, v53, vcc_lo
	;; [unrolled: 2-line block ×26, first 2 shown]
	v_add_co_u32 v74, vcc_lo, v74, s18
	s_add_u32 s16, s16, s7
	v_add_co_ci_u32_e64 v75, null, s19, v75, vcc_lo
	v_add_co_u32 v76, vcc_lo, v76, s18
	s_addc_u32 s17, s17, 0
	v_add_co_ci_u32_e64 v77, null, s19, v77, vcc_lo
	v_add_co_u32 v78, vcc_lo, v78, s18
	v_cmp_ge_i64_e64 s12, s[16:17], s[8:9]
	v_add_co_ci_u32_e64 v79, null, s19, v79, vcc_lo
	v_add_co_u32 v80, vcc_lo, v80, s18
	v_add_co_ci_u32_e64 v81, null, s19, v81, vcc_lo
	s_add_u32 s20, s20, s7
	s_addc_u32 s21, s21, 0
	s_and_b32 vcc_lo, exec_lo, s12
	s_cbranch_vccnz .LBB180_83
; %bb.82:                               ;   in Loop: Header=BB180_53 Depth=1
	v_mov_b32_e32 v82, v85
	s_branch .LBB180_53
.LBB180_83:
	v_mad_u32_u24 v2, v1, 33, v0
	v_lshrrev_b32_e32 v3, 5, v0
	s_mov_b32 s0, exec_lo
	v_lshl_add_u32 v2, v2, 2, 0
	v_add_nc_u32_e32 v3, v3, v1
	v_mov_b32_e32 v1, 0
	ds_write_b32 v2, v85
	ds_write_b32 v2, v1 offset:1056
	s_waitcnt lgkmcnt(0)
	s_barrier
	buffer_gl0_inv
	v_cmpx_gt_u32_e32 32, v3
	s_cbranch_execz .LBB180_103
; %bb.84:
	s_load_dwordx2 s[2:3], s[4:5], 0x30
	v_and_b32_e32 v1, 31, v0
	v_cmp_gt_u32_e32 vcc_lo, 8, v1
	v_mul_u32_u24_e32 v4, 33, v1
                                        ; implicit-def: $vgpr1
	s_and_saveexec_b32 s0, vcc_lo
	s_cbranch_execz .LBB180_86
; %bb.85:
	v_lshlrev_b32_e32 v1, 2, v3
	v_lshlrev_b32_e32 v2, 2, v4
	v_add3_u32 v1, 0, v1, v2
	ds_read_b32 v1, v1
.LBB180_86:
	s_or_b32 exec_lo, exec_lo, s0
	v_mbcnt_lo_u32_b32 v2, -1, 0
	s_mov_b32 s7, 0
	s_lshl_b64 s[4:5], s[6:7], 5
	s_waitcnt lgkmcnt(0)
	s_cmp_eq_u64 s[2:3], 0
	v_xor_b32_e32 v5, 4, v2
	v_xor_b32_e32 v6, 2, v2
	v_xor_b32_e32 v8, 1, v2
	s_cselect_b32 s6, -1, 0
	v_cmp_gt_i32_e64 s0, 32, v5
	v_cndmask_b32_e64 v5, v2, v5, s0
	v_cmp_gt_i32_e64 s0, 32, v6
	v_lshlrev_b32_e32 v5, 2, v5
	v_cndmask_b32_e64 v6, v2, v6, s0
	v_cmp_gt_i32_e64 s0, 32, v8
	ds_bpermute_b32 v7, v5, v1
	v_lshlrev_b32_e32 v6, 2, v6
	v_cndmask_b32_e64 v2, v2, v8, s0
	v_cmp_ne_u32_e64 s0, 0, v0
	s_waitcnt lgkmcnt(0)
	v_add_f32_e32 v1, v1, v7
	ds_bpermute_b32 v7, v6, v1
	s_waitcnt lgkmcnt(0)
	v_add_f32_e32 v8, v1, v7
	v_lshlrev_b32_e32 v7, 2, v2
	v_or_b32_e32 v1, s4, v3
	v_mov_b32_e32 v2, s5
	ds_bpermute_b32 v9, v7, v8
	v_cmp_le_i64_e64 s1, s[10:11], v[1:2]
	s_or_b32 s1, s0, s1
	s_nor_b32 s1, s6, s1
	s_waitcnt lgkmcnt(0)
	v_add_f32_e32 v0, v8, v9
	s_and_saveexec_b32 s7, s1
	s_cbranch_execz .LBB180_88
; %bb.87:
	v_lshlrev_b64 v[1:2], 1, v[1:2]
	v_cvt_f16_f32_e32 v8, v0
	v_add_co_u32 v1, s1, s2, v1
	v_add_co_ci_u32_e64 v2, null, s3, v2, s1
	global_store_short v[1:2], v8, off
.LBB180_88:
	s_or_b32 exec_lo, exec_lo, s7
	v_cmp_gt_u32_e64 s1, 24, v3
	s_and_b32 exec_lo, exec_lo, s1
	s_cbranch_execz .LBB180_103
; %bb.89:
	s_and_saveexec_b32 s1, vcc_lo
	s_cbranch_execz .LBB180_91
; %bb.90:
	v_lshlrev_b32_e32 v0, 2, v3
	v_lshlrev_b32_e32 v1, 2, v4
	v_add3_u32 v0, 0, v0, v1
	ds_read_b32 v0, v0 offset:32
.LBB180_91:
	s_or_b32 exec_lo, exec_lo, s1
	s_waitcnt lgkmcnt(0)
	ds_bpermute_b32 v1, v5, v0
	s_waitcnt lgkmcnt(0)
	v_add_f32_e32 v0, v0, v1
	ds_bpermute_b32 v1, v6, v0
	s_waitcnt lgkmcnt(0)
	v_add_f32_e32 v2, v0, v1
	v_add_nc_u32_e32 v0, 8, v3
	ds_bpermute_b32 v8, v7, v2
	v_add_co_u32 v0, s1, s4, v0
	v_add_co_ci_u32_e64 v1, null, s5, 0, s1
	v_cmp_le_i64_e64 s1, s[10:11], v[0:1]
	s_or_b32 s1, s0, s1
	s_nor_b32 s1, s6, s1
	s_waitcnt lgkmcnt(0)
	v_add_f32_e32 v0, v2, v8
	s_and_saveexec_b32 s7, s1
	s_cbranch_execz .LBB180_93
; %bb.92:
	v_add_co_u32 v1, s1, s4, v3
	v_add_co_ci_u32_e64 v2, null, s5, 0, s1
	v_cvt_f16_f32_e32 v8, v0
	v_lshlrev_b64 v[1:2], 1, v[1:2]
	v_add_co_u32 v1, s1, s2, v1
	v_add_co_ci_u32_e64 v2, null, s3, v2, s1
	global_store_short v[1:2], v8, off offset:16
.LBB180_93:
	s_or_b32 exec_lo, exec_lo, s7
	v_cmp_gt_u32_e64 s1, 16, v3
	s_and_b32 exec_lo, exec_lo, s1
	s_cbranch_execz .LBB180_103
; %bb.94:
	s_and_saveexec_b32 s1, vcc_lo
	s_cbranch_execz .LBB180_96
; %bb.95:
	v_lshlrev_b32_e32 v0, 2, v3
	v_lshlrev_b32_e32 v1, 2, v4
	v_add3_u32 v0, 0, v0, v1
	ds_read_b32 v0, v0 offset:64
.LBB180_96:
	s_or_b32 exec_lo, exec_lo, s1
	s_waitcnt lgkmcnt(0)
	ds_bpermute_b32 v1, v5, v0
	s_waitcnt lgkmcnt(0)
	v_add_f32_e32 v0, v0, v1
	ds_bpermute_b32 v1, v6, v0
	s_waitcnt lgkmcnt(0)
	v_add_f32_e32 v2, v0, v1
	v_add_nc_u32_e32 v0, 16, v3
	v_mov_b32_e32 v1, s5
	ds_bpermute_b32 v8, v7, v2
	v_or_b32_e32 v0, s4, v0
	v_cmp_le_i64_e64 s1, s[10:11], v[0:1]
	s_or_b32 s1, s0, s1
	s_nor_b32 s1, s6, s1
	s_waitcnt lgkmcnt(0)
	v_add_f32_e32 v0, v2, v8
	s_and_saveexec_b32 s7, s1
	s_cbranch_execz .LBB180_98
; %bb.97:
	v_add_co_u32 v1, s1, s4, v3
	v_add_co_ci_u32_e64 v2, null, s5, 0, s1
	v_cvt_f16_f32_e32 v8, v0
	v_lshlrev_b64 v[1:2], 1, v[1:2]
	v_add_co_u32 v1, s1, s2, v1
	v_add_co_ci_u32_e64 v2, null, s3, v2, s1
	global_store_short v[1:2], v8, off offset:32
.LBB180_98:
	s_or_b32 exec_lo, exec_lo, s7
	v_cmp_gt_u32_e64 s1, 8, v3
	s_and_b32 exec_lo, exec_lo, s1
	s_cbranch_execz .LBB180_103
; %bb.99:
	s_and_saveexec_b32 s1, vcc_lo
	s_cbranch_execz .LBB180_101
; %bb.100:
	v_lshlrev_b32_e32 v0, 2, v3
	v_lshlrev_b32_e32 v1, 2, v4
	v_add3_u32 v0, 0, v0, v1
	ds_read_b32 v0, v0 offset:96
.LBB180_101:
	s_or_b32 exec_lo, exec_lo, s1
	s_waitcnt lgkmcnt(0)
	ds_bpermute_b32 v1, v5, v0
	v_add_nc_u32_e32 v2, 24, v3
	v_mov_b32_e32 v5, s5
	v_or_b32_e32 v4, s4, v2
	v_cmp_le_i64_e32 vcc_lo, s[10:11], v[4:5]
	s_or_b32 s0, s0, vcc_lo
	s_nor_b32 s0, s6, s0
	s_waitcnt lgkmcnt(0)
	v_add_f32_e32 v0, v0, v1
	ds_bpermute_b32 v1, v6, v0
	s_waitcnt lgkmcnt(0)
	v_add_f32_e32 v0, v0, v1
	ds_bpermute_b32 v1, v7, v0
	s_and_saveexec_b32 s1, s0
	s_xor_b32 s1, exec_lo, s1
	s_cbranch_execz .LBB180_103
; %bb.102:
	v_add_co_u32 v2, s0, s4, v3
	v_add_co_ci_u32_e64 v3, null, s5, 0, s0
	s_waitcnt lgkmcnt(0)
	v_add_f32_e32 v4, v0, v1
	v_lshlrev_b64 v[2:3], 1, v[2:3]
	v_add_co_u32 v0, vcc_lo, s2, v2
	v_add_co_ci_u32_e64 v1, null, s3, v3, vcc_lo
	v_cvt_f16_f32_e32 v2, v4
	global_store_short v[0:1], v2, off offset:48
.LBB180_103:
	s_endpgm
	.section	.rodata,"a",@progbits
	.p2align	6, 0x0
	.amdhsa_kernel _ZN2at6native12_GLOBAL__N_135GammaBetaBackwardCUDAKernelTemplateIN3c104HalfEfLj32ELj8ELj64ELb0ELb0ELb1EEEvllPKT_S7_PKT0_SA_PS5_SB_
		.amdhsa_group_segment_fixed_size 0
		.amdhsa_private_segment_fixed_size 0
		.amdhsa_kernarg_size 320
		.amdhsa_user_sgpr_count 6
		.amdhsa_user_sgpr_private_segment_buffer 1
		.amdhsa_user_sgpr_dispatch_ptr 0
		.amdhsa_user_sgpr_queue_ptr 0
		.amdhsa_user_sgpr_kernarg_segment_ptr 1
		.amdhsa_user_sgpr_dispatch_id 0
		.amdhsa_user_sgpr_flat_scratch_init 0
		.amdhsa_user_sgpr_private_segment_size 0
		.amdhsa_wavefront_size32 1
		.amdhsa_uses_dynamic_stack 0
		.amdhsa_system_sgpr_private_segment_wavefront_offset 0
		.amdhsa_system_sgpr_workgroup_id_x 1
		.amdhsa_system_sgpr_workgroup_id_y 1
		.amdhsa_system_sgpr_workgroup_id_z 0
		.amdhsa_system_sgpr_workgroup_info 0
		.amdhsa_system_vgpr_workitem_id 1
		.amdhsa_next_free_vgpr 91
		.amdhsa_next_free_sgpr 30
		.amdhsa_reserve_vcc 1
		.amdhsa_reserve_flat_scratch 0
		.amdhsa_float_round_mode_32 0
		.amdhsa_float_round_mode_16_64 0
		.amdhsa_float_denorm_mode_32 3
		.amdhsa_float_denorm_mode_16_64 3
		.amdhsa_dx10_clamp 1
		.amdhsa_ieee_mode 1
		.amdhsa_fp16_overflow 0
		.amdhsa_workgroup_processor_mode 1
		.amdhsa_memory_ordered 1
		.amdhsa_forward_progress 1
		.amdhsa_shared_vgpr_count 0
		.amdhsa_exception_fp_ieee_invalid_op 0
		.amdhsa_exception_fp_denorm_src 0
		.amdhsa_exception_fp_ieee_div_zero 0
		.amdhsa_exception_fp_ieee_overflow 0
		.amdhsa_exception_fp_ieee_underflow 0
		.amdhsa_exception_fp_ieee_inexact 0
		.amdhsa_exception_int_div_zero 0
	.end_amdhsa_kernel
	.section	.text._ZN2at6native12_GLOBAL__N_135GammaBetaBackwardCUDAKernelTemplateIN3c104HalfEfLj32ELj8ELj64ELb0ELb0ELb1EEEvllPKT_S7_PKT0_SA_PS5_SB_,"axG",@progbits,_ZN2at6native12_GLOBAL__N_135GammaBetaBackwardCUDAKernelTemplateIN3c104HalfEfLj32ELj8ELj64ELb0ELb0ELb1EEEvllPKT_S7_PKT0_SA_PS5_SB_,comdat
.Lfunc_end180:
	.size	_ZN2at6native12_GLOBAL__N_135GammaBetaBackwardCUDAKernelTemplateIN3c104HalfEfLj32ELj8ELj64ELb0ELb0ELb1EEEvllPKT_S7_PKT0_SA_PS5_SB_, .Lfunc_end180-_ZN2at6native12_GLOBAL__N_135GammaBetaBackwardCUDAKernelTemplateIN3c104HalfEfLj32ELj8ELj64ELb0ELb0ELb1EEEvllPKT_S7_PKT0_SA_PS5_SB_
                                        ; -- End function
	.set _ZN2at6native12_GLOBAL__N_135GammaBetaBackwardCUDAKernelTemplateIN3c104HalfEfLj32ELj8ELj64ELb0ELb0ELb1EEEvllPKT_S7_PKT0_SA_PS5_SB_.num_vgpr, 91
	.set _ZN2at6native12_GLOBAL__N_135GammaBetaBackwardCUDAKernelTemplateIN3c104HalfEfLj32ELj8ELj64ELb0ELb0ELb1EEEvllPKT_S7_PKT0_SA_PS5_SB_.num_agpr, 0
	.set _ZN2at6native12_GLOBAL__N_135GammaBetaBackwardCUDAKernelTemplateIN3c104HalfEfLj32ELj8ELj64ELb0ELb0ELb1EEEvllPKT_S7_PKT0_SA_PS5_SB_.numbered_sgpr, 30
	.set _ZN2at6native12_GLOBAL__N_135GammaBetaBackwardCUDAKernelTemplateIN3c104HalfEfLj32ELj8ELj64ELb0ELb0ELb1EEEvllPKT_S7_PKT0_SA_PS5_SB_.num_named_barrier, 0
	.set _ZN2at6native12_GLOBAL__N_135GammaBetaBackwardCUDAKernelTemplateIN3c104HalfEfLj32ELj8ELj64ELb0ELb0ELb1EEEvllPKT_S7_PKT0_SA_PS5_SB_.private_seg_size, 0
	.set _ZN2at6native12_GLOBAL__N_135GammaBetaBackwardCUDAKernelTemplateIN3c104HalfEfLj32ELj8ELj64ELb0ELb0ELb1EEEvllPKT_S7_PKT0_SA_PS5_SB_.uses_vcc, 1
	.set _ZN2at6native12_GLOBAL__N_135GammaBetaBackwardCUDAKernelTemplateIN3c104HalfEfLj32ELj8ELj64ELb0ELb0ELb1EEEvllPKT_S7_PKT0_SA_PS5_SB_.uses_flat_scratch, 0
	.set _ZN2at6native12_GLOBAL__N_135GammaBetaBackwardCUDAKernelTemplateIN3c104HalfEfLj32ELj8ELj64ELb0ELb0ELb1EEEvllPKT_S7_PKT0_SA_PS5_SB_.has_dyn_sized_stack, 0
	.set _ZN2at6native12_GLOBAL__N_135GammaBetaBackwardCUDAKernelTemplateIN3c104HalfEfLj32ELj8ELj64ELb0ELb0ELb1EEEvllPKT_S7_PKT0_SA_PS5_SB_.has_recursion, 0
	.set _ZN2at6native12_GLOBAL__N_135GammaBetaBackwardCUDAKernelTemplateIN3c104HalfEfLj32ELj8ELj64ELb0ELb0ELb1EEEvllPKT_S7_PKT0_SA_PS5_SB_.has_indirect_call, 0
	.section	.AMDGPU.csdata,"",@progbits
; Kernel info:
; codeLenInByte = 8552
; TotalNumSgprs: 32
; NumVgprs: 91
; ScratchSize: 0
; MemoryBound: 0
; FloatMode: 240
; IeeeMode: 1
; LDSByteSize: 0 bytes/workgroup (compile time only)
; SGPRBlocks: 0
; VGPRBlocks: 11
; NumSGPRsForWavesPerEU: 32
; NumVGPRsForWavesPerEU: 91
; Occupancy: 10
; WaveLimiterHint : 0
; COMPUTE_PGM_RSRC2:SCRATCH_EN: 0
; COMPUTE_PGM_RSRC2:USER_SGPR: 6
; COMPUTE_PGM_RSRC2:TRAP_HANDLER: 0
; COMPUTE_PGM_RSRC2:TGID_X_EN: 1
; COMPUTE_PGM_RSRC2:TGID_Y_EN: 1
; COMPUTE_PGM_RSRC2:TGID_Z_EN: 0
; COMPUTE_PGM_RSRC2:TIDIG_COMP_CNT: 1
	.section	.text._ZN2at6native12_GLOBAL__N_135GammaBetaBackwardCUDAKernelTemplateIN3c104HalfEfLj32ELj16ELj128ELb0ELb1ELb1EEEvllPKT_S7_PKT0_SA_PS5_SB_,"axG",@progbits,_ZN2at6native12_GLOBAL__N_135GammaBetaBackwardCUDAKernelTemplateIN3c104HalfEfLj32ELj16ELj128ELb0ELb1ELb1EEEvllPKT_S7_PKT0_SA_PS5_SB_,comdat
	.globl	_ZN2at6native12_GLOBAL__N_135GammaBetaBackwardCUDAKernelTemplateIN3c104HalfEfLj32ELj16ELj128ELb0ELb1ELb1EEEvllPKT_S7_PKT0_SA_PS5_SB_ ; -- Begin function _ZN2at6native12_GLOBAL__N_135GammaBetaBackwardCUDAKernelTemplateIN3c104HalfEfLj32ELj16ELj128ELb0ELb1ELb1EEEvllPKT_S7_PKT0_SA_PS5_SB_
	.p2align	8
	.type	_ZN2at6native12_GLOBAL__N_135GammaBetaBackwardCUDAKernelTemplateIN3c104HalfEfLj32ELj16ELj128ELb0ELb1ELb1EEEvllPKT_S7_PKT0_SA_PS5_SB_,@function
_ZN2at6native12_GLOBAL__N_135GammaBetaBackwardCUDAKernelTemplateIN3c104HalfEfLj32ELj16ELj128ELb0ELb1ELb1EEEvllPKT_S7_PKT0_SA_PS5_SB_: ; @_ZN2at6native12_GLOBAL__N_135GammaBetaBackwardCUDAKernelTemplateIN3c104HalfEfLj32ELj16ELj128ELb0ELb1ELb1EEEvllPKT_S7_PKT0_SA_PS5_SB_
; %bb.0:
	s_load_dwordx4 s[8:11], s[4:5], 0x0
	s_lshl_b32 s16, s7, 7
	s_mov_b32 s17, 0
	s_waitcnt lgkmcnt(0)
	v_cmp_gt_i64_e64 s0, s[8:9], s[16:17]
	s_and_b32 vcc_lo, exec_lo, s0
	s_cbranch_vccnz .LBB181_2
; %bb.1:
	s_mov_b32 s0, s17
	s_load_dwordx2 s[2:3], s[4:5], 0x30
	v_mov_b32_e32 v2, 0
	s_andn2_b32 vcc_lo, exec_lo, s0
	s_cbranch_vccz .LBB181_3
	s_branch .LBB181_9
.LBB181_2:
	s_load_dwordx2 s[2:3], s[4:5], 0x30
	v_mov_b32_e32 v2, 0
.LBB181_3:
	s_clause 0x3
	s_load_dword s0, s[4:5], 0x4c
	s_load_dword s1, s[4:5], 0x44
	s_load_dwordx4 s[12:15], s[4:5], 0x10
	s_load_dwordx2 s[18:19], s[4:5], 0x28
	v_lshlrev_b32_e32 v4, 3, v1
	v_mov_b32_e32 v3, 0
	v_lshl_add_u32 v2, s6, 5, v0
	v_mov_b32_e32 v8, 8
	v_mov_b32_e32 v9, 4
	v_add_co_u32 v4, s4, v4, s16
	v_add_co_ci_u32_e64 v5, null, 0, 0, s4
	v_lshlrev_b64 v[15:16], 1, v[2:3]
	v_mul_lo_u32 v17, s11, v4
	v_mov_b32_e32 v10, 12
	v_mul_lo_u32 v18, s10, v5
	v_mov_b32_e32 v11, 16
	v_mov_b32_e32 v12, 20
	;; [unrolled: 1-line block ×3, first 2 shown]
	s_waitcnt lgkmcnt(0)
	s_and_b32 s0, s0, 0xffff
	s_lshl_b32 s4, s1, 7
	v_mad_u32_u24 v6, v1, s0, v0
	s_mul_i32 s1, s11, s4
	s_mul_hi_u32 s7, s10, s4
	v_mov_b32_e32 v14, 28
	v_mov_b32_e32 v2, 0
	v_and_b32_e32 v21, 31, v6
	v_mad_u64_u32 v[6:7], null, s10, v4, 0
	s_mov_b32 s5, 0
	s_add_i32 s21, s7, s1
	v_add_co_u32 v4, vcc_lo, v4, v21
	v_add_co_ci_u32_e64 v5, null, 0, v5, vcc_lo
	v_add3_u32 v7, v7, v18, v17
	v_cmp_gt_u32_e64 s0, 8, v21
	s_mul_i32 s20, s10, s4
	v_lshlrev_b64 v[17:18], 2, v[4:5]
	s_lshl_b64 s[20:21], s[20:21], 1
	v_lshlrev_b64 v[19:20], 1, v[6:7]
	s_lshl_b64 s[10:11], s[10:11], 1
	v_add_co_u32 v6, vcc_lo, s18, v17
	v_add_co_ci_u32_e64 v7, null, s19, v18, vcc_lo
	v_add_co_u32 v15, vcc_lo, v19, v15
	v_add_co_ci_u32_e64 v16, null, v20, v16, vcc_lo
	s_lshl_b64 s[18:19], s[4:5], 2
	s_branch .LBB181_6
.LBB181_4:                              ;   in Loop: Header=BB181_6 Depth=1
	s_or_b32 exec_lo, exec_lo, s5
.LBB181_5:                              ;   in Loop: Header=BB181_6 Depth=1
	s_or_b32 exec_lo, exec_lo, s1
	v_add_co_u32 v18, vcc_lo, s12, v15
	v_add_co_ci_u32_e64 v19, null, s13, v16, vcc_lo
	v_add_co_u32 v20, vcc_lo, s14, v15
	v_add_co_ci_u32_e64 v21, null, s15, v16, vcc_lo
	v_add_co_u32 v22, vcc_lo, v18, s10
	v_add_co_ci_u32_e64 v23, null, s11, v19, vcc_lo
	global_load_ushort v28, v[18:19], off
	global_load_ushort v29, v[20:21], off
	;; [unrolled: 1-line block ×3, first 2 shown]
	v_add_co_u32 v18, vcc_lo, v20, s10
	v_add_co_ci_u32_e64 v19, null, s11, v21, vcc_lo
	v_add_co_u32 v20, vcc_lo, v22, s10
	v_add_co_ci_u32_e64 v21, null, s11, v23, vcc_lo
	v_add_co_u32 v22, vcc_lo, v18, s10
	v_add_co_ci_u32_e64 v23, null, s11, v19, vcc_lo
	v_add_co_u32 v24, vcc_lo, v20, s10
	v_add_co_ci_u32_e64 v25, null, s11, v21, vcc_lo
	v_add_co_u32 v26, vcc_lo, v22, s10
	v_add_co_ci_u32_e64 v27, null, s11, v23, vcc_lo
	global_load_ushort v31, v[18:19], off
	global_load_ushort v32, v[20:21], off
	;; [unrolled: 1-line block ×5, first 2 shown]
	v_add_co_u32 v18, vcc_lo, v24, s10
	v_add_co_ci_u32_e64 v19, null, s11, v25, vcc_lo
	v_add_co_u32 v20, vcc_lo, v26, s10
	v_add_co_ci_u32_e64 v21, null, s11, v27, vcc_lo
	;; [unrolled: 2-line block ×5, first 2 shown]
	global_load_ushort v36, v[18:19], off
	global_load_ushort v37, v[20:21], off
	;; [unrolled: 1-line block ×5, first 2 shown]
	v_add_co_u32 v18, vcc_lo, v24, s10
	v_add_co_ci_u32_e64 v19, null, s11, v25, vcc_lo
	v_add_co_u32 v20, vcc_lo, v26, s10
	v_add_co_ci_u32_e64 v21, null, s11, v27, vcc_lo
	;; [unrolled: 2-line block ×3, first 2 shown]
	global_load_ushort v18, v[18:19], off
	global_load_ushort v19, v[20:21], off
	;; [unrolled: 1-line block ×3, first 2 shown]
	s_waitcnt vmcnt(16)
	ds_bpermute_b32 v21, v3, v17
	ds_bpermute_b32 v22, v9, v17
	;; [unrolled: 1-line block ×4, first 2 shown]
	s_add_u32 s16, s16, s4
	v_add_co_u32 v6, vcc_lo, v6, s18
	s_addc_u32 s17, s17, 0
	v_add_co_ci_u32_e64 v7, null, s19, v7, vcc_lo
	v_add_co_u32 v4, vcc_lo, v4, s4
	v_cmp_lt_i64_e64 s1, s[16:17], s[8:9]
	v_add_co_ci_u32_e64 v5, null, 0, v5, vcc_lo
	v_add_co_u32 v15, vcc_lo, v15, s20
	v_add_co_ci_u32_e64 v16, null, s21, v16, vcc_lo
	s_and_b32 vcc_lo, exec_lo, s1
	s_waitcnt vmcnt(15)
	v_cvt_f32_f16_e32 v23, v28
	s_waitcnt vmcnt(14)
	v_cvt_f32_f16_e32 v24, v29
	s_waitcnt vmcnt(13)
	v_cvt_f32_f16_e32 v26, v30
	v_mul_f32_e32 v23, v23, v24
	s_waitcnt lgkmcnt(3)
	v_fmac_f32_e32 v2, v23, v21
	s_waitcnt vmcnt(12)
	v_cvt_f32_f16_e32 v24, v31
	s_waitcnt vmcnt(11)
	v_cvt_f32_f16_e32 v28, v32
	;; [unrolled: 2-line block ×4, first 2 shown]
	v_mul_f32_e32 v21, v26, v24
	ds_bpermute_b32 v24, v11, v17
	ds_bpermute_b32 v26, v12, v17
	s_waitcnt lgkmcnt(4)
	v_fmac_f32_e32 v2, v21, v22
	v_mul_f32_e32 v21, v28, v23
	s_waitcnt vmcnt(8)
	v_cvt_f32_f16_e32 v22, v35
	ds_bpermute_b32 v23, v13, v17
	ds_bpermute_b32 v17, v14, v17
	s_waitcnt lgkmcnt(5)
	v_fmac_f32_e32 v2, v21, v25
	v_mul_f32_e32 v21, v29, v22
	s_waitcnt vmcnt(7)
	v_cvt_f32_f16_e32 v28, v36
	s_waitcnt vmcnt(6)
	v_cvt_f32_f16_e32 v22, v37
	;; [unrolled: 2-line block ×4, first 2 shown]
	s_waitcnt lgkmcnt(4)
	v_fmac_f32_e32 v2, v21, v27
	v_mul_f32_e32 v21, v28, v22
	s_waitcnt vmcnt(3)
	v_cvt_f32_f16_e32 v22, v40
	s_waitcnt lgkmcnt(3)
	v_fmac_f32_e32 v2, v21, v24
	v_mul_f32_e32 v21, v25, v29
	s_waitcnt vmcnt(2)
	v_cvt_f32_f16_e32 v18, v18
	s_waitcnt vmcnt(1)
	v_cvt_f32_f16_e32 v19, v19
	;; [unrolled: 2-line block ×3, first 2 shown]
	s_waitcnt lgkmcnt(2)
	v_fmac_f32_e32 v2, v21, v26
	v_mul_f32_e32 v18, v22, v18
	s_waitcnt lgkmcnt(1)
	v_fmac_f32_e32 v2, v18, v23
	v_mul_f32_e32 v18, v19, v20
	s_waitcnt lgkmcnt(0)
	v_fmac_f32_e32 v2, v18, v17
	s_cbranch_vccz .LBB181_9
.LBB181_6:                              ; =>This Inner Loop Header: Depth=1
	v_mov_b32_e32 v17, 0
	s_and_saveexec_b32 s1, s0
	s_cbranch_execz .LBB181_5
; %bb.7:                                ;   in Loop: Header=BB181_6 Depth=1
	v_mov_b32_e32 v17, 0
	s_mov_b32 s5, exec_lo
	v_cmpx_gt_i64_e64 s[8:9], v[4:5]
	s_cbranch_execz .LBB181_4
; %bb.8:                                ;   in Loop: Header=BB181_6 Depth=1
	global_load_dword v17, v[6:7], off
	s_branch .LBB181_4
.LBB181_9:
	v_mad_u32_u24 v3, v1, 33, v0
	v_lshrrev_b32_e32 v4, 5, v0
	s_mov_b32 s0, exec_lo
	v_lshl_add_u32 v3, v3, 2, 0
	v_add_nc_u32_e32 v1, v4, v1
	v_mov_b32_e32 v4, 0
	ds_write_b32 v3, v2
	ds_write_b32 v3, v4 offset:2112
	s_waitcnt lgkmcnt(0)
	s_barrier
	buffer_gl0_inv
	v_cmpx_gt_u32_e32 32, v1
	s_cbranch_execz .LBB181_19
; %bb.10:
	v_and_b32_e32 v2, 31, v0
	v_cmp_gt_u32_e32 vcc_lo, 16, v2
	v_mul_u32_u24_e32 v3, 33, v2
                                        ; implicit-def: $vgpr2
	s_and_saveexec_b32 s0, vcc_lo
	s_cbranch_execz .LBB181_12
; %bb.11:
	v_lshlrev_b32_e32 v2, 2, v1
	v_lshlrev_b32_e32 v4, 2, v3
	v_add3_u32 v2, 0, v2, v4
	ds_read_b32 v2, v2
.LBB181_12:
	s_or_b32 exec_lo, exec_lo, s0
	v_mbcnt_lo_u32_b32 v7, -1, 0
	s_cmp_lg_u64 s[2:3], 0
	s_mov_b32 s7, 0
	s_cselect_b32 s1, -1, 0
	s_lshl_b64 s[6:7], s[6:7], 6
	v_xor_b32_e32 v4, 8, v7
	v_xor_b32_e32 v5, 4, v7
	;; [unrolled: 1-line block ×3, first 2 shown]
	v_cmp_gt_i32_e64 s0, 32, v4
	v_cndmask_b32_e64 v4, v7, v4, s0
	v_cmp_gt_i32_e64 s0, 32, v5
	v_lshlrev_b32_e32 v4, 2, v4
	v_cndmask_b32_e64 v5, v7, v5, s0
	s_waitcnt lgkmcnt(0)
	ds_bpermute_b32 v6, v4, v2
	v_lshlrev_b32_e32 v5, 2, v5
	s_waitcnt lgkmcnt(0)
	v_add_f32_e32 v2, v2, v6
	v_xor_b32_e32 v6, 2, v7
	ds_bpermute_b32 v8, v5, v2
	v_cmp_gt_i32_e64 s0, 32, v6
	v_cndmask_b32_e64 v6, v7, v6, s0
	v_cmp_gt_i32_e64 s0, 32, v9
	v_lshlrev_b32_e32 v6, 2, v6
	v_cndmask_b32_e64 v7, v7, v9, s0
	v_cmp_eq_u32_e64 s0, 0, v0
	v_lshlrev_b32_e32 v7, 2, v7
	s_and_b32 s4, s0, s1
	s_add_u32 s1, s2, s6
	s_waitcnt lgkmcnt(0)
	v_add_f32_e32 v2, v2, v8
	s_addc_u32 s2, s3, s7
	ds_bpermute_b32 v8, v6, v2
	s_waitcnt lgkmcnt(0)
	v_add_f32_e32 v2, v2, v8
	ds_bpermute_b32 v8, v7, v2
	s_waitcnt lgkmcnt(0)
	v_add_f32_e32 v0, v2, v8
	s_and_saveexec_b32 s3, s4
	s_cbranch_execz .LBB181_14
; %bb.13:
	v_mov_b32_e32 v2, 0
	v_lshlrev_b64 v[8:9], 1, v[1:2]
	v_cvt_f16_f32_e32 v2, v0
	v_add_co_u32 v8, s0, s1, v8
	v_add_co_ci_u32_e64 v9, null, s2, v9, s0
	global_store_short v[8:9], v2, off
.LBB181_14:
	s_or_b32 exec_lo, exec_lo, s3
	v_cmp_gt_u32_e64 s0, 16, v1
	s_and_b32 exec_lo, exec_lo, s0
	s_cbranch_execz .LBB181_19
; %bb.15:
	s_and_saveexec_b32 s0, vcc_lo
	s_cbranch_execz .LBB181_17
; %bb.16:
	v_lshlrev_b32_e32 v0, 2, v1
	v_lshlrev_b32_e32 v2, 2, v3
	v_add3_u32 v0, 0, v0, v2
	ds_read_b32 v0, v0 offset:64
.LBB181_17:
	s_or_b32 exec_lo, exec_lo, s0
	s_waitcnt lgkmcnt(0)
	ds_bpermute_b32 v2, v4, v0
	s_waitcnt lgkmcnt(0)
	v_add_f32_e32 v0, v0, v2
	ds_bpermute_b32 v2, v5, v0
	s_waitcnt lgkmcnt(0)
	v_add_f32_e32 v0, v0, v2
	;; [unrolled: 3-line block ×3, first 2 shown]
	ds_bpermute_b32 v3, v7, v0
	s_and_saveexec_b32 s0, s4
	s_xor_b32 s0, exec_lo, s0
	s_cbranch_execz .LBB181_19
; %bb.18:
	v_mov_b32_e32 v2, 0
	s_waitcnt lgkmcnt(0)
	v_add_f32_e32 v3, v0, v3
	v_lshlrev_b64 v[0:1], 1, v[1:2]
	v_cvt_f16_f32_e32 v2, v3
	v_add_co_u32 v0, vcc_lo, s1, v0
	v_add_co_ci_u32_e64 v1, null, s2, v1, vcc_lo
	global_store_short v[0:1], v2, off offset:32
.LBB181_19:
	s_endpgm
	.section	.rodata,"a",@progbits
	.p2align	6, 0x0
	.amdhsa_kernel _ZN2at6native12_GLOBAL__N_135GammaBetaBackwardCUDAKernelTemplateIN3c104HalfEfLj32ELj16ELj128ELb0ELb1ELb1EEEvllPKT_S7_PKT0_SA_PS5_SB_
		.amdhsa_group_segment_fixed_size 0
		.amdhsa_private_segment_fixed_size 0
		.amdhsa_kernarg_size 320
		.amdhsa_user_sgpr_count 6
		.amdhsa_user_sgpr_private_segment_buffer 1
		.amdhsa_user_sgpr_dispatch_ptr 0
		.amdhsa_user_sgpr_queue_ptr 0
		.amdhsa_user_sgpr_kernarg_segment_ptr 1
		.amdhsa_user_sgpr_dispatch_id 0
		.amdhsa_user_sgpr_flat_scratch_init 0
		.amdhsa_user_sgpr_private_segment_size 0
		.amdhsa_wavefront_size32 1
		.amdhsa_uses_dynamic_stack 0
		.amdhsa_system_sgpr_private_segment_wavefront_offset 0
		.amdhsa_system_sgpr_workgroup_id_x 1
		.amdhsa_system_sgpr_workgroup_id_y 1
		.amdhsa_system_sgpr_workgroup_id_z 0
		.amdhsa_system_sgpr_workgroup_info 0
		.amdhsa_system_vgpr_workitem_id 1
		.amdhsa_next_free_vgpr 41
		.amdhsa_next_free_sgpr 22
		.amdhsa_reserve_vcc 1
		.amdhsa_reserve_flat_scratch 0
		.amdhsa_float_round_mode_32 0
		.amdhsa_float_round_mode_16_64 0
		.amdhsa_float_denorm_mode_32 3
		.amdhsa_float_denorm_mode_16_64 3
		.amdhsa_dx10_clamp 1
		.amdhsa_ieee_mode 1
		.amdhsa_fp16_overflow 0
		.amdhsa_workgroup_processor_mode 1
		.amdhsa_memory_ordered 1
		.amdhsa_forward_progress 1
		.amdhsa_shared_vgpr_count 0
		.amdhsa_exception_fp_ieee_invalid_op 0
		.amdhsa_exception_fp_denorm_src 0
		.amdhsa_exception_fp_ieee_div_zero 0
		.amdhsa_exception_fp_ieee_overflow 0
		.amdhsa_exception_fp_ieee_underflow 0
		.amdhsa_exception_fp_ieee_inexact 0
		.amdhsa_exception_int_div_zero 0
	.end_amdhsa_kernel
	.section	.text._ZN2at6native12_GLOBAL__N_135GammaBetaBackwardCUDAKernelTemplateIN3c104HalfEfLj32ELj16ELj128ELb0ELb1ELb1EEEvllPKT_S7_PKT0_SA_PS5_SB_,"axG",@progbits,_ZN2at6native12_GLOBAL__N_135GammaBetaBackwardCUDAKernelTemplateIN3c104HalfEfLj32ELj16ELj128ELb0ELb1ELb1EEEvllPKT_S7_PKT0_SA_PS5_SB_,comdat
.Lfunc_end181:
	.size	_ZN2at6native12_GLOBAL__N_135GammaBetaBackwardCUDAKernelTemplateIN3c104HalfEfLj32ELj16ELj128ELb0ELb1ELb1EEEvllPKT_S7_PKT0_SA_PS5_SB_, .Lfunc_end181-_ZN2at6native12_GLOBAL__N_135GammaBetaBackwardCUDAKernelTemplateIN3c104HalfEfLj32ELj16ELj128ELb0ELb1ELb1EEEvllPKT_S7_PKT0_SA_PS5_SB_
                                        ; -- End function
	.set _ZN2at6native12_GLOBAL__N_135GammaBetaBackwardCUDAKernelTemplateIN3c104HalfEfLj32ELj16ELj128ELb0ELb1ELb1EEEvllPKT_S7_PKT0_SA_PS5_SB_.num_vgpr, 41
	.set _ZN2at6native12_GLOBAL__N_135GammaBetaBackwardCUDAKernelTemplateIN3c104HalfEfLj32ELj16ELj128ELb0ELb1ELb1EEEvllPKT_S7_PKT0_SA_PS5_SB_.num_agpr, 0
	.set _ZN2at6native12_GLOBAL__N_135GammaBetaBackwardCUDAKernelTemplateIN3c104HalfEfLj32ELj16ELj128ELb0ELb1ELb1EEEvllPKT_S7_PKT0_SA_PS5_SB_.numbered_sgpr, 22
	.set _ZN2at6native12_GLOBAL__N_135GammaBetaBackwardCUDAKernelTemplateIN3c104HalfEfLj32ELj16ELj128ELb0ELb1ELb1EEEvllPKT_S7_PKT0_SA_PS5_SB_.num_named_barrier, 0
	.set _ZN2at6native12_GLOBAL__N_135GammaBetaBackwardCUDAKernelTemplateIN3c104HalfEfLj32ELj16ELj128ELb0ELb1ELb1EEEvllPKT_S7_PKT0_SA_PS5_SB_.private_seg_size, 0
	.set _ZN2at6native12_GLOBAL__N_135GammaBetaBackwardCUDAKernelTemplateIN3c104HalfEfLj32ELj16ELj128ELb0ELb1ELb1EEEvllPKT_S7_PKT0_SA_PS5_SB_.uses_vcc, 1
	.set _ZN2at6native12_GLOBAL__N_135GammaBetaBackwardCUDAKernelTemplateIN3c104HalfEfLj32ELj16ELj128ELb0ELb1ELb1EEEvllPKT_S7_PKT0_SA_PS5_SB_.uses_flat_scratch, 0
	.set _ZN2at6native12_GLOBAL__N_135GammaBetaBackwardCUDAKernelTemplateIN3c104HalfEfLj32ELj16ELj128ELb0ELb1ELb1EEEvllPKT_S7_PKT0_SA_PS5_SB_.has_dyn_sized_stack, 0
	.set _ZN2at6native12_GLOBAL__N_135GammaBetaBackwardCUDAKernelTemplateIN3c104HalfEfLj32ELj16ELj128ELb0ELb1ELb1EEEvllPKT_S7_PKT0_SA_PS5_SB_.has_recursion, 0
	.set _ZN2at6native12_GLOBAL__N_135GammaBetaBackwardCUDAKernelTemplateIN3c104HalfEfLj32ELj16ELj128ELb0ELb1ELb1EEEvllPKT_S7_PKT0_SA_PS5_SB_.has_indirect_call, 0
	.section	.AMDGPU.csdata,"",@progbits
; Kernel info:
; codeLenInByte = 1708
; TotalNumSgprs: 24
; NumVgprs: 41
; ScratchSize: 0
; MemoryBound: 0
; FloatMode: 240
; IeeeMode: 1
; LDSByteSize: 0 bytes/workgroup (compile time only)
; SGPRBlocks: 0
; VGPRBlocks: 5
; NumSGPRsForWavesPerEU: 24
; NumVGPRsForWavesPerEU: 41
; Occupancy: 16
; WaveLimiterHint : 0
; COMPUTE_PGM_RSRC2:SCRATCH_EN: 0
; COMPUTE_PGM_RSRC2:USER_SGPR: 6
; COMPUTE_PGM_RSRC2:TRAP_HANDLER: 0
; COMPUTE_PGM_RSRC2:TGID_X_EN: 1
; COMPUTE_PGM_RSRC2:TGID_Y_EN: 1
; COMPUTE_PGM_RSRC2:TGID_Z_EN: 0
; COMPUTE_PGM_RSRC2:TIDIG_COMP_CNT: 1
	.section	.text._ZN2at6native12_GLOBAL__N_135GammaBetaBackwardCUDAKernelTemplateIN3c104HalfEfLj32ELj16ELj128ELb0ELb0ELb1EEEvllPKT_S7_PKT0_SA_PS5_SB_,"axG",@progbits,_ZN2at6native12_GLOBAL__N_135GammaBetaBackwardCUDAKernelTemplateIN3c104HalfEfLj32ELj16ELj128ELb0ELb0ELb1EEEvllPKT_S7_PKT0_SA_PS5_SB_,comdat
	.globl	_ZN2at6native12_GLOBAL__N_135GammaBetaBackwardCUDAKernelTemplateIN3c104HalfEfLj32ELj16ELj128ELb0ELb0ELb1EEEvllPKT_S7_PKT0_SA_PS5_SB_ ; -- Begin function _ZN2at6native12_GLOBAL__N_135GammaBetaBackwardCUDAKernelTemplateIN3c104HalfEfLj32ELj16ELj128ELb0ELb0ELb1EEEvllPKT_S7_PKT0_SA_PS5_SB_
	.p2align	8
	.type	_ZN2at6native12_GLOBAL__N_135GammaBetaBackwardCUDAKernelTemplateIN3c104HalfEfLj32ELj16ELj128ELb0ELb0ELb1EEEvllPKT_S7_PKT0_SA_PS5_SB_,@function
_ZN2at6native12_GLOBAL__N_135GammaBetaBackwardCUDAKernelTemplateIN3c104HalfEfLj32ELj16ELj128ELb0ELb0ELb1EEEvllPKT_S7_PKT0_SA_PS5_SB_: ; @_ZN2at6native12_GLOBAL__N_135GammaBetaBackwardCUDAKernelTemplateIN3c104HalfEfLj32ELj16ELj128ELb0ELb0ELb1EEEvllPKT_S7_PKT0_SA_PS5_SB_
; %bb.0:
	s_clause 0x1
	s_load_dwordx8 s[8:15], s[4:5], 0x0
	s_load_dwordx2 s[2:3], s[4:5], 0x28
	s_lshl_b32 s26, s6, 5
	s_mov_b32 s17, 0
	s_or_b32 s16, s26, 31
	s_waitcnt lgkmcnt(0)
	v_cmp_le_i64_e64 s0, s[10:11], s[16:17]
	s_lshl_b32 s16, s7, 7
	v_cmp_gt_i64_e64 s7, s[8:9], s[16:17]
	s_and_b32 vcc_lo, exec_lo, s0
	v_cndmask_b32_e64 v2, 0, 1, s7
	v_cmp_ne_u32_e64 s0, 1, v2
	s_cbranch_vccz .LBB182_49
; %bb.1:
	v_mov_b32_e32 v85, 0
	s_and_b32 vcc_lo, exec_lo, s0
	s_cbranch_vccnz .LBB182_50
; %bb.2:
	v_lshlrev_b32_e32 v21, 3, v1
	v_mov_b32_e32 v2, 0
	v_add_nc_u32_e32 v5, s26, v0
	s_load_dword s1, s[4:5], 0x44
	s_add_u32 s18, s4, 64
	v_add_co_u32 v11, s0, v21, s16
	v_add_co_ci_u32_e64 v12, null, 0, 0, s0
	v_mov_b32_e32 v6, v2
	v_mul_lo_u32 v7, s11, v11
	v_mad_u64_u32 v[3:4], null, s10, v11, 0
	v_mul_lo_u32 v8, s10, v12
	v_cmp_gt_i64_e64 s0, s[10:11], v[5:6]
	v_lshlrev_b64 v[19:20], 1, v[5:6]
	s_addc_u32 s19, s5, 0
	v_mov_b32_e32 v54, 0
	s_mov_b64 s[24:25], s[16:17]
	v_add3_u32 v4, v4, v8, v7
	v_add_co_u32 v7, vcc_lo, v11, 7
	v_add_co_ci_u32_e64 v8, null, 0, v12, vcc_lo
	v_lshlrev_b64 v[5:6], 1, v[3:4]
	v_mul_lo_u32 v13, s11, v7
	s_waitcnt lgkmcnt(0)
	s_lshl_b32 s27, s1, 7
	v_mul_lo_u32 v14, s10, v8
	v_mad_u64_u32 v[7:8], null, s10, v7, 0
	v_add_co_u32 v22, vcc_lo, s12, v5
	v_add_co_ci_u32_e64 v23, null, s13, v6, vcc_lo
	v_add_co_u32 v9, vcc_lo, v11, 6
	v_add_co_ci_u32_e64 v10, null, 0, v12, vcc_lo
	v_add_co_u32 v24, vcc_lo, s14, v5
	v_mul_lo_u32 v15, s11, v9
	v_mul_lo_u32 v16, s10, v10
	v_mad_u64_u32 v[9:10], null, s10, v9, 0
	v_add3_u32 v8, v8, v14, v13
	v_add_co_ci_u32_e64 v25, null, s15, v6, vcc_lo
	v_add_co_u32 v13, vcc_lo, v11, 5
	v_add_co_ci_u32_e64 v14, null, 0, v12, vcc_lo
	v_add3_u32 v10, v10, v16, v15
	v_lshlrev_b64 v[5:6], 1, v[7:8]
	v_mul_lo_u32 v15, s11, v13
	v_mul_lo_u32 v14, s10, v14
	s_mul_i32 s1, s11, s27
	v_lshlrev_b64 v[7:8], 1, v[9:10]
	v_mad_u64_u32 v[9:10], null, s10, v13, 0
	v_add_co_u32 v26, vcc_lo, s12, v5
	v_add_co_ci_u32_e64 v27, null, s13, v6, vcc_lo
	v_add_co_u32 v28, vcc_lo, s14, v5
	v_add_co_ci_u32_e64 v29, null, s15, v6, vcc_lo
	v_add_co_u32 v30, vcc_lo, s12, v7
	v_add3_u32 v10, v10, v14, v15
	s_mul_hi_u32 s20, s10, s27
	v_add_co_ci_u32_e64 v31, null, s13, v8, vcc_lo
	v_add_co_u32 v13, vcc_lo, v11, 4
	s_add_i32 s21, s20, s1
	v_add_co_u32 v32, s1, s14, v7
	v_add_co_ci_u32_e64 v7, null, 0, v12, vcc_lo
	v_lshlrev_b64 v[5:6], 1, v[9:10]
	v_add_co_u32 v9, vcc_lo, v11, 3
	v_add_co_ci_u32_e64 v10, null, 0, v12, vcc_lo
	v_add_co_ci_u32_e64 v33, null, s15, v8, s1
	v_mul_lo_u32 v14, s11, v13
	v_mul_lo_u32 v15, s10, v7
	v_mad_u64_u32 v[7:8], null, s10, v13, 0
	v_mul_lo_u32 v13, s11, v9
	v_mul_lo_u32 v16, s10, v10
	v_mad_u64_u32 v[9:10], null, s10, v9, 0
	v_add_co_u32 v34, vcc_lo, s12, v5
	v_add_co_ci_u32_e64 v35, null, s13, v6, vcc_lo
	v_add3_u32 v8, v8, v15, v14
	v_add_co_u32 v36, vcc_lo, s14, v5
	v_add_co_ci_u32_e64 v37, null, s15, v6, vcc_lo
	v_add_co_u32 v11, vcc_lo, v11, 2
	v_add3_u32 v10, v10, v16, v13
	v_add_co_ci_u32_e64 v12, null, 0, v12, vcc_lo
	v_lshlrev_b64 v[5:6], 1, v[7:8]
	v_mul_lo_u32 v13, s11, v11
	v_lshlrev_b64 v[7:8], 1, v[9:10]
	v_mul_lo_u32 v12, s10, v12
	v_mad_u64_u32 v[9:10], null, s10, v11, 0
	v_add_co_u32 v38, vcc_lo, s12, v5
	v_add_co_ci_u32_e64 v39, null, s13, v6, vcc_lo
	v_add_co_u32 v40, vcc_lo, s14, v5
	v_add_co_ci_u32_e64 v41, null, s15, v6, vcc_lo
	;; [unrolled: 2-line block ×3, first 2 shown]
	v_add3_u32 v10, v10, v12, v13
	v_add_co_u32 v44, vcc_lo, s14, v7
	v_add_co_ci_u32_e64 v45, null, s15, v8, vcc_lo
	v_add_co_u32 v3, vcc_lo, v3, s10
	v_add_co_ci_u32_e64 v4, null, s11, v4, vcc_lo
	v_lshlrev_b64 v[5:6], 1, v[9:10]
	s_mul_i32 s20, s10, s27
	v_lshlrev_b64 v[3:4], 1, v[3:4]
	s_lshl_b64 s[20:21], s[20:21], 1
	s_add_u32 s22, s16, 0x7f
	v_add_co_u32 v46, vcc_lo, s12, v5
	v_add_co_ci_u32_e64 v47, null, s13, v6, vcc_lo
	v_add_co_u32 v48, vcc_lo, s14, v5
	v_add_co_ci_u32_e64 v49, null, s15, v6, vcc_lo
	;; [unrolled: 2-line block ×4, first 2 shown]
	s_addc_u32 s23, 0, 0
.LBB182_3:                              ; =>This Inner Loop Header: Depth=1
	v_cmp_ge_i64_e64 s1, s[22:23], s[8:9]
	v_add_co_u32 v55, s28, v21, s22
	v_add_co_ci_u32_e64 v56, null, 0, s23, s28
                                        ; implicit-def: $vgpr3_vgpr4_vgpr5_vgpr6_vgpr7_vgpr8_vgpr9_vgpr10
                                        ; implicit-def: $vgpr85
                                        ; implicit-def: $vgpr11_vgpr12_vgpr13_vgpr14_vgpr15_vgpr16_vgpr17_vgpr18
                                        ; implicit-def: $vgpr3
	s_and_b32 vcc_lo, exec_lo, s1
	s_mov_b32 s1, -1
	s_cbranch_vccz .LBB182_25
; %bb.4:                                ;   in Loop: Header=BB182_3 Depth=1
	s_load_dword s1, s[18:19], 0xc
	v_mov_b32_e32 v57, 0
	s_waitcnt lgkmcnt(0)
	s_and_b32 s1, s1, 0xffff
	v_mad_u32_u24 v3, v1, s1, v0
	s_mov_b32 s1, exec_lo
	v_and_b32_e32 v3, 31, v3
	v_cmpx_gt_u32_e32 8, v3
	s_cbranch_execz .LBB182_8
; %bb.5:                                ;   in Loop: Header=BB182_3 Depth=1
	v_add_co_u32 v3, vcc_lo, v55, v3
	v_add_co_ci_u32_e64 v4, null, 0, v56, vcc_lo
	v_mov_b32_e32 v57, 0
	v_add_co_u32 v3, vcc_lo, 0xffffff81, v3
	v_add_co_ci_u32_e64 v4, null, -1, v4, vcc_lo
	s_mov_b32 s28, exec_lo
	v_cmpx_gt_i64_e64 s[8:9], v[3:4]
	s_cbranch_execz .LBB182_7
; %bb.6:                                ;   in Loop: Header=BB182_3 Depth=1
	v_lshlrev_b64 v[3:4], 2, v[3:4]
	v_add_co_u32 v3, vcc_lo, s2, v3
	v_add_co_ci_u32_e64 v4, null, s3, v4, vcc_lo
	global_load_dword v57, v[3:4], off
.LBB182_7:                              ;   in Loop: Header=BB182_3 Depth=1
	s_or_b32 exec_lo, exec_lo, s28
.LBB182_8:                              ;   in Loop: Header=BB182_3 Depth=1
	s_or_b32 exec_lo, exec_lo, s1
	v_add_co_u32 v10, vcc_lo, 0xffffff81, v55
	v_add_co_ci_u32_e64 v11, null, -1, v56, vcc_lo
	v_mov_b32_e32 v9, v2
	v_mov_b32_e32 v3, v2
	;; [unrolled: 1-line block ×7, first 2 shown]
	v_cmp_gt_i64_e32 vcc_lo, s[8:9], v[10:11]
	v_mov_b32_e32 v18, v9
	v_mov_b32_e32 v15, v6
	;; [unrolled: 1-line block ×16, first 2 shown]
	s_and_b32 s28, s0, vcc_lo
	s_and_saveexec_b32 s1, s28
	s_cbranch_execz .LBB182_10
; %bb.9:                                ;   in Loop: Header=BB182_3 Depth=1
	v_add_co_u32 v3, vcc_lo, v22, v19
	v_add_co_ci_u32_e64 v4, null, v23, v20, vcc_lo
	v_add_co_u32 v5, vcc_lo, v24, v19
	v_add_co_ci_u32_e64 v6, null, v25, v20, vcc_lo
	global_load_ushort v3, v[3:4], off
	global_load_ushort v11, v[5:6], off
	v_mov_b32_e32 v4, v2
	v_mov_b32_e32 v5, v2
	;; [unrolled: 1-line block ×14, first 2 shown]
	s_waitcnt vmcnt(1)
	v_cvt_f32_f16_e32 v3, v3
	s_waitcnt vmcnt(0)
	v_cvt_f32_f16_e32 v11, v11
.LBB182_10:                             ;   in Loop: Header=BB182_3 Depth=1
	s_or_b32 exec_lo, exec_lo, s1
	v_add_co_u32 v58, vcc_lo, 0xffffff82, v55
	v_add_co_ci_u32_e64 v59, null, -1, v56, vcc_lo
	v_cmp_gt_i64_e32 vcc_lo, s[8:9], v[58:59]
	s_and_b32 s28, s0, vcc_lo
	s_and_saveexec_b32 s1, s28
	s_cbranch_execz .LBB182_12
; %bb.11:                               ;   in Loop: Header=BB182_3 Depth=1
	v_add_co_u32 v58, vcc_lo, v50, v19
	v_add_co_ci_u32_e64 v59, null, v51, v20, vcc_lo
	v_add_co_u32 v60, vcc_lo, v52, v19
	v_add_co_ci_u32_e64 v61, null, v53, v20, vcc_lo
	global_load_ushort v4, v[58:59], off
	global_load_ushort v12, v[60:61], off
	s_waitcnt vmcnt(1)
	v_cvt_f32_f16_e32 v4, v4
	s_waitcnt vmcnt(0)
	v_cvt_f32_f16_e32 v12, v12
.LBB182_12:                             ;   in Loop: Header=BB182_3 Depth=1
	s_or_b32 exec_lo, exec_lo, s1
	v_add_co_u32 v58, vcc_lo, 0xffffff83, v55
	v_add_co_ci_u32_e64 v59, null, -1, v56, vcc_lo
	v_cmp_gt_i64_e32 vcc_lo, s[8:9], v[58:59]
	s_and_b32 s28, s0, vcc_lo
	s_and_saveexec_b32 s1, s28
	s_cbranch_execz .LBB182_14
; %bb.13:                               ;   in Loop: Header=BB182_3 Depth=1
	v_add_co_u32 v58, vcc_lo, v46, v19
	v_add_co_ci_u32_e64 v59, null, v47, v20, vcc_lo
	v_add_co_u32 v60, vcc_lo, v48, v19
	v_add_co_ci_u32_e64 v61, null, v49, v20, vcc_lo
	global_load_ushort v5, v[58:59], off
	global_load_ushort v13, v[60:61], off
	s_waitcnt vmcnt(1)
	v_cvt_f32_f16_e32 v5, v5
	s_waitcnt vmcnt(0)
	v_cvt_f32_f16_e32 v13, v13
.LBB182_14:                             ;   in Loop: Header=BB182_3 Depth=1
	;; [unrolled: 19-line block ×7, first 2 shown]
	s_or_b32 exec_lo, exec_lo, s1
	s_waitcnt vmcnt(0)
	ds_bpermute_b32 v58, v2, v57
	ds_bpermute_b32 v59, v2, v57 offset:4
	ds_bpermute_b32 v60, v2, v57 offset:8
	v_mul_f32_e32 v3, v11, v3
	ds_bpermute_b32 v11, v2, v57 offset:12
	v_mul_f32_e32 v4, v12, v4
	;; [unrolled: 2-line block ×3, first 2 shown]
	s_mov_b32 s1, 0
	s_waitcnt lgkmcnt(4)
	v_fma_f32 v85, v3, v58, v54
	v_mul_f32_e32 v3, v13, v5
	ds_bpermute_b32 v5, v2, v57 offset:20
	s_waitcnt lgkmcnt(4)
	v_fmac_f32_e32 v85, v4, v59
	v_mul_f32_e32 v4, v14, v6
	ds_bpermute_b32 v6, v2, v57 offset:24
	s_waitcnt lgkmcnt(4)
	v_fmac_f32_e32 v85, v3, v60
	ds_bpermute_b32 v3, v2, v57 offset:28
	s_waitcnt lgkmcnt(4)
	v_fmac_f32_e32 v85, v4, v11
	v_mul_f32_e32 v4, v16, v8
	s_waitcnt lgkmcnt(3)
	v_fmac_f32_e32 v85, v7, v12
	s_waitcnt lgkmcnt(2)
	v_fmac_f32_e32 v85, v4, v5
	v_mul_f32_e32 v4, v17, v9
	s_waitcnt lgkmcnt(1)
	v_fmac_f32_e32 v85, v4, v6
.LBB182_25:                             ;   in Loop: Header=BB182_3 Depth=1
	s_and_b32 vcc_lo, exec_lo, s1
	s_cbranch_vccz .LBB182_40
; %bb.26:                               ;   in Loop: Header=BB182_3 Depth=1
	s_load_dword s1, s[18:19], 0x0
	v_mov_b32_e32 v57, 0
	s_waitcnt lgkmcnt(0)
	s_cmp_lt_u32 s6, s1
	s_cselect_b32 s1, 12, 18
	s_add_u32 s28, s18, s1
	s_addc_u32 s29, s19, 0
	s_mov_b32 s1, exec_lo
	global_load_ushort v3, v2, s[28:29]
	s_waitcnt vmcnt(0)
	v_mad_u32_u24 v3, v1, v3, v0
	v_and_b32_e32 v3, 31, v3
	v_cmpx_gt_u32_e32 8, v3
	s_cbranch_execz .LBB182_30
; %bb.27:                               ;   in Loop: Header=BB182_3 Depth=1
	v_add_co_u32 v3, vcc_lo, v55, v3
	v_add_co_ci_u32_e64 v4, null, 0, v56, vcc_lo
	v_mov_b32_e32 v57, 0
	v_add_co_u32 v3, vcc_lo, 0xffffff81, v3
	v_add_co_ci_u32_e64 v4, null, -1, v4, vcc_lo
	s_mov_b32 s28, exec_lo
	v_cmpx_gt_i64_e64 s[8:9], v[3:4]
	s_cbranch_execz .LBB182_29
; %bb.28:                               ;   in Loop: Header=BB182_3 Depth=1
	v_lshlrev_b64 v[3:4], 2, v[3:4]
	v_add_co_u32 v3, vcc_lo, s2, v3
	v_add_co_ci_u32_e64 v4, null, s3, v4, vcc_lo
	global_load_dword v57, v[3:4], off
.LBB182_29:                             ;   in Loop: Header=BB182_3 Depth=1
	s_or_b32 exec_lo, exec_lo, s28
.LBB182_30:                             ;   in Loop: Header=BB182_3 Depth=1
	s_or_b32 exec_lo, exec_lo, s1
	v_mov_b32_e32 v9, v2
	v_mov_b32_e32 v3, v2
	;; [unrolled: 1-line block ×23, first 2 shown]
	s_and_saveexec_b32 s1, s0
	s_cbranch_execnz .LBB182_42
; %bb.31:                               ;   in Loop: Header=BB182_3 Depth=1
	s_or_b32 exec_lo, exec_lo, s1
	s_and_saveexec_b32 s1, s0
	s_cbranch_execnz .LBB182_43
.LBB182_32:                             ;   in Loop: Header=BB182_3 Depth=1
	s_or_b32 exec_lo, exec_lo, s1
	s_and_saveexec_b32 s1, s0
	s_cbranch_execnz .LBB182_44
.LBB182_33:                             ;   in Loop: Header=BB182_3 Depth=1
	s_or_b32 exec_lo, exec_lo, s1
	s_and_saveexec_b32 s1, s0
	s_cbranch_execnz .LBB182_45
.LBB182_34:                             ;   in Loop: Header=BB182_3 Depth=1
	s_or_b32 exec_lo, exec_lo, s1
	s_and_saveexec_b32 s1, s0
	s_cbranch_execnz .LBB182_46
.LBB182_35:                             ;   in Loop: Header=BB182_3 Depth=1
	s_or_b32 exec_lo, exec_lo, s1
	s_and_saveexec_b32 s1, s0
	s_cbranch_execnz .LBB182_47
.LBB182_36:                             ;   in Loop: Header=BB182_3 Depth=1
	s_or_b32 exec_lo, exec_lo, s1
	s_and_saveexec_b32 s1, s0
	s_cbranch_execnz .LBB182_48
.LBB182_37:                             ;   in Loop: Header=BB182_3 Depth=1
	s_or_b32 exec_lo, exec_lo, s1
	s_and_saveexec_b32 s1, s0
	s_cbranch_execz .LBB182_39
.LBB182_38:                             ;   in Loop: Header=BB182_3 Depth=1
	v_add_co_u32 v55, vcc_lo, v26, v19
	v_add_co_ci_u32_e64 v56, null, v27, v20, vcc_lo
	v_add_co_u32 v58, vcc_lo, v28, v19
	v_add_co_ci_u32_e64 v59, null, v29, v20, vcc_lo
	global_load_ushort v10, v[55:56], off
	global_load_ushort v18, v[58:59], off
	s_waitcnt vmcnt(1)
	v_cvt_f32_f16_e32 v10, v10
	s_waitcnt vmcnt(0)
	v_cvt_f32_f16_e32 v18, v18
.LBB182_39:                             ;   in Loop: Header=BB182_3 Depth=1
	s_or_b32 exec_lo, exec_lo, s1
	s_waitcnt vmcnt(0)
	ds_bpermute_b32 v55, v2, v57
	ds_bpermute_b32 v56, v2, v57 offset:4
	ds_bpermute_b32 v58, v2, v57 offset:8
	v_mul_f32_e32 v3, v11, v3
	ds_bpermute_b32 v11, v2, v57 offset:12
	v_mul_f32_e32 v4, v12, v4
	ds_bpermute_b32 v12, v2, v57 offset:16
	s_waitcnt lgkmcnt(4)
	v_fmac_f32_e32 v54, v3, v55
	v_mul_f32_e32 v3, v13, v5
	ds_bpermute_b32 v5, v2, v57 offset:20
	s_waitcnt lgkmcnt(4)
	v_fmac_f32_e32 v54, v4, v56
	;; [unrolled: 4-line block ×3, first 2 shown]
	v_mul_f32_e32 v3, v15, v7
	s_waitcnt lgkmcnt(3)
	v_fmac_f32_e32 v54, v4, v11
	v_mul_f32_e32 v4, v16, v8
	s_waitcnt lgkmcnt(2)
	v_fmac_f32_e32 v54, v3, v12
	ds_bpermute_b32 v3, v2, v57 offset:28
	s_waitcnt lgkmcnt(2)
	v_fmac_f32_e32 v54, v4, v5
	v_mul_f32_e32 v4, v17, v9
	s_waitcnt lgkmcnt(1)
	v_fmac_f32_e32 v54, v4, v6
	v_mov_b32_e32 v85, v54
.LBB182_40:                             ;   in Loop: Header=BB182_3 Depth=1
	v_add_co_u32 v22, vcc_lo, v22, s20
	v_add_co_ci_u32_e64 v23, null, s21, v23, vcc_lo
	v_add_co_u32 v24, vcc_lo, v24, s20
	v_add_co_ci_u32_e64 v25, null, s21, v25, vcc_lo
	;; [unrolled: 2-line block ×12, first 2 shown]
	v_add_co_u32 v46, vcc_lo, v46, s20
	s_add_u32 s24, s24, s27
	v_add_co_ci_u32_e64 v47, null, s21, v47, vcc_lo
	v_add_co_u32 v48, vcc_lo, v48, s20
	v_mul_f32_e32 v4, v10, v18
	s_addc_u32 s25, s25, 0
	v_add_co_ci_u32_e64 v49, null, s21, v49, vcc_lo
	v_add_co_u32 v50, vcc_lo, v50, s20
	v_cmp_lt_i64_e64 s1, s[24:25], s[8:9]
	v_add_co_ci_u32_e64 v51, null, s21, v51, vcc_lo
	v_add_co_u32 v52, vcc_lo, v52, s20
	s_waitcnt lgkmcnt(0)
	v_fmac_f32_e32 v85, v4, v3
	v_add_co_ci_u32_e64 v53, null, s21, v53, vcc_lo
	s_add_u32 s22, s22, s27
	s_addc_u32 s23, s23, 0
	s_and_b32 vcc_lo, exec_lo, s1
	s_cbranch_vccz .LBB182_50
; %bb.41:                               ;   in Loop: Header=BB182_3 Depth=1
	v_mov_b32_e32 v54, v85
	s_branch .LBB182_3
.LBB182_42:                             ;   in Loop: Header=BB182_3 Depth=1
	v_add_co_u32 v3, vcc_lo, v22, v19
	v_add_co_ci_u32_e64 v4, null, v23, v20, vcc_lo
	v_add_co_u32 v5, vcc_lo, v24, v19
	v_add_co_ci_u32_e64 v6, null, v25, v20, vcc_lo
	global_load_ushort v3, v[3:4], off
	global_load_ushort v11, v[5:6], off
	v_mov_b32_e32 v4, v2
	v_mov_b32_e32 v5, v2
	;; [unrolled: 1-line block ×14, first 2 shown]
	s_waitcnt vmcnt(1)
	v_cvt_f32_f16_e32 v3, v3
	s_waitcnt vmcnt(0)
	v_cvt_f32_f16_e32 v11, v11
	s_or_b32 exec_lo, exec_lo, s1
	s_and_saveexec_b32 s1, s0
	s_cbranch_execz .LBB182_32
.LBB182_43:                             ;   in Loop: Header=BB182_3 Depth=1
	v_add_co_u32 v55, vcc_lo, v50, v19
	v_add_co_ci_u32_e64 v56, null, v51, v20, vcc_lo
	v_add_co_u32 v58, vcc_lo, v52, v19
	v_add_co_ci_u32_e64 v59, null, v53, v20, vcc_lo
	global_load_ushort v4, v[55:56], off
	global_load_ushort v12, v[58:59], off
	s_waitcnt vmcnt(1)
	v_cvt_f32_f16_e32 v4, v4
	s_waitcnt vmcnt(0)
	v_cvt_f32_f16_e32 v12, v12
	s_or_b32 exec_lo, exec_lo, s1
	s_and_saveexec_b32 s1, s0
	s_cbranch_execz .LBB182_33
.LBB182_44:                             ;   in Loop: Header=BB182_3 Depth=1
	v_add_co_u32 v55, vcc_lo, v46, v19
	v_add_co_ci_u32_e64 v56, null, v47, v20, vcc_lo
	v_add_co_u32 v58, vcc_lo, v48, v19
	v_add_co_ci_u32_e64 v59, null, v49, v20, vcc_lo
	global_load_ushort v5, v[55:56], off
	global_load_ushort v13, v[58:59], off
	s_waitcnt vmcnt(1)
	v_cvt_f32_f16_e32 v5, v5
	s_waitcnt vmcnt(0)
	v_cvt_f32_f16_e32 v13, v13
	s_or_b32 exec_lo, exec_lo, s1
	s_and_saveexec_b32 s1, s0
	s_cbranch_execz .LBB182_34
.LBB182_45:                             ;   in Loop: Header=BB182_3 Depth=1
	v_add_co_u32 v55, vcc_lo, v42, v19
	v_add_co_ci_u32_e64 v56, null, v43, v20, vcc_lo
	v_add_co_u32 v58, vcc_lo, v44, v19
	v_add_co_ci_u32_e64 v59, null, v45, v20, vcc_lo
	global_load_ushort v6, v[55:56], off
	global_load_ushort v14, v[58:59], off
	s_waitcnt vmcnt(1)
	v_cvt_f32_f16_e32 v6, v6
	s_waitcnt vmcnt(0)
	v_cvt_f32_f16_e32 v14, v14
	s_or_b32 exec_lo, exec_lo, s1
	s_and_saveexec_b32 s1, s0
	s_cbranch_execz .LBB182_35
.LBB182_46:                             ;   in Loop: Header=BB182_3 Depth=1
	v_add_co_u32 v55, vcc_lo, v38, v19
	v_add_co_ci_u32_e64 v56, null, v39, v20, vcc_lo
	v_add_co_u32 v58, vcc_lo, v40, v19
	v_add_co_ci_u32_e64 v59, null, v41, v20, vcc_lo
	global_load_ushort v7, v[55:56], off
	global_load_ushort v15, v[58:59], off
	s_waitcnt vmcnt(1)
	v_cvt_f32_f16_e32 v7, v7
	s_waitcnt vmcnt(0)
	v_cvt_f32_f16_e32 v15, v15
	s_or_b32 exec_lo, exec_lo, s1
	s_and_saveexec_b32 s1, s0
	s_cbranch_execz .LBB182_36
.LBB182_47:                             ;   in Loop: Header=BB182_3 Depth=1
	v_add_co_u32 v55, vcc_lo, v34, v19
	v_add_co_ci_u32_e64 v56, null, v35, v20, vcc_lo
	v_add_co_u32 v58, vcc_lo, v36, v19
	v_add_co_ci_u32_e64 v59, null, v37, v20, vcc_lo
	global_load_ushort v8, v[55:56], off
	global_load_ushort v16, v[58:59], off
	s_waitcnt vmcnt(1)
	v_cvt_f32_f16_e32 v8, v8
	s_waitcnt vmcnt(0)
	v_cvt_f32_f16_e32 v16, v16
	s_or_b32 exec_lo, exec_lo, s1
	s_and_saveexec_b32 s1, s0
	s_cbranch_execz .LBB182_37
.LBB182_48:                             ;   in Loop: Header=BB182_3 Depth=1
	v_add_co_u32 v55, vcc_lo, v30, v19
	v_add_co_ci_u32_e64 v56, null, v31, v20, vcc_lo
	v_add_co_u32 v58, vcc_lo, v32, v19
	v_add_co_ci_u32_e64 v59, null, v33, v20, vcc_lo
	global_load_ushort v9, v[55:56], off
	global_load_ushort v17, v[58:59], off
	s_waitcnt vmcnt(1)
	v_cvt_f32_f16_e32 v9, v9
	s_waitcnt vmcnt(0)
	v_cvt_f32_f16_e32 v17, v17
	s_or_b32 exec_lo, exec_lo, s1
	s_and_saveexec_b32 s1, s0
	s_cbranch_execnz .LBB182_38
	s_branch .LBB182_39
.LBB182_49:
                                        ; implicit-def: $vgpr85
	s_branch .LBB182_51
.LBB182_50:
	s_cbranch_execnz .LBB182_83
.LBB182_51:
	v_mov_b32_e32 v85, 0
	s_andn2_b32 vcc_lo, exec_lo, s7
	s_cbranch_vccnz .LBB182_83
; %bb.52:
	s_load_dword s7, s[4:5], 0x44
	v_lshlrev_b32_e32 v49, 3, v1
	v_lshlrev_b32_e32 v6, 4, v1
	v_mov_b32_e32 v82, 0
	v_add_co_u32 v10, s0, v49, s16
	v_add_co_ci_u32_e64 v11, null, 0, 0, s0
	s_add_u32 s0, s4, 64
	v_mul_lo_u32 v4, s11, v10
	v_mad_u64_u32 v[2:3], null, s10, v10, 0
	v_mul_lo_u32 v5, s10, v11
	s_addc_u32 s1, s5, 0
	s_waitcnt lgkmcnt(0)
	s_lshl_b32 s7, s7, 7
	v_add3_u32 v3, v3, v5, v4
	s_mul_i32 s19, s11, s7
	s_mul_hi_u32 s20, s10, s7
	s_mul_i32 s18, s10, s7
	s_add_i32 s19, s20, s19
	v_lshlrev_b64 v[4:5], 1, v[2:3]
	s_lshl_b64 s[18:19], s[18:19], 1
	s_add_u32 s20, s16, 0x7f
	s_addc_u32 s21, 0, 0
	s_lshl_b64 s[22:23], s[16:17], 1
	v_add_co_u32 v6, s22, v6, s22
	v_add_co_ci_u32_e64 v7, null, 0, s23, s22
	v_add_co_u32 v8, vcc_lo, v6, 2
	v_add_co_ci_u32_e64 v9, null, 0, v7, vcc_lo
	v_add_co_u32 v50, vcc_lo, s12, v4
	v_add_co_ci_u32_e64 v51, null, s13, v5, vcc_lo
	;; [unrolled: 2-line block ×6, first 2 shown]
	v_add_co_u32 v41, vcc_lo, v6, 10
	v_mad_u64_u32 v[21:22], null, s10, v4, s[12:13]
	v_mul_lo_u32 v5, s10, v5
	v_mul_lo_u32 v15, s11, v4
	v_mad_u64_u32 v[35:36], null, s10, v4, s[14:15]
	v_add_co_ci_u32_e64 v29, null, 0, v7, vcc_lo
	v_add_co_u32 v43, vcc_lo, v6, 12
	v_add_co_ci_u32_e64 v31, null, 0, v7, vcc_lo
	v_add_co_u32 v6, vcc_lo, v6, 14
	v_mad_u64_u32 v[19:20], null, s10, v8, s[12:13]
	v_mul_lo_u32 v9, s10, v9
	v_mul_lo_u32 v12, s11, v8
	v_mad_u64_u32 v[33:34], null, s10, v8, s[14:15]
	v_add_co_ci_u32_e64 v7, null, 0, v7, vcc_lo
	v_add_co_u32 v4, vcc_lo, v10, 7
	v_add3_u32 v22, v15, v22, v5
	v_add3_u32 v36, v15, v36, v5
	v_add_co_ci_u32_e64 v5, null, 0, v11, vcc_lo
	v_mul_lo_u32 v57, s10, v7
	v_add_co_u32 v7, vcc_lo, v10, 6
	v_add3_u32 v20, v12, v20, v9
	v_add3_u32 v34, v12, v34, v9
	v_add_co_ci_u32_e64 v12, null, 0, v11, vcc_lo
	v_mul_lo_u32 v8, s11, v4
	v_mul_lo_u32 v9, s10, v5
	v_mad_u64_u32 v[4:5], null, s10, v4, 0
	v_mad_u64_u32 v[23:24], null, s10, v13, s[12:13]
	v_mul_lo_u32 v17, s11, v13
	v_mul_lo_u32 v55, s10, v31
	v_mad_u64_u32 v[31:32], null, s10, v6, s[12:13]
	v_mul_lo_u32 v58, s11, v6
	v_mad_u64_u32 v[37:38], null, s10, v13, s[14:15]
	v_mad_u64_u32 v[45:46], null, s10, v6, s[14:15]
	v_mul_lo_u32 v13, s11, v7
	v_mul_lo_u32 v12, s10, v12
	v_mad_u64_u32 v[6:7], null, s10, v7, 0
	v_add3_u32 v5, v5, v9, v8
	v_add_co_u32 v8, vcc_lo, v10, 5
	v_mad_u64_u32 v[27:28], null, s10, v41, s[12:13]
	v_mul_lo_u32 v48, s10, v29
	v_mul_lo_u32 v54, s11, v41
	v_mad_u64_u32 v[41:42], null, s10, v41, s[14:15]
	v_add3_u32 v7, v7, v12, v13
	v_add_co_ci_u32_e64 v9, null, 0, v11, vcc_lo
	v_mad_u64_u32 v[29:30], null, s10, v43, s[12:13]
	v_mul_lo_u32 v56, s11, v43
	v_mad_u64_u32 v[43:44], null, s10, v43, s[14:15]
	v_lshlrev_b64 v[4:5], 1, v[4:5]
	v_lshlrev_b64 v[6:7], 1, v[6:7]
	v_mul_lo_u32 v12, s11, v8
	v_mul_lo_u32 v13, s10, v9
	v_mad_u64_u32 v[8:9], null, s10, v8, 0
	v_add3_u32 v28, v54, v28, v48
	v_add3_u32 v42, v54, v42, v48
	v_add_co_u32 v54, vcc_lo, s12, v4
	v_add3_u32 v30, v56, v30, v55
	v_add3_u32 v44, v56, v44, v55
	v_add_co_ci_u32_e64 v55, null, s13, v5, vcc_lo
	v_add_co_u32 v56, vcc_lo, s14, v4
	v_add3_u32 v32, v58, v32, v57
	v_add3_u32 v46, v58, v46, v57
	v_add_co_ci_u32_e64 v57, null, s15, v5, vcc_lo
	v_add_co_u32 v58, vcc_lo, s12, v6
	v_add_co_ci_u32_e64 v59, null, s13, v7, vcc_lo
	v_add3_u32 v9, v9, v13, v12
	v_add_co_u32 v12, vcc_lo, v10, 4
	v_add_co_ci_u32_e64 v13, null, 0, v11, vcc_lo
	v_add_co_u32 v60, vcc_lo, s14, v6
	v_add_co_ci_u32_e64 v61, null, s15, v7, vcc_lo
	v_lshlrev_b64 v[4:5], 1, v[8:9]
	v_mul_lo_u32 v8, s11, v12
	v_mul_lo_u32 v9, s10, v13
	v_mad_u64_u32 v[6:7], null, s10, v12, 0
	v_mul_lo_u32 v14, s10, v14
	v_add_co_u32 v12, vcc_lo, v10, 3
	v_add_co_ci_u32_e64 v13, null, 0, v11, vcc_lo
	v_add_co_u32 v62, vcc_lo, s12, v4
	v_add_co_ci_u32_e64 v63, null, s13, v5, vcc_lo
	v_add3_u32 v7, v7, v9, v8
	v_add_co_u32 v10, vcc_lo, v10, 2
	v_add3_u32 v24, v17, v24, v14
	v_add3_u32 v38, v17, v38, v14
	v_mul_lo_u32 v14, s11, v12
	v_mul_lo_u32 v13, s10, v13
	v_mad_u64_u32 v[8:9], null, s10, v12, 0
	v_add_co_ci_u32_e64 v11, null, 0, v11, vcc_lo
	v_add_co_u32 v64, vcc_lo, s14, v4
	v_add_co_ci_u32_e64 v65, null, s15, v5, vcc_lo
	v_lshlrev_b64 v[4:5], 1, v[6:7]
	v_mul_lo_u32 v12, s11, v10
	v_mul_lo_u32 v11, s10, v11
	v_mad_u64_u32 v[6:7], null, s10, v10, 0
	v_add3_u32 v9, v9, v13, v14
	v_add_co_u32 v66, vcc_lo, s12, v4
	v_add_co_ci_u32_e64 v67, null, s13, v5, vcc_lo
	v_add_co_u32 v68, vcc_lo, s14, v4
	v_add_co_ci_u32_e64 v69, null, s15, v5, vcc_lo
	v_lshlrev_b64 v[4:5], 1, v[8:9]
	v_add3_u32 v7, v7, v11, v12
	v_add_co_u32 v2, vcc_lo, v2, s10
	v_add_co_ci_u32_e64 v3, null, s11, v3, vcc_lo
	v_lshlrev_b64 v[6:7], 1, v[6:7]
	v_add_co_u32 v70, vcc_lo, s12, v4
	v_add_co_ci_u32_e64 v71, null, s13, v5, vcc_lo
	v_add_co_u32 v72, vcc_lo, s14, v4
	v_lshlrev_b64 v[3:4], 1, v[2:3]
	v_mov_b32_e32 v2, 0
	v_mad_u64_u32 v[25:26], null, s10, v16, s[12:13]
	v_mul_lo_u32 v18, s10, v18
	v_mul_lo_u32 v47, s11, v16
	v_mad_u64_u32 v[39:40], null, s10, v16, s[14:15]
	v_add_co_ci_u32_e64 v73, null, s15, v5, vcc_lo
	v_add_co_u32 v74, vcc_lo, s12, v6
	v_add_co_ci_u32_e64 v75, null, s13, v7, vcc_lo
	v_add_co_u32 v76, vcc_lo, s14, v6
	v_add_nc_u32_e32 v5, s26, v0
	v_mov_b32_e32 v6, v2
	v_add_co_ci_u32_e64 v77, null, s15, v7, vcc_lo
	v_add_co_u32 v78, vcc_lo, s12, v3
	v_add_co_ci_u32_e64 v79, null, s13, v4, vcc_lo
	v_add_co_u32 v80, vcc_lo, s14, v3
	v_add3_u32 v26, v47, v26, v18
	v_add3_u32 v40, v47, v40, v18
	v_lshlrev_b64 v[47:48], 1, v[5:6]
	v_add_co_ci_u32_e64 v81, null, s15, v4, vcc_lo
.LBB182_53:                             ; =>This Inner Loop Header: Depth=1
	v_cmp_ge_i64_e64 s12, s[20:21], s[8:9]
	v_add_co_u32 v83, s13, v49, s20
	v_add_co_ci_u32_e64 v84, null, 0, s21, s13
                                        ; implicit-def: $vgpr85
	s_and_b32 vcc_lo, exec_lo, s12
	s_mov_b32 s12, -1
	s_cbranch_vccz .LBB182_75
; %bb.54:                               ;   in Loop: Header=BB182_53 Depth=1
	s_load_dword s12, s[0:1], 0xc
	v_mov_b32_e32 v86, 0
	s_waitcnt lgkmcnt(0)
	s_and_b32 s12, s12, 0xffff
	v_mad_u32_u24 v3, v1, s12, v0
	s_mov_b32 s12, exec_lo
	v_and_b32_e32 v3, 31, v3
	v_cmpx_gt_u32_e32 8, v3
	s_cbranch_execz .LBB182_58
; %bb.55:                               ;   in Loop: Header=BB182_53 Depth=1
	v_add_co_u32 v3, vcc_lo, v83, v3
	v_add_co_ci_u32_e64 v4, null, 0, v84, vcc_lo
	v_mov_b32_e32 v86, 0
	v_add_co_u32 v3, vcc_lo, 0xffffff81, v3
	v_add_co_ci_u32_e64 v4, null, -1, v4, vcc_lo
	s_mov_b32 s13, exec_lo
	v_cmpx_gt_i64_e64 s[8:9], v[3:4]
	s_cbranch_execz .LBB182_57
; %bb.56:                               ;   in Loop: Header=BB182_53 Depth=1
	v_lshlrev_b64 v[3:4], 2, v[3:4]
	v_add_co_u32 v3, vcc_lo, s2, v3
	v_add_co_ci_u32_e64 v4, null, s3, v4, vcc_lo
	global_load_dword v86, v[3:4], off
.LBB182_57:                             ;   in Loop: Header=BB182_53 Depth=1
	s_or_b32 exec_lo, exec_lo, s13
.LBB182_58:                             ;   in Loop: Header=BB182_53 Depth=1
	s_or_b32 exec_lo, exec_lo, s12
	v_add_co_u32 v10, vcc_lo, 0xffffff81, v83
	v_add_co_ci_u32_e64 v11, null, -1, v84, vcc_lo
	v_mov_b32_e32 v9, v2
	v_mov_b32_e32 v3, v2
	;; [unrolled: 1-line block ×7, first 2 shown]
	v_cmp_gt_i64_e32 vcc_lo, s[8:9], v[10:11]
	v_mov_b32_e32 v18, v9
	v_mov_b32_e32 v15, v6
	v_mov_b32_e32 v16, v7
	v_mov_b32_e32 v17, v8
	v_mov_b32_e32 v14, v5
	v_mov_b32_e32 v13, v4
	v_mov_b32_e32 v12, v3
	v_mov_b32_e32 v11, v2
	v_mov_b32_e32 v10, v9
	v_mov_b32_e32 v9, v8
	v_mov_b32_e32 v8, v7
	v_mov_b32_e32 v7, v6
	v_mov_b32_e32 v6, v5
	v_mov_b32_e32 v5, v4
	v_mov_b32_e32 v4, v3
	v_mov_b32_e32 v3, v2
	s_and_saveexec_b32 s12, vcc_lo
	s_cbranch_execz .LBB182_60
; %bb.59:                               ;   in Loop: Header=BB182_53 Depth=1
	v_add_co_u32 v3, vcc_lo, v50, v47
	v_add_co_ci_u32_e64 v4, null, v51, v48, vcc_lo
	v_add_co_u32 v5, vcc_lo, v52, v47
	v_add_co_ci_u32_e64 v6, null, v53, v48, vcc_lo
	global_load_ushort v3, v[3:4], off
	global_load_ushort v11, v[5:6], off
	v_mov_b32_e32 v4, v2
	v_mov_b32_e32 v5, v2
	;; [unrolled: 1-line block ×14, first 2 shown]
	s_waitcnt vmcnt(1)
	v_cvt_f32_f16_e32 v3, v3
	s_waitcnt vmcnt(0)
	v_cvt_f32_f16_e32 v11, v11
.LBB182_60:                             ;   in Loop: Header=BB182_53 Depth=1
	s_or_b32 exec_lo, exec_lo, s12
	v_add_co_u32 v87, vcc_lo, 0xffffff82, v83
	v_add_co_ci_u32_e64 v88, null, -1, v84, vcc_lo
	s_mov_b32 s12, exec_lo
	v_cmpx_gt_i64_e64 s[8:9], v[87:88]
	s_cbranch_execz .LBB182_62
; %bb.61:                               ;   in Loop: Header=BB182_53 Depth=1
	v_add_co_u32 v87, vcc_lo, v78, v47
	v_add_co_ci_u32_e64 v88, null, v79, v48, vcc_lo
	v_add_co_u32 v89, vcc_lo, v80, v47
	v_add_co_ci_u32_e64 v90, null, v81, v48, vcc_lo
	global_load_ushort v4, v[87:88], off
	global_load_ushort v12, v[89:90], off
	s_waitcnt vmcnt(1)
	v_cvt_f32_f16_e32 v4, v4
	s_waitcnt vmcnt(0)
	v_cvt_f32_f16_e32 v12, v12
.LBB182_62:                             ;   in Loop: Header=BB182_53 Depth=1
	s_or_b32 exec_lo, exec_lo, s12
	v_add_co_u32 v87, vcc_lo, 0xffffff83, v83
	v_add_co_ci_u32_e64 v88, null, -1, v84, vcc_lo
	s_mov_b32 s12, exec_lo
	v_cmpx_gt_i64_e64 s[8:9], v[87:88]
	s_cbranch_execz .LBB182_64
; %bb.63:                               ;   in Loop: Header=BB182_53 Depth=1
	v_add_co_u32 v87, vcc_lo, v74, v47
	v_add_co_ci_u32_e64 v88, null, v75, v48, vcc_lo
	v_add_co_u32 v89, vcc_lo, v76, v47
	v_add_co_ci_u32_e64 v90, null, v77, v48, vcc_lo
	global_load_ushort v5, v[87:88], off
	global_load_ushort v13, v[89:90], off
	s_waitcnt vmcnt(1)
	v_cvt_f32_f16_e32 v5, v5
	s_waitcnt vmcnt(0)
	v_cvt_f32_f16_e32 v13, v13
.LBB182_64:                             ;   in Loop: Header=BB182_53 Depth=1
	s_or_b32 exec_lo, exec_lo, s12
	v_add_co_u32 v87, vcc_lo, 0xffffff84, v83
	v_add_co_ci_u32_e64 v88, null, -1, v84, vcc_lo
	s_mov_b32 s12, exec_lo
	v_cmpx_gt_i64_e64 s[8:9], v[87:88]
	s_cbranch_execz .LBB182_66
; %bb.65:                               ;   in Loop: Header=BB182_53 Depth=1
	v_add_co_u32 v87, vcc_lo, v70, v47
	v_add_co_ci_u32_e64 v88, null, v71, v48, vcc_lo
	v_add_co_u32 v89, vcc_lo, v72, v47
	v_add_co_ci_u32_e64 v90, null, v73, v48, vcc_lo
	global_load_ushort v6, v[87:88], off
	global_load_ushort v14, v[89:90], off
	s_waitcnt vmcnt(1)
	v_cvt_f32_f16_e32 v6, v6
	s_waitcnt vmcnt(0)
	v_cvt_f32_f16_e32 v14, v14
.LBB182_66:                             ;   in Loop: Header=BB182_53 Depth=1
	s_or_b32 exec_lo, exec_lo, s12
	v_add_co_u32 v87, vcc_lo, 0xffffff85, v83
	v_add_co_ci_u32_e64 v88, null, -1, v84, vcc_lo
	s_mov_b32 s12, exec_lo
	v_cmpx_gt_i64_e64 s[8:9], v[87:88]
	s_cbranch_execz .LBB182_68
; %bb.67:                               ;   in Loop: Header=BB182_53 Depth=1
	v_add_co_u32 v87, vcc_lo, v66, v47
	v_add_co_ci_u32_e64 v88, null, v67, v48, vcc_lo
	v_add_co_u32 v89, vcc_lo, v68, v47
	v_add_co_ci_u32_e64 v90, null, v69, v48, vcc_lo
	global_load_ushort v7, v[87:88], off
	global_load_ushort v15, v[89:90], off
	s_waitcnt vmcnt(1)
	v_cvt_f32_f16_e32 v7, v7
	s_waitcnt vmcnt(0)
	v_cvt_f32_f16_e32 v15, v15
.LBB182_68:                             ;   in Loop: Header=BB182_53 Depth=1
	s_or_b32 exec_lo, exec_lo, s12
	v_add_co_u32 v87, vcc_lo, 0xffffff86, v83
	v_add_co_ci_u32_e64 v88, null, -1, v84, vcc_lo
	s_mov_b32 s12, exec_lo
	v_cmpx_gt_i64_e64 s[8:9], v[87:88]
	s_cbranch_execz .LBB182_70
; %bb.69:                               ;   in Loop: Header=BB182_53 Depth=1
	v_add_co_u32 v87, vcc_lo, v62, v47
	v_add_co_ci_u32_e64 v88, null, v63, v48, vcc_lo
	v_add_co_u32 v89, vcc_lo, v64, v47
	v_add_co_ci_u32_e64 v90, null, v65, v48, vcc_lo
	global_load_ushort v8, v[87:88], off
	global_load_ushort v16, v[89:90], off
	s_waitcnt vmcnt(1)
	v_cvt_f32_f16_e32 v8, v8
	s_waitcnt vmcnt(0)
	v_cvt_f32_f16_e32 v16, v16
.LBB182_70:                             ;   in Loop: Header=BB182_53 Depth=1
	s_or_b32 exec_lo, exec_lo, s12
	v_add_co_u32 v87, vcc_lo, 0xffffff87, v83
	v_add_co_ci_u32_e64 v88, null, -1, v84, vcc_lo
	s_mov_b32 s12, exec_lo
	v_cmpx_gt_i64_e64 s[8:9], v[87:88]
	s_cbranch_execz .LBB182_72
; %bb.71:                               ;   in Loop: Header=BB182_53 Depth=1
	v_add_co_u32 v87, vcc_lo, v58, v47
	v_add_co_ci_u32_e64 v88, null, v59, v48, vcc_lo
	v_add_co_u32 v89, vcc_lo, v60, v47
	v_add_co_ci_u32_e64 v90, null, v61, v48, vcc_lo
	global_load_ushort v9, v[87:88], off
	global_load_ushort v17, v[89:90], off
	s_waitcnt vmcnt(1)
	v_cvt_f32_f16_e32 v9, v9
	s_waitcnt vmcnt(0)
	v_cvt_f32_f16_e32 v17, v17
.LBB182_72:                             ;   in Loop: Header=BB182_53 Depth=1
	s_or_b32 exec_lo, exec_lo, s12
	v_add_co_u32 v87, vcc_lo, 0xffffff88, v83
	v_add_co_ci_u32_e64 v88, null, -1, v84, vcc_lo
	s_mov_b32 s12, exec_lo
	v_cmpx_gt_i64_e64 s[8:9], v[87:88]
	s_cbranch_execz .LBB182_74
; %bb.73:                               ;   in Loop: Header=BB182_53 Depth=1
	v_add_co_u32 v87, vcc_lo, v54, v47
	v_add_co_ci_u32_e64 v88, null, v55, v48, vcc_lo
	v_add_co_u32 v89, vcc_lo, v56, v47
	v_add_co_ci_u32_e64 v90, null, v57, v48, vcc_lo
	global_load_ushort v10, v[87:88], off
	global_load_ushort v18, v[89:90], off
	s_waitcnt vmcnt(1)
	v_cvt_f32_f16_e32 v10, v10
	s_waitcnt vmcnt(0)
	v_cvt_f32_f16_e32 v18, v18
.LBB182_74:                             ;   in Loop: Header=BB182_53 Depth=1
	s_or_b32 exec_lo, exec_lo, s12
	s_waitcnt vmcnt(0)
	ds_bpermute_b32 v85, v2, v86
	ds_bpermute_b32 v87, v2, v86 offset:4
	ds_bpermute_b32 v88, v2, v86 offset:8
	v_mul_f32_e32 v3, v11, v3
	ds_bpermute_b32 v11, v2, v86 offset:12
	v_mul_f32_e32 v4, v12, v4
	ds_bpermute_b32 v12, v2, v86 offset:16
	s_mov_b32 s12, 0
	s_waitcnt lgkmcnt(4)
	v_fma_f32 v85, v3, v85, v82
	v_mul_f32_e32 v3, v13, v5
	ds_bpermute_b32 v5, v2, v86 offset:20
	s_waitcnt lgkmcnt(4)
	v_fmac_f32_e32 v85, v4, v87
	v_mul_f32_e32 v4, v14, v6
	ds_bpermute_b32 v6, v2, v86 offset:24
	s_waitcnt lgkmcnt(4)
	v_fmac_f32_e32 v85, v3, v88
	v_mul_f32_e32 v3, v15, v7
	v_mul_f32_e32 v7, v16, v8
	s_waitcnt lgkmcnt(3)
	v_fmac_f32_e32 v85, v4, v11
	ds_bpermute_b32 v4, v2, v86 offset:28
	s_waitcnt lgkmcnt(3)
	v_fmac_f32_e32 v85, v3, v12
	v_mul_f32_e32 v3, v17, v9
	s_waitcnt lgkmcnt(2)
	v_fmac_f32_e32 v85, v7, v5
	s_waitcnt lgkmcnt(1)
	v_fmac_f32_e32 v85, v3, v6
	v_mul_f32_e32 v3, v18, v10
	s_waitcnt lgkmcnt(0)
	v_fmac_f32_e32 v85, v3, v4
.LBB182_75:                             ;   in Loop: Header=BB182_53 Depth=1
	s_and_b32 vcc_lo, exec_lo, s12
	s_cbranch_vccz .LBB182_81
; %bb.76:                               ;   in Loop: Header=BB182_53 Depth=1
	s_load_dword s12, s[0:1], 0x0
	v_mov_b32_e32 v5, 0
	s_waitcnt lgkmcnt(0)
	s_cmp_lt_u32 s6, s12
	s_cselect_b32 s12, 12, 18
	s_add_u32 s12, s0, s12
	s_addc_u32 s13, s1, 0
	global_load_ushort v3, v2, s[12:13]
	s_mov_b32 s12, exec_lo
	s_waitcnt vmcnt(0)
	v_mad_u32_u24 v3, v1, v3, v0
	v_and_b32_e32 v3, 31, v3
	v_cmpx_gt_u32_e32 8, v3
	s_cbranch_execz .LBB182_80
; %bb.77:                               ;   in Loop: Header=BB182_53 Depth=1
	v_add_co_u32 v3, vcc_lo, v83, v3
	v_add_co_ci_u32_e64 v4, null, 0, v84, vcc_lo
	v_mov_b32_e32 v5, 0
	v_add_co_u32 v3, vcc_lo, 0xffffff81, v3
	v_add_co_ci_u32_e64 v4, null, -1, v4, vcc_lo
	s_mov_b32 s13, exec_lo
	v_cmpx_gt_i64_e64 s[8:9], v[3:4]
	s_cbranch_execz .LBB182_79
; %bb.78:                               ;   in Loop: Header=BB182_53 Depth=1
	v_lshlrev_b64 v[3:4], 2, v[3:4]
	v_add_co_u32 v3, vcc_lo, s2, v3
	v_add_co_ci_u32_e64 v4, null, s3, v4, vcc_lo
	global_load_dword v5, v[3:4], off
.LBB182_79:                             ;   in Loop: Header=BB182_53 Depth=1
	s_or_b32 exec_lo, exec_lo, s13
.LBB182_80:                             ;   in Loop: Header=BB182_53 Depth=1
	s_or_b32 exec_lo, exec_lo, s12
	v_add_co_u32 v3, vcc_lo, v50, v47
	v_add_co_ci_u32_e64 v4, null, v51, v48, vcc_lo
	v_add_co_u32 v6, vcc_lo, v52, v47
	v_add_co_ci_u32_e64 v7, null, v53, v48, vcc_lo
	;; [unrolled: 2-line block ×5, first 2 shown]
	global_load_ushort v14, v[3:4], off
	global_load_ushort v15, v[6:7], off
	;; [unrolled: 1-line block ×5, first 2 shown]
	v_add_co_u32 v3, vcc_lo, v35, v47
	v_add_co_ci_u32_e64 v4, null, v36, v48, vcc_lo
	v_add_co_u32 v6, vcc_lo, v23, v47
	v_add_co_ci_u32_e64 v7, null, v24, v48, vcc_lo
	;; [unrolled: 2-line block ×5, first 2 shown]
	global_load_ushort v83, v[3:4], off
	global_load_ushort v84, v[6:7], off
	;; [unrolled: 1-line block ×5, first 2 shown]
	v_add_co_u32 v3, vcc_lo, v27, v47
	v_add_co_ci_u32_e64 v4, null, v28, v48, vcc_lo
	v_add_co_u32 v6, vcc_lo, v41, v47
	v_add_co_ci_u32_e64 v7, null, v42, v48, vcc_lo
	;; [unrolled: 2-line block ×4, first 2 shown]
	global_load_ushort v13, v[3:4], off
	global_load_ushort v87, v[6:7], off
	;; [unrolled: 1-line block ×4, first 2 shown]
	v_add_co_u32 v3, vcc_lo, v31, v47
	v_add_co_ci_u32_e64 v4, null, v32, v48, vcc_lo
	v_add_co_u32 v6, vcc_lo, v45, v47
	v_add_co_ci_u32_e64 v7, null, v46, v48, vcc_lo
	global_load_ushort v3, v[3:4], off
	global_load_ushort v4, v[6:7], off
	s_waitcnt vmcnt(16)
	ds_bpermute_b32 v6, v2, v5
	ds_bpermute_b32 v7, v2, v5 offset:4
	ds_bpermute_b32 v10, v2, v5 offset:8
	s_waitcnt vmcnt(15)
	v_cvt_f32_f16_e32 v11, v14
	s_waitcnt vmcnt(14)
	v_cvt_f32_f16_e32 v14, v15
	ds_bpermute_b32 v15, v2, v5 offset:12
	s_waitcnt vmcnt(13)
	v_cvt_f32_f16_e32 v16, v16
	s_waitcnt vmcnt(12)
	v_cvt_f32_f16_e32 v17, v17
	;; [unrolled: 2-line block ×3, first 2 shown]
	v_mul_f32_e32 v11, v11, v14
	ds_bpermute_b32 v14, v2, v5 offset:16
	v_mul_f32_e32 v16, v16, v17
	s_waitcnt lgkmcnt(4)
	v_fmac_f32_e32 v82, v11, v6
	ds_bpermute_b32 v6, v2, v5 offset:20
	s_waitcnt lgkmcnt(4)
	v_fmac_f32_e32 v82, v16, v7
	ds_bpermute_b32 v7, v2, v5 offset:24
	ds_bpermute_b32 v5, v2, v5 offset:28
	s_waitcnt vmcnt(10)
	v_cvt_f32_f16_e32 v83, v83
	s_waitcnt vmcnt(9)
	v_cvt_f32_f16_e32 v11, v84
	;; [unrolled: 2-line block ×5, first 2 shown]
	v_mul_f32_e32 v18, v18, v83
	v_mul_f32_e32 v11, v11, v17
	;; [unrolled: 1-line block ×3, first 2 shown]
	s_waitcnt lgkmcnt(5)
	v_fmac_f32_e32 v82, v18, v10
	s_waitcnt lgkmcnt(4)
	v_fmac_f32_e32 v82, v11, v15
	s_waitcnt vmcnt(5)
	v_cvt_f32_f16_e32 v10, v13
	s_waitcnt vmcnt(4)
	v_cvt_f32_f16_e32 v13, v87
	;; [unrolled: 2-line block ×4, first 2 shown]
	s_waitcnt lgkmcnt(3)
	v_fmac_f32_e32 v82, v12, v14
	v_mul_f32_e32 v10, v10, v13
	v_mul_f32_e32 v8, v8, v9
	s_waitcnt lgkmcnt(2)
	v_fmac_f32_e32 v82, v10, v6
	s_waitcnt vmcnt(1)
	v_cvt_f32_f16_e32 v3, v3
	s_waitcnt vmcnt(0)
	v_cvt_f32_f16_e32 v4, v4
	s_waitcnt lgkmcnt(1)
	v_fmac_f32_e32 v82, v8, v7
	v_mul_f32_e32 v3, v3, v4
	s_waitcnt lgkmcnt(0)
	v_fmac_f32_e32 v82, v3, v5
	v_mov_b32_e32 v85, v82
.LBB182_81:                             ;   in Loop: Header=BB182_53 Depth=1
	v_add_co_u32 v50, vcc_lo, v50, s18
	v_add_co_ci_u32_e64 v51, null, s19, v51, vcc_lo
	v_add_co_u32 v52, vcc_lo, v52, s18
	v_add_co_ci_u32_e64 v53, null, s19, v53, vcc_lo
	;; [unrolled: 2-line block ×26, first 2 shown]
	v_add_co_u32 v74, vcc_lo, v74, s18
	s_add_u32 s16, s16, s7
	v_add_co_ci_u32_e64 v75, null, s19, v75, vcc_lo
	v_add_co_u32 v76, vcc_lo, v76, s18
	s_addc_u32 s17, s17, 0
	v_add_co_ci_u32_e64 v77, null, s19, v77, vcc_lo
	v_add_co_u32 v78, vcc_lo, v78, s18
	v_cmp_ge_i64_e64 s12, s[16:17], s[8:9]
	v_add_co_ci_u32_e64 v79, null, s19, v79, vcc_lo
	v_add_co_u32 v80, vcc_lo, v80, s18
	v_add_co_ci_u32_e64 v81, null, s19, v81, vcc_lo
	s_add_u32 s20, s20, s7
	s_addc_u32 s21, s21, 0
	s_and_b32 vcc_lo, exec_lo, s12
	s_cbranch_vccnz .LBB182_83
; %bb.82:                               ;   in Loop: Header=BB182_53 Depth=1
	v_mov_b32_e32 v82, v85
	s_branch .LBB182_53
.LBB182_83:
	v_mad_u32_u24 v2, v1, 33, v0
	v_lshrrev_b32_e32 v3, 5, v0
	s_mov_b32 s0, exec_lo
	v_lshl_add_u32 v2, v2, 2, 0
	v_add_nc_u32_e32 v3, v3, v1
	v_mov_b32_e32 v1, 0
	ds_write_b32 v2, v85
	ds_write_b32 v2, v1 offset:2112
	s_waitcnt lgkmcnt(0)
	s_barrier
	buffer_gl0_inv
	v_cmpx_gt_u32_e32 32, v3
	s_cbranch_execz .LBB182_93
; %bb.84:
	s_load_dwordx2 s[2:3], s[4:5], 0x30
	v_and_b32_e32 v1, 31, v0
	v_cmp_gt_u32_e32 vcc_lo, 16, v1
	v_mul_u32_u24_e32 v4, 33, v1
                                        ; implicit-def: $vgpr1
	s_and_saveexec_b32 s0, vcc_lo
	s_cbranch_execz .LBB182_86
; %bb.85:
	v_lshlrev_b32_e32 v1, 2, v3
	v_lshlrev_b32_e32 v2, 2, v4
	v_add3_u32 v1, 0, v1, v2
	ds_read_b32 v1, v1
.LBB182_86:
	s_or_b32 exec_lo, exec_lo, s0
	v_mbcnt_lo_u32_b32 v2, -1, 0
	s_mov_b32 s7, 0
	s_lshl_b64 s[4:5], s[6:7], 5
	s_waitcnt lgkmcnt(0)
	s_cmp_eq_u64 s[2:3], 0
	v_xor_b32_e32 v5, 8, v2
	v_xor_b32_e32 v6, 4, v2
	;; [unrolled: 1-line block ×3, first 2 shown]
	s_cselect_b32 s6, -1, 0
	v_cmp_gt_i32_e64 s0, 32, v5
	v_cndmask_b32_e64 v5, v2, v5, s0
	v_cmp_gt_i32_e64 s0, 32, v6
	v_lshlrev_b32_e32 v5, 2, v5
	v_cndmask_b32_e64 v6, v2, v6, s0
	ds_bpermute_b32 v7, v5, v1
	v_lshlrev_b32_e32 v6, 2, v6
	s_waitcnt lgkmcnt(0)
	v_add_f32_e32 v1, v1, v7
	v_xor_b32_e32 v7, 2, v2
	ds_bpermute_b32 v8, v6, v1
	v_cmp_gt_i32_e64 s0, 32, v7
	v_cndmask_b32_e64 v7, v2, v7, s0
	v_cmp_gt_i32_e64 s0, 32, v9
	v_lshlrev_b32_e32 v7, 2, v7
	v_cndmask_b32_e64 v2, v2, v9, s0
	v_cmp_ne_u32_e64 s0, 0, v0
	s_waitcnt lgkmcnt(0)
	v_add_f32_e32 v1, v1, v8
	ds_bpermute_b32 v8, v7, v1
	s_waitcnt lgkmcnt(0)
	v_add_f32_e32 v9, v1, v8
	v_lshlrev_b32_e32 v8, 2, v2
	v_or_b32_e32 v1, s4, v3
	v_mov_b32_e32 v2, s5
	ds_bpermute_b32 v10, v8, v9
	v_cmp_le_i64_e64 s1, s[10:11], v[1:2]
	s_or_b32 s1, s0, s1
	s_nor_b32 s1, s6, s1
	s_waitcnt lgkmcnt(0)
	v_add_f32_e32 v0, v9, v10
	s_and_saveexec_b32 s7, s1
	s_cbranch_execz .LBB182_88
; %bb.87:
	v_lshlrev_b64 v[1:2], 1, v[1:2]
	v_cvt_f16_f32_e32 v9, v0
	v_add_co_u32 v1, s1, s2, v1
	v_add_co_ci_u32_e64 v2, null, s3, v2, s1
	global_store_short v[1:2], v9, off
.LBB182_88:
	s_or_b32 exec_lo, exec_lo, s7
	v_cmp_gt_u32_e64 s1, 16, v3
	s_and_b32 exec_lo, exec_lo, s1
	s_cbranch_execz .LBB182_93
; %bb.89:
	s_and_saveexec_b32 s1, vcc_lo
	s_cbranch_execz .LBB182_91
; %bb.90:
	v_lshlrev_b32_e32 v0, 2, v3
	v_lshlrev_b32_e32 v1, 2, v4
	v_add3_u32 v0, 0, v0, v1
	ds_read_b32 v0, v0 offset:64
.LBB182_91:
	s_or_b32 exec_lo, exec_lo, s1
	s_waitcnt lgkmcnt(0)
	ds_bpermute_b32 v1, v5, v0
	v_add_nc_u32_e32 v2, 16, v3
	v_mov_b32_e32 v5, s5
	v_or_b32_e32 v4, s4, v2
	v_cmp_le_i64_e32 vcc_lo, s[10:11], v[4:5]
	s_or_b32 s0, s0, vcc_lo
	s_nor_b32 s0, s6, s0
	s_waitcnt lgkmcnt(0)
	v_add_f32_e32 v0, v0, v1
	ds_bpermute_b32 v1, v6, v0
	s_waitcnt lgkmcnt(0)
	v_add_f32_e32 v0, v0, v1
	ds_bpermute_b32 v1, v7, v0
	;; [unrolled: 3-line block ×3, first 2 shown]
	s_and_saveexec_b32 s1, s0
	s_xor_b32 s1, exec_lo, s1
	s_cbranch_execz .LBB182_93
; %bb.92:
	v_add_co_u32 v2, s0, s4, v3
	v_add_co_ci_u32_e64 v3, null, s5, 0, s0
	s_waitcnt lgkmcnt(0)
	v_add_f32_e32 v4, v0, v1
	v_lshlrev_b64 v[2:3], 1, v[2:3]
	v_add_co_u32 v0, vcc_lo, s2, v2
	v_add_co_ci_u32_e64 v1, null, s3, v3, vcc_lo
	v_cvt_f16_f32_e32 v2, v4
	global_store_short v[0:1], v2, off offset:32
.LBB182_93:
	s_endpgm
	.section	.rodata,"a",@progbits
	.p2align	6, 0x0
	.amdhsa_kernel _ZN2at6native12_GLOBAL__N_135GammaBetaBackwardCUDAKernelTemplateIN3c104HalfEfLj32ELj16ELj128ELb0ELb0ELb1EEEvllPKT_S7_PKT0_SA_PS5_SB_
		.amdhsa_group_segment_fixed_size 0
		.amdhsa_private_segment_fixed_size 0
		.amdhsa_kernarg_size 320
		.amdhsa_user_sgpr_count 6
		.amdhsa_user_sgpr_private_segment_buffer 1
		.amdhsa_user_sgpr_dispatch_ptr 0
		.amdhsa_user_sgpr_queue_ptr 0
		.amdhsa_user_sgpr_kernarg_segment_ptr 1
		.amdhsa_user_sgpr_dispatch_id 0
		.amdhsa_user_sgpr_flat_scratch_init 0
		.amdhsa_user_sgpr_private_segment_size 0
		.amdhsa_wavefront_size32 1
		.amdhsa_uses_dynamic_stack 0
		.amdhsa_system_sgpr_private_segment_wavefront_offset 0
		.amdhsa_system_sgpr_workgroup_id_x 1
		.amdhsa_system_sgpr_workgroup_id_y 1
		.amdhsa_system_sgpr_workgroup_id_z 0
		.amdhsa_system_sgpr_workgroup_info 0
		.amdhsa_system_vgpr_workitem_id 1
		.amdhsa_next_free_vgpr 91
		.amdhsa_next_free_sgpr 30
		.amdhsa_reserve_vcc 1
		.amdhsa_reserve_flat_scratch 0
		.amdhsa_float_round_mode_32 0
		.amdhsa_float_round_mode_16_64 0
		.amdhsa_float_denorm_mode_32 3
		.amdhsa_float_denorm_mode_16_64 3
		.amdhsa_dx10_clamp 1
		.amdhsa_ieee_mode 1
		.amdhsa_fp16_overflow 0
		.amdhsa_workgroup_processor_mode 1
		.amdhsa_memory_ordered 1
		.amdhsa_forward_progress 1
		.amdhsa_shared_vgpr_count 0
		.amdhsa_exception_fp_ieee_invalid_op 0
		.amdhsa_exception_fp_denorm_src 0
		.amdhsa_exception_fp_ieee_div_zero 0
		.amdhsa_exception_fp_ieee_overflow 0
		.amdhsa_exception_fp_ieee_underflow 0
		.amdhsa_exception_fp_ieee_inexact 0
		.amdhsa_exception_int_div_zero 0
	.end_amdhsa_kernel
	.section	.text._ZN2at6native12_GLOBAL__N_135GammaBetaBackwardCUDAKernelTemplateIN3c104HalfEfLj32ELj16ELj128ELb0ELb0ELb1EEEvllPKT_S7_PKT0_SA_PS5_SB_,"axG",@progbits,_ZN2at6native12_GLOBAL__N_135GammaBetaBackwardCUDAKernelTemplateIN3c104HalfEfLj32ELj16ELj128ELb0ELb0ELb1EEEvllPKT_S7_PKT0_SA_PS5_SB_,comdat
.Lfunc_end182:
	.size	_ZN2at6native12_GLOBAL__N_135GammaBetaBackwardCUDAKernelTemplateIN3c104HalfEfLj32ELj16ELj128ELb0ELb0ELb1EEEvllPKT_S7_PKT0_SA_PS5_SB_, .Lfunc_end182-_ZN2at6native12_GLOBAL__N_135GammaBetaBackwardCUDAKernelTemplateIN3c104HalfEfLj32ELj16ELj128ELb0ELb0ELb1EEEvllPKT_S7_PKT0_SA_PS5_SB_
                                        ; -- End function
	.set _ZN2at6native12_GLOBAL__N_135GammaBetaBackwardCUDAKernelTemplateIN3c104HalfEfLj32ELj16ELj128ELb0ELb0ELb1EEEvllPKT_S7_PKT0_SA_PS5_SB_.num_vgpr, 91
	.set _ZN2at6native12_GLOBAL__N_135GammaBetaBackwardCUDAKernelTemplateIN3c104HalfEfLj32ELj16ELj128ELb0ELb0ELb1EEEvllPKT_S7_PKT0_SA_PS5_SB_.num_agpr, 0
	.set _ZN2at6native12_GLOBAL__N_135GammaBetaBackwardCUDAKernelTemplateIN3c104HalfEfLj32ELj16ELj128ELb0ELb0ELb1EEEvllPKT_S7_PKT0_SA_PS5_SB_.numbered_sgpr, 30
	.set _ZN2at6native12_GLOBAL__N_135GammaBetaBackwardCUDAKernelTemplateIN3c104HalfEfLj32ELj16ELj128ELb0ELb0ELb1EEEvllPKT_S7_PKT0_SA_PS5_SB_.num_named_barrier, 0
	.set _ZN2at6native12_GLOBAL__N_135GammaBetaBackwardCUDAKernelTemplateIN3c104HalfEfLj32ELj16ELj128ELb0ELb0ELb1EEEvllPKT_S7_PKT0_SA_PS5_SB_.private_seg_size, 0
	.set _ZN2at6native12_GLOBAL__N_135GammaBetaBackwardCUDAKernelTemplateIN3c104HalfEfLj32ELj16ELj128ELb0ELb0ELb1EEEvllPKT_S7_PKT0_SA_PS5_SB_.uses_vcc, 1
	.set _ZN2at6native12_GLOBAL__N_135GammaBetaBackwardCUDAKernelTemplateIN3c104HalfEfLj32ELj16ELj128ELb0ELb0ELb1EEEvllPKT_S7_PKT0_SA_PS5_SB_.uses_flat_scratch, 0
	.set _ZN2at6native12_GLOBAL__N_135GammaBetaBackwardCUDAKernelTemplateIN3c104HalfEfLj32ELj16ELj128ELb0ELb0ELb1EEEvllPKT_S7_PKT0_SA_PS5_SB_.has_dyn_sized_stack, 0
	.set _ZN2at6native12_GLOBAL__N_135GammaBetaBackwardCUDAKernelTemplateIN3c104HalfEfLj32ELj16ELj128ELb0ELb0ELb1EEEvllPKT_S7_PKT0_SA_PS5_SB_.has_recursion, 0
	.set _ZN2at6native12_GLOBAL__N_135GammaBetaBackwardCUDAKernelTemplateIN3c104HalfEfLj32ELj16ELj128ELb0ELb0ELb1EEEvllPKT_S7_PKT0_SA_PS5_SB_.has_indirect_call, 0
	.section	.AMDGPU.csdata,"",@progbits
; Kernel info:
; codeLenInByte = 8216
; TotalNumSgprs: 32
; NumVgprs: 91
; ScratchSize: 0
; MemoryBound: 0
; FloatMode: 240
; IeeeMode: 1
; LDSByteSize: 0 bytes/workgroup (compile time only)
; SGPRBlocks: 0
; VGPRBlocks: 11
; NumSGPRsForWavesPerEU: 32
; NumVGPRsForWavesPerEU: 91
; Occupancy: 10
; WaveLimiterHint : 0
; COMPUTE_PGM_RSRC2:SCRATCH_EN: 0
; COMPUTE_PGM_RSRC2:USER_SGPR: 6
; COMPUTE_PGM_RSRC2:TRAP_HANDLER: 0
; COMPUTE_PGM_RSRC2:TGID_X_EN: 1
; COMPUTE_PGM_RSRC2:TGID_Y_EN: 1
; COMPUTE_PGM_RSRC2:TGID_Z_EN: 0
; COMPUTE_PGM_RSRC2:TIDIG_COMP_CNT: 1
	.section	.text._ZN2at6native12_GLOBAL__N_135GammaBetaBackwardCUDAKernelTemplateIN3c104HalfEfLj32ELj32ELj256ELb0ELb1ELb1EEEvllPKT_S7_PKT0_SA_PS5_SB_,"axG",@progbits,_ZN2at6native12_GLOBAL__N_135GammaBetaBackwardCUDAKernelTemplateIN3c104HalfEfLj32ELj32ELj256ELb0ELb1ELb1EEEvllPKT_S7_PKT0_SA_PS5_SB_,comdat
	.globl	_ZN2at6native12_GLOBAL__N_135GammaBetaBackwardCUDAKernelTemplateIN3c104HalfEfLj32ELj32ELj256ELb0ELb1ELb1EEEvllPKT_S7_PKT0_SA_PS5_SB_ ; -- Begin function _ZN2at6native12_GLOBAL__N_135GammaBetaBackwardCUDAKernelTemplateIN3c104HalfEfLj32ELj32ELj256ELb0ELb1ELb1EEEvllPKT_S7_PKT0_SA_PS5_SB_
	.p2align	8
	.type	_ZN2at6native12_GLOBAL__N_135GammaBetaBackwardCUDAKernelTemplateIN3c104HalfEfLj32ELj32ELj256ELb0ELb1ELb1EEEvllPKT_S7_PKT0_SA_PS5_SB_,@function
_ZN2at6native12_GLOBAL__N_135GammaBetaBackwardCUDAKernelTemplateIN3c104HalfEfLj32ELj32ELj256ELb0ELb1ELb1EEEvllPKT_S7_PKT0_SA_PS5_SB_: ; @_ZN2at6native12_GLOBAL__N_135GammaBetaBackwardCUDAKernelTemplateIN3c104HalfEfLj32ELj32ELj256ELb0ELb1ELb1EEEvllPKT_S7_PKT0_SA_PS5_SB_
; %bb.0:
	s_load_dwordx4 s[8:11], s[4:5], 0x0
	s_lshl_b32 s16, s7, 8
	s_mov_b32 s17, 0
	s_waitcnt lgkmcnt(0)
	v_cmp_gt_i64_e64 s0, s[8:9], s[16:17]
	s_and_b32 vcc_lo, exec_lo, s0
	s_cbranch_vccnz .LBB183_2
; %bb.1:
	s_mov_b32 s0, s17
	s_load_dwordx2 s[2:3], s[4:5], 0x30
	v_mov_b32_e32 v2, 0
	s_andn2_b32 vcc_lo, exec_lo, s0
	s_cbranch_vccz .LBB183_3
	s_branch .LBB183_9
.LBB183_2:
	s_load_dwordx2 s[2:3], s[4:5], 0x30
	v_mov_b32_e32 v2, 0
.LBB183_3:
	s_clause 0x3
	s_load_dword s0, s[4:5], 0x4c
	s_load_dword s1, s[4:5], 0x44
	s_load_dwordx4 s[12:15], s[4:5], 0x10
	s_load_dwordx2 s[18:19], s[4:5], 0x28
	v_lshlrev_b32_e32 v4, 3, v1
	v_mov_b32_e32 v3, 0
	v_lshl_add_u32 v2, s6, 5, v0
	v_mov_b32_e32 v8, 4
	v_mov_b32_e32 v9, 8
	v_add_co_u32 v4, s4, v4, s16
	v_add_co_ci_u32_e64 v5, null, 0, 0, s4
	v_lshlrev_b64 v[15:16], 1, v[2:3]
	v_mul_lo_u32 v17, s11, v4
	v_mov_b32_e32 v10, 12
	v_mul_lo_u32 v18, s10, v5
	v_mov_b32_e32 v11, 16
	v_mov_b32_e32 v12, 20
	v_mov_b32_e32 v13, 24
	s_waitcnt lgkmcnt(0)
	s_and_b32 s0, s0, 0xffff
	s_lshl_b32 s4, s1, 8
	v_mad_u32_u24 v6, v1, s0, v0
	s_mul_i32 s1, s11, s4
	s_mul_hi_u32 s7, s10, s4
	v_mov_b32_e32 v14, 28
	v_mov_b32_e32 v2, 0
	v_and_b32_e32 v21, 31, v6
	v_mad_u64_u32 v[6:7], null, s10, v4, 0
	s_mov_b32 s5, 0
	s_add_i32 s21, s7, s1
	v_add_co_u32 v4, vcc_lo, v4, v21
	v_add_co_ci_u32_e64 v5, null, 0, v5, vcc_lo
	v_add3_u32 v7, v7, v18, v17
	v_cmp_gt_u32_e64 s0, 8, v21
	s_mul_i32 s20, s10, s4
	v_lshlrev_b64 v[17:18], 2, v[4:5]
	s_lshl_b64 s[20:21], s[20:21], 1
	v_lshlrev_b64 v[19:20], 1, v[6:7]
	s_lshl_b64 s[10:11], s[10:11], 1
	v_add_co_u32 v6, vcc_lo, s18, v17
	v_add_co_ci_u32_e64 v7, null, s19, v18, vcc_lo
	v_add_co_u32 v15, vcc_lo, v19, v15
	v_add_co_ci_u32_e64 v16, null, v20, v16, vcc_lo
	s_lshl_b64 s[18:19], s[4:5], 2
	s_branch .LBB183_6
.LBB183_4:                              ;   in Loop: Header=BB183_6 Depth=1
	s_or_b32 exec_lo, exec_lo, s5
.LBB183_5:                              ;   in Loop: Header=BB183_6 Depth=1
	s_or_b32 exec_lo, exec_lo, s1
	v_add_co_u32 v18, vcc_lo, s12, v15
	v_add_co_ci_u32_e64 v19, null, s13, v16, vcc_lo
	v_add_co_u32 v20, vcc_lo, s14, v15
	v_add_co_ci_u32_e64 v21, null, s15, v16, vcc_lo
	;; [unrolled: 2-line block ×3, first 2 shown]
	global_load_ushort v28, v[18:19], off
	global_load_ushort v29, v[20:21], off
	;; [unrolled: 1-line block ×3, first 2 shown]
	v_add_co_u32 v18, vcc_lo, v20, s10
	v_add_co_ci_u32_e64 v19, null, s11, v21, vcc_lo
	v_add_co_u32 v20, vcc_lo, v22, s10
	v_add_co_ci_u32_e64 v21, null, s11, v23, vcc_lo
	;; [unrolled: 2-line block ×5, first 2 shown]
	global_load_ushort v31, v[18:19], off
	global_load_ushort v32, v[20:21], off
	;; [unrolled: 1-line block ×5, first 2 shown]
	v_add_co_u32 v18, vcc_lo, v24, s10
	v_add_co_ci_u32_e64 v19, null, s11, v25, vcc_lo
	v_add_co_u32 v20, vcc_lo, v26, s10
	v_add_co_ci_u32_e64 v21, null, s11, v27, vcc_lo
	;; [unrolled: 2-line block ×5, first 2 shown]
	global_load_ushort v36, v[18:19], off
	global_load_ushort v37, v[20:21], off
	;; [unrolled: 1-line block ×5, first 2 shown]
	v_add_co_u32 v18, vcc_lo, v24, s10
	v_add_co_ci_u32_e64 v19, null, s11, v25, vcc_lo
	v_add_co_u32 v20, vcc_lo, v26, s10
	v_add_co_ci_u32_e64 v21, null, s11, v27, vcc_lo
	;; [unrolled: 2-line block ×3, first 2 shown]
	global_load_ushort v18, v[18:19], off
	global_load_ushort v19, v[20:21], off
	;; [unrolled: 1-line block ×3, first 2 shown]
	s_waitcnt vmcnt(16)
	ds_bpermute_b32 v21, v3, v17
	ds_bpermute_b32 v22, v8, v17
	;; [unrolled: 1-line block ×4, first 2 shown]
	s_add_u32 s16, s16, s4
	v_add_co_u32 v6, vcc_lo, v6, s18
	s_addc_u32 s17, s17, 0
	v_add_co_ci_u32_e64 v7, null, s19, v7, vcc_lo
	v_add_co_u32 v4, vcc_lo, v4, s4
	v_cmp_lt_i64_e64 s1, s[16:17], s[8:9]
	v_add_co_ci_u32_e64 v5, null, 0, v5, vcc_lo
	v_add_co_u32 v15, vcc_lo, v15, s20
	v_add_co_ci_u32_e64 v16, null, s21, v16, vcc_lo
	s_and_b32 vcc_lo, exec_lo, s1
	s_waitcnt vmcnt(15)
	v_cvt_f32_f16_e32 v23, v28
	s_waitcnt vmcnt(14)
	v_cvt_f32_f16_e32 v24, v29
	s_waitcnt vmcnt(13)
	v_cvt_f32_f16_e32 v26, v30
	v_mul_f32_e32 v23, v23, v24
	s_waitcnt lgkmcnt(3)
	v_fmac_f32_e32 v2, v23, v21
	s_waitcnt vmcnt(12)
	v_cvt_f32_f16_e32 v24, v31
	s_waitcnt vmcnt(11)
	v_cvt_f32_f16_e32 v28, v32
	;; [unrolled: 2-line block ×4, first 2 shown]
	v_mul_f32_e32 v21, v26, v24
	ds_bpermute_b32 v24, v11, v17
	ds_bpermute_b32 v26, v12, v17
	s_waitcnt lgkmcnt(4)
	v_fmac_f32_e32 v2, v21, v22
	v_mul_f32_e32 v21, v28, v23
	s_waitcnt vmcnt(8)
	v_cvt_f32_f16_e32 v22, v35
	ds_bpermute_b32 v23, v13, v17
	ds_bpermute_b32 v17, v14, v17
	s_waitcnt lgkmcnt(5)
	v_fmac_f32_e32 v2, v21, v25
	v_mul_f32_e32 v21, v29, v22
	s_waitcnt vmcnt(7)
	v_cvt_f32_f16_e32 v28, v36
	s_waitcnt vmcnt(6)
	v_cvt_f32_f16_e32 v22, v37
	;; [unrolled: 2-line block ×4, first 2 shown]
	s_waitcnt lgkmcnt(4)
	v_fmac_f32_e32 v2, v21, v27
	v_mul_f32_e32 v21, v28, v22
	s_waitcnt vmcnt(3)
	v_cvt_f32_f16_e32 v22, v40
	s_waitcnt lgkmcnt(3)
	v_fmac_f32_e32 v2, v21, v24
	v_mul_f32_e32 v21, v25, v29
	s_waitcnt vmcnt(2)
	v_cvt_f32_f16_e32 v18, v18
	s_waitcnt vmcnt(1)
	v_cvt_f32_f16_e32 v19, v19
	;; [unrolled: 2-line block ×3, first 2 shown]
	s_waitcnt lgkmcnt(2)
	v_fmac_f32_e32 v2, v21, v26
	v_mul_f32_e32 v18, v22, v18
	s_waitcnt lgkmcnt(1)
	v_fmac_f32_e32 v2, v18, v23
	v_mul_f32_e32 v18, v19, v20
	s_waitcnt lgkmcnt(0)
	v_fmac_f32_e32 v2, v18, v17
	s_cbranch_vccz .LBB183_9
.LBB183_6:                              ; =>This Inner Loop Header: Depth=1
	v_mov_b32_e32 v17, 0
	s_and_saveexec_b32 s1, s0
	s_cbranch_execz .LBB183_5
; %bb.7:                                ;   in Loop: Header=BB183_6 Depth=1
	v_mov_b32_e32 v17, 0
	s_mov_b32 s5, exec_lo
	v_cmpx_gt_i64_e64 s[8:9], v[4:5]
	s_cbranch_execz .LBB183_4
; %bb.8:                                ;   in Loop: Header=BB183_6 Depth=1
	global_load_dword v17, v[6:7], off
	s_branch .LBB183_4
.LBB183_9:
	v_mad_u32_u24 v3, v1, 33, v0
	v_lshrrev_b32_e32 v4, 5, v0
	s_mov_b32 s0, exec_lo
	v_lshl_add_u32 v3, v3, 2, 0
	v_add_nc_u32_e32 v1, v4, v1
	v_mov_b32_e32 v4, 0
	ds_write_b32 v3, v2
	ds_write_b32 v3, v4 offset:4224
	s_waitcnt lgkmcnt(0)
	s_barrier
	buffer_gl0_inv
	v_cmpx_gt_u32_e32 32, v1
	s_cbranch_execz .LBB183_12
; %bb.10:
	v_and_b32_e32 v2, 31, v0
	v_lshlrev_b32_e32 v3, 2, v1
	s_cmp_lg_u64 s[2:3], 0
	s_cselect_b32 s0, -1, 0
	v_mul_u32_u24_e32 v2, 0x84, v2
	v_add3_u32 v2, 0, v3, v2
	v_mbcnt_lo_u32_b32 v3, -1, 0
	ds_read_b32 v2, v2
	v_xor_b32_e32 v4, 16, v3
	v_xor_b32_e32 v5, 8, v3
	v_cmp_gt_i32_e32 vcc_lo, 32, v4
	v_cndmask_b32_e32 v4, v3, v4, vcc_lo
	v_cmp_gt_i32_e32 vcc_lo, 32, v5
	v_lshlrev_b32_e32 v4, 2, v4
	v_cndmask_b32_e32 v5, v3, v5, vcc_lo
	s_waitcnt lgkmcnt(0)
	ds_bpermute_b32 v4, v4, v2
	v_lshlrev_b32_e32 v5, 2, v5
	s_waitcnt lgkmcnt(0)
	v_add_f32_e32 v2, v2, v4
	ds_bpermute_b32 v4, v5, v2
	v_xor_b32_e32 v5, 4, v3
	v_cmp_gt_i32_e32 vcc_lo, 32, v5
	v_cndmask_b32_e32 v5, v3, v5, vcc_lo
	v_lshlrev_b32_e32 v5, 2, v5
	s_waitcnt lgkmcnt(0)
	v_add_f32_e32 v2, v2, v4
	ds_bpermute_b32 v4, v5, v2
	v_xor_b32_e32 v5, 2, v3
	v_cmp_gt_i32_e32 vcc_lo, 32, v5
	v_cndmask_b32_e32 v5, v3, v5, vcc_lo
	;; [unrolled: 7-line block ×3, first 2 shown]
	v_cmp_eq_u32_e32 vcc_lo, 0, v0
	s_and_b32 s0, vcc_lo, s0
	s_waitcnt lgkmcnt(0)
	v_add_f32_e32 v3, v2, v4
	v_lshlrev_b32_e32 v2, 2, v5
	ds_bpermute_b32 v4, v2, v3
	s_and_b32 exec_lo, exec_lo, s0
	s_cbranch_execz .LBB183_12
; %bb.11:
	v_mov_b32_e32 v2, 0
	s_mov_b32 s7, 0
	s_waitcnt lgkmcnt(0)
	v_add_f32_e32 v3, v3, v4
	s_lshl_b64 s[0:1], s[6:7], 6
	s_add_u32 s0, s2, s0
	v_lshlrev_b64 v[0:1], 1, v[1:2]
	s_addc_u32 s1, s3, s1
	v_cvt_f16_f32_e32 v2, v3
	v_add_co_u32 v0, vcc_lo, s0, v0
	v_add_co_ci_u32_e64 v1, null, s1, v1, vcc_lo
	global_store_short v[0:1], v2, off
.LBB183_12:
	s_endpgm
	.section	.rodata,"a",@progbits
	.p2align	6, 0x0
	.amdhsa_kernel _ZN2at6native12_GLOBAL__N_135GammaBetaBackwardCUDAKernelTemplateIN3c104HalfEfLj32ELj32ELj256ELb0ELb1ELb1EEEvllPKT_S7_PKT0_SA_PS5_SB_
		.amdhsa_group_segment_fixed_size 0
		.amdhsa_private_segment_fixed_size 0
		.amdhsa_kernarg_size 320
		.amdhsa_user_sgpr_count 6
		.amdhsa_user_sgpr_private_segment_buffer 1
		.amdhsa_user_sgpr_dispatch_ptr 0
		.amdhsa_user_sgpr_queue_ptr 0
		.amdhsa_user_sgpr_kernarg_segment_ptr 1
		.amdhsa_user_sgpr_dispatch_id 0
		.amdhsa_user_sgpr_flat_scratch_init 0
		.amdhsa_user_sgpr_private_segment_size 0
		.amdhsa_wavefront_size32 1
		.amdhsa_uses_dynamic_stack 0
		.amdhsa_system_sgpr_private_segment_wavefront_offset 0
		.amdhsa_system_sgpr_workgroup_id_x 1
		.amdhsa_system_sgpr_workgroup_id_y 1
		.amdhsa_system_sgpr_workgroup_id_z 0
		.amdhsa_system_sgpr_workgroup_info 0
		.amdhsa_system_vgpr_workitem_id 1
		.amdhsa_next_free_vgpr 41
		.amdhsa_next_free_sgpr 22
		.amdhsa_reserve_vcc 1
		.amdhsa_reserve_flat_scratch 0
		.amdhsa_float_round_mode_32 0
		.amdhsa_float_round_mode_16_64 0
		.amdhsa_float_denorm_mode_32 3
		.amdhsa_float_denorm_mode_16_64 3
		.amdhsa_dx10_clamp 1
		.amdhsa_ieee_mode 1
		.amdhsa_fp16_overflow 0
		.amdhsa_workgroup_processor_mode 1
		.amdhsa_memory_ordered 1
		.amdhsa_forward_progress 1
		.amdhsa_shared_vgpr_count 0
		.amdhsa_exception_fp_ieee_invalid_op 0
		.amdhsa_exception_fp_denorm_src 0
		.amdhsa_exception_fp_ieee_div_zero 0
		.amdhsa_exception_fp_ieee_overflow 0
		.amdhsa_exception_fp_ieee_underflow 0
		.amdhsa_exception_fp_ieee_inexact 0
		.amdhsa_exception_int_div_zero 0
	.end_amdhsa_kernel
	.section	.text._ZN2at6native12_GLOBAL__N_135GammaBetaBackwardCUDAKernelTemplateIN3c104HalfEfLj32ELj32ELj256ELb0ELb1ELb1EEEvllPKT_S7_PKT0_SA_PS5_SB_,"axG",@progbits,_ZN2at6native12_GLOBAL__N_135GammaBetaBackwardCUDAKernelTemplateIN3c104HalfEfLj32ELj32ELj256ELb0ELb1ELb1EEEvllPKT_S7_PKT0_SA_PS5_SB_,comdat
.Lfunc_end183:
	.size	_ZN2at6native12_GLOBAL__N_135GammaBetaBackwardCUDAKernelTemplateIN3c104HalfEfLj32ELj32ELj256ELb0ELb1ELb1EEEvllPKT_S7_PKT0_SA_PS5_SB_, .Lfunc_end183-_ZN2at6native12_GLOBAL__N_135GammaBetaBackwardCUDAKernelTemplateIN3c104HalfEfLj32ELj32ELj256ELb0ELb1ELb1EEEvllPKT_S7_PKT0_SA_PS5_SB_
                                        ; -- End function
	.set _ZN2at6native12_GLOBAL__N_135GammaBetaBackwardCUDAKernelTemplateIN3c104HalfEfLj32ELj32ELj256ELb0ELb1ELb1EEEvllPKT_S7_PKT0_SA_PS5_SB_.num_vgpr, 41
	.set _ZN2at6native12_GLOBAL__N_135GammaBetaBackwardCUDAKernelTemplateIN3c104HalfEfLj32ELj32ELj256ELb0ELb1ELb1EEEvllPKT_S7_PKT0_SA_PS5_SB_.num_agpr, 0
	.set _ZN2at6native12_GLOBAL__N_135GammaBetaBackwardCUDAKernelTemplateIN3c104HalfEfLj32ELj32ELj256ELb0ELb1ELb1EEEvllPKT_S7_PKT0_SA_PS5_SB_.numbered_sgpr, 22
	.set _ZN2at6native12_GLOBAL__N_135GammaBetaBackwardCUDAKernelTemplateIN3c104HalfEfLj32ELj32ELj256ELb0ELb1ELb1EEEvllPKT_S7_PKT0_SA_PS5_SB_.num_named_barrier, 0
	.set _ZN2at6native12_GLOBAL__N_135GammaBetaBackwardCUDAKernelTemplateIN3c104HalfEfLj32ELj32ELj256ELb0ELb1ELb1EEEvllPKT_S7_PKT0_SA_PS5_SB_.private_seg_size, 0
	.set _ZN2at6native12_GLOBAL__N_135GammaBetaBackwardCUDAKernelTemplateIN3c104HalfEfLj32ELj32ELj256ELb0ELb1ELb1EEEvllPKT_S7_PKT0_SA_PS5_SB_.uses_vcc, 1
	.set _ZN2at6native12_GLOBAL__N_135GammaBetaBackwardCUDAKernelTemplateIN3c104HalfEfLj32ELj32ELj256ELb0ELb1ELb1EEEvllPKT_S7_PKT0_SA_PS5_SB_.uses_flat_scratch, 0
	.set _ZN2at6native12_GLOBAL__N_135GammaBetaBackwardCUDAKernelTemplateIN3c104HalfEfLj32ELj32ELj256ELb0ELb1ELb1EEEvllPKT_S7_PKT0_SA_PS5_SB_.has_dyn_sized_stack, 0
	.set _ZN2at6native12_GLOBAL__N_135GammaBetaBackwardCUDAKernelTemplateIN3c104HalfEfLj32ELj32ELj256ELb0ELb1ELb1EEEvllPKT_S7_PKT0_SA_PS5_SB_.has_recursion, 0
	.set _ZN2at6native12_GLOBAL__N_135GammaBetaBackwardCUDAKernelTemplateIN3c104HalfEfLj32ELj32ELj256ELb0ELb1ELb1EEEvllPKT_S7_PKT0_SA_PS5_SB_.has_indirect_call, 0
	.section	.AMDGPU.csdata,"",@progbits
; Kernel info:
; codeLenInByte = 1512
; TotalNumSgprs: 24
; NumVgprs: 41
; ScratchSize: 0
; MemoryBound: 0
; FloatMode: 240
; IeeeMode: 1
; LDSByteSize: 0 bytes/workgroup (compile time only)
; SGPRBlocks: 0
; VGPRBlocks: 5
; NumSGPRsForWavesPerEU: 24
; NumVGPRsForWavesPerEU: 41
; Occupancy: 16
; WaveLimiterHint : 0
; COMPUTE_PGM_RSRC2:SCRATCH_EN: 0
; COMPUTE_PGM_RSRC2:USER_SGPR: 6
; COMPUTE_PGM_RSRC2:TRAP_HANDLER: 0
; COMPUTE_PGM_RSRC2:TGID_X_EN: 1
; COMPUTE_PGM_RSRC2:TGID_Y_EN: 1
; COMPUTE_PGM_RSRC2:TGID_Z_EN: 0
; COMPUTE_PGM_RSRC2:TIDIG_COMP_CNT: 1
	.section	.text._ZN2at6native12_GLOBAL__N_135GammaBetaBackwardCUDAKernelTemplateIN3c104HalfEfLj32ELj32ELj256ELb0ELb0ELb1EEEvllPKT_S7_PKT0_SA_PS5_SB_,"axG",@progbits,_ZN2at6native12_GLOBAL__N_135GammaBetaBackwardCUDAKernelTemplateIN3c104HalfEfLj32ELj32ELj256ELb0ELb0ELb1EEEvllPKT_S7_PKT0_SA_PS5_SB_,comdat
	.globl	_ZN2at6native12_GLOBAL__N_135GammaBetaBackwardCUDAKernelTemplateIN3c104HalfEfLj32ELj32ELj256ELb0ELb0ELb1EEEvllPKT_S7_PKT0_SA_PS5_SB_ ; -- Begin function _ZN2at6native12_GLOBAL__N_135GammaBetaBackwardCUDAKernelTemplateIN3c104HalfEfLj32ELj32ELj256ELb0ELb0ELb1EEEvllPKT_S7_PKT0_SA_PS5_SB_
	.p2align	8
	.type	_ZN2at6native12_GLOBAL__N_135GammaBetaBackwardCUDAKernelTemplateIN3c104HalfEfLj32ELj32ELj256ELb0ELb0ELb1EEEvllPKT_S7_PKT0_SA_PS5_SB_,@function
_ZN2at6native12_GLOBAL__N_135GammaBetaBackwardCUDAKernelTemplateIN3c104HalfEfLj32ELj32ELj256ELb0ELb0ELb1EEEvllPKT_S7_PKT0_SA_PS5_SB_: ; @_ZN2at6native12_GLOBAL__N_135GammaBetaBackwardCUDAKernelTemplateIN3c104HalfEfLj32ELj32ELj256ELb0ELb0ELb1EEEvllPKT_S7_PKT0_SA_PS5_SB_
; %bb.0:
	s_clause 0x1
	s_load_dwordx8 s[8:15], s[4:5], 0x0
	s_load_dwordx2 s[2:3], s[4:5], 0x28
	s_lshl_b32 s26, s6, 5
	s_mov_b32 s17, 0
	s_or_b32 s16, s26, 31
	s_waitcnt lgkmcnt(0)
	v_cmp_le_i64_e64 s0, s[10:11], s[16:17]
	s_lshl_b32 s16, s7, 8
	v_cmp_gt_i64_e64 s7, s[8:9], s[16:17]
	s_and_b32 vcc_lo, exec_lo, s0
	v_cndmask_b32_e64 v2, 0, 1, s7
	v_cmp_ne_u32_e64 s0, 1, v2
	s_cbranch_vccz .LBB184_49
; %bb.1:
	v_mov_b32_e32 v85, 0
	s_and_b32 vcc_lo, exec_lo, s0
	s_cbranch_vccnz .LBB184_50
; %bb.2:
	v_lshlrev_b32_e32 v21, 3, v1
	v_mov_b32_e32 v2, 0
	v_add_nc_u32_e32 v5, s26, v0
	s_load_dword s1, s[4:5], 0x44
	s_add_u32 s18, s4, 64
	v_add_co_u32 v11, s0, v21, s16
	v_add_co_ci_u32_e64 v12, null, 0, 0, s0
	v_mov_b32_e32 v6, v2
	v_mul_lo_u32 v7, s11, v11
	v_mad_u64_u32 v[3:4], null, s10, v11, 0
	v_mul_lo_u32 v8, s10, v12
	v_cmp_gt_i64_e64 s0, s[10:11], v[5:6]
	v_lshlrev_b64 v[19:20], 1, v[5:6]
	s_addc_u32 s19, s5, 0
	v_mov_b32_e32 v54, 0
	s_mov_b64 s[24:25], s[16:17]
	v_add3_u32 v4, v4, v8, v7
	v_add_co_u32 v7, vcc_lo, v11, 7
	v_add_co_ci_u32_e64 v8, null, 0, v12, vcc_lo
	v_lshlrev_b64 v[5:6], 1, v[3:4]
	v_mul_lo_u32 v13, s11, v7
	s_waitcnt lgkmcnt(0)
	s_lshl_b32 s27, s1, 8
	v_mul_lo_u32 v14, s10, v8
	v_mad_u64_u32 v[7:8], null, s10, v7, 0
	v_add_co_u32 v22, vcc_lo, s12, v5
	v_add_co_ci_u32_e64 v23, null, s13, v6, vcc_lo
	v_add_co_u32 v9, vcc_lo, v11, 6
	v_add_co_ci_u32_e64 v10, null, 0, v12, vcc_lo
	v_add_co_u32 v24, vcc_lo, s14, v5
	v_mul_lo_u32 v15, s11, v9
	v_mul_lo_u32 v16, s10, v10
	v_mad_u64_u32 v[9:10], null, s10, v9, 0
	v_add3_u32 v8, v8, v14, v13
	v_add_co_ci_u32_e64 v25, null, s15, v6, vcc_lo
	v_add_co_u32 v13, vcc_lo, v11, 5
	v_add_co_ci_u32_e64 v14, null, 0, v12, vcc_lo
	v_add3_u32 v10, v10, v16, v15
	v_lshlrev_b64 v[5:6], 1, v[7:8]
	v_mul_lo_u32 v15, s11, v13
	v_mul_lo_u32 v14, s10, v14
	s_mul_i32 s1, s11, s27
	v_lshlrev_b64 v[7:8], 1, v[9:10]
	v_mad_u64_u32 v[9:10], null, s10, v13, 0
	v_add_co_u32 v26, vcc_lo, s12, v5
	v_add_co_ci_u32_e64 v27, null, s13, v6, vcc_lo
	v_add_co_u32 v28, vcc_lo, s14, v5
	v_add_co_ci_u32_e64 v29, null, s15, v6, vcc_lo
	v_add_co_u32 v30, vcc_lo, s12, v7
	v_add3_u32 v10, v10, v14, v15
	s_mul_hi_u32 s20, s10, s27
	v_add_co_ci_u32_e64 v31, null, s13, v8, vcc_lo
	v_add_co_u32 v13, vcc_lo, v11, 4
	s_add_i32 s21, s20, s1
	v_add_co_u32 v32, s1, s14, v7
	v_add_co_ci_u32_e64 v7, null, 0, v12, vcc_lo
	v_lshlrev_b64 v[5:6], 1, v[9:10]
	v_add_co_u32 v9, vcc_lo, v11, 3
	v_add_co_ci_u32_e64 v10, null, 0, v12, vcc_lo
	v_add_co_ci_u32_e64 v33, null, s15, v8, s1
	v_mul_lo_u32 v14, s11, v13
	v_mul_lo_u32 v15, s10, v7
	v_mad_u64_u32 v[7:8], null, s10, v13, 0
	v_mul_lo_u32 v13, s11, v9
	v_mul_lo_u32 v16, s10, v10
	v_mad_u64_u32 v[9:10], null, s10, v9, 0
	v_add_co_u32 v34, vcc_lo, s12, v5
	v_add_co_ci_u32_e64 v35, null, s13, v6, vcc_lo
	v_add3_u32 v8, v8, v15, v14
	v_add_co_u32 v36, vcc_lo, s14, v5
	v_add_co_ci_u32_e64 v37, null, s15, v6, vcc_lo
	v_add_co_u32 v11, vcc_lo, v11, 2
	v_add3_u32 v10, v10, v16, v13
	v_add_co_ci_u32_e64 v12, null, 0, v12, vcc_lo
	v_lshlrev_b64 v[5:6], 1, v[7:8]
	v_mul_lo_u32 v13, s11, v11
	v_lshlrev_b64 v[7:8], 1, v[9:10]
	v_mul_lo_u32 v12, s10, v12
	v_mad_u64_u32 v[9:10], null, s10, v11, 0
	v_add_co_u32 v38, vcc_lo, s12, v5
	v_add_co_ci_u32_e64 v39, null, s13, v6, vcc_lo
	v_add_co_u32 v40, vcc_lo, s14, v5
	v_add_co_ci_u32_e64 v41, null, s15, v6, vcc_lo
	;; [unrolled: 2-line block ×3, first 2 shown]
	v_add3_u32 v10, v10, v12, v13
	v_add_co_u32 v44, vcc_lo, s14, v7
	v_add_co_ci_u32_e64 v45, null, s15, v8, vcc_lo
	v_add_co_u32 v3, vcc_lo, v3, s10
	v_add_co_ci_u32_e64 v4, null, s11, v4, vcc_lo
	v_lshlrev_b64 v[5:6], 1, v[9:10]
	s_mul_i32 s20, s10, s27
	v_lshlrev_b64 v[3:4], 1, v[3:4]
	s_lshl_b64 s[20:21], s[20:21], 1
	s_add_u32 s22, s16, 0xff
	v_add_co_u32 v46, vcc_lo, s12, v5
	v_add_co_ci_u32_e64 v47, null, s13, v6, vcc_lo
	v_add_co_u32 v48, vcc_lo, s14, v5
	v_add_co_ci_u32_e64 v49, null, s15, v6, vcc_lo
	;; [unrolled: 2-line block ×4, first 2 shown]
	s_addc_u32 s23, 0, 0
.LBB184_3:                              ; =>This Inner Loop Header: Depth=1
	v_cmp_ge_i64_e64 s1, s[22:23], s[8:9]
	v_add_co_u32 v55, s28, v21, s22
	v_add_co_ci_u32_e64 v56, null, 0, s23, s28
                                        ; implicit-def: $vgpr3_vgpr4_vgpr5_vgpr6_vgpr7_vgpr8_vgpr9_vgpr10
                                        ; implicit-def: $vgpr85
                                        ; implicit-def: $vgpr11_vgpr12_vgpr13_vgpr14_vgpr15_vgpr16_vgpr17_vgpr18
                                        ; implicit-def: $vgpr3
	s_and_b32 vcc_lo, exec_lo, s1
	s_mov_b32 s1, -1
	s_cbranch_vccz .LBB184_25
; %bb.4:                                ;   in Loop: Header=BB184_3 Depth=1
	s_load_dword s1, s[18:19], 0xc
	v_mov_b32_e32 v57, 0
	s_waitcnt lgkmcnt(0)
	s_and_b32 s1, s1, 0xffff
	v_mad_u32_u24 v3, v1, s1, v0
	s_mov_b32 s1, exec_lo
	v_and_b32_e32 v3, 31, v3
	v_cmpx_gt_u32_e32 8, v3
	s_cbranch_execz .LBB184_8
; %bb.5:                                ;   in Loop: Header=BB184_3 Depth=1
	v_add_co_u32 v3, vcc_lo, v55, v3
	v_add_co_ci_u32_e64 v4, null, 0, v56, vcc_lo
	v_mov_b32_e32 v57, 0
	v_add_co_u32 v3, vcc_lo, 0xffffff01, v3
	v_add_co_ci_u32_e64 v4, null, -1, v4, vcc_lo
	s_mov_b32 s28, exec_lo
	v_cmpx_gt_i64_e64 s[8:9], v[3:4]
	s_cbranch_execz .LBB184_7
; %bb.6:                                ;   in Loop: Header=BB184_3 Depth=1
	v_lshlrev_b64 v[3:4], 2, v[3:4]
	v_add_co_u32 v3, vcc_lo, s2, v3
	v_add_co_ci_u32_e64 v4, null, s3, v4, vcc_lo
	global_load_dword v57, v[3:4], off
.LBB184_7:                              ;   in Loop: Header=BB184_3 Depth=1
	s_or_b32 exec_lo, exec_lo, s28
.LBB184_8:                              ;   in Loop: Header=BB184_3 Depth=1
	s_or_b32 exec_lo, exec_lo, s1
	v_add_co_u32 v10, vcc_lo, 0xffffff01, v55
	v_add_co_ci_u32_e64 v11, null, -1, v56, vcc_lo
	v_mov_b32_e32 v9, v2
	v_mov_b32_e32 v3, v2
	;; [unrolled: 1-line block ×7, first 2 shown]
	v_cmp_gt_i64_e32 vcc_lo, s[8:9], v[10:11]
	v_mov_b32_e32 v18, v9
	v_mov_b32_e32 v15, v6
	v_mov_b32_e32 v16, v7
	v_mov_b32_e32 v17, v8
	v_mov_b32_e32 v14, v5
	v_mov_b32_e32 v13, v4
	v_mov_b32_e32 v12, v3
	v_mov_b32_e32 v11, v2
	v_mov_b32_e32 v10, v9
	v_mov_b32_e32 v9, v8
	v_mov_b32_e32 v8, v7
	v_mov_b32_e32 v7, v6
	v_mov_b32_e32 v6, v5
	v_mov_b32_e32 v5, v4
	v_mov_b32_e32 v4, v3
	v_mov_b32_e32 v3, v2
	s_and_b32 s28, s0, vcc_lo
	s_and_saveexec_b32 s1, s28
	s_cbranch_execz .LBB184_10
; %bb.9:                                ;   in Loop: Header=BB184_3 Depth=1
	v_add_co_u32 v3, vcc_lo, v22, v19
	v_add_co_ci_u32_e64 v4, null, v23, v20, vcc_lo
	v_add_co_u32 v5, vcc_lo, v24, v19
	v_add_co_ci_u32_e64 v6, null, v25, v20, vcc_lo
	global_load_ushort v3, v[3:4], off
	global_load_ushort v11, v[5:6], off
	v_mov_b32_e32 v4, v2
	v_mov_b32_e32 v5, v2
	;; [unrolled: 1-line block ×14, first 2 shown]
	s_waitcnt vmcnt(1)
	v_cvt_f32_f16_e32 v3, v3
	s_waitcnt vmcnt(0)
	v_cvt_f32_f16_e32 v11, v11
.LBB184_10:                             ;   in Loop: Header=BB184_3 Depth=1
	s_or_b32 exec_lo, exec_lo, s1
	v_add_co_u32 v58, vcc_lo, 0xffffff02, v55
	v_add_co_ci_u32_e64 v59, null, -1, v56, vcc_lo
	v_cmp_gt_i64_e32 vcc_lo, s[8:9], v[58:59]
	s_and_b32 s28, s0, vcc_lo
	s_and_saveexec_b32 s1, s28
	s_cbranch_execz .LBB184_12
; %bb.11:                               ;   in Loop: Header=BB184_3 Depth=1
	v_add_co_u32 v58, vcc_lo, v50, v19
	v_add_co_ci_u32_e64 v59, null, v51, v20, vcc_lo
	v_add_co_u32 v60, vcc_lo, v52, v19
	v_add_co_ci_u32_e64 v61, null, v53, v20, vcc_lo
	global_load_ushort v4, v[58:59], off
	global_load_ushort v12, v[60:61], off
	s_waitcnt vmcnt(1)
	v_cvt_f32_f16_e32 v4, v4
	s_waitcnt vmcnt(0)
	v_cvt_f32_f16_e32 v12, v12
.LBB184_12:                             ;   in Loop: Header=BB184_3 Depth=1
	s_or_b32 exec_lo, exec_lo, s1
	v_add_co_u32 v58, vcc_lo, 0xffffff03, v55
	v_add_co_ci_u32_e64 v59, null, -1, v56, vcc_lo
	v_cmp_gt_i64_e32 vcc_lo, s[8:9], v[58:59]
	s_and_b32 s28, s0, vcc_lo
	s_and_saveexec_b32 s1, s28
	s_cbranch_execz .LBB184_14
; %bb.13:                               ;   in Loop: Header=BB184_3 Depth=1
	v_add_co_u32 v58, vcc_lo, v46, v19
	v_add_co_ci_u32_e64 v59, null, v47, v20, vcc_lo
	v_add_co_u32 v60, vcc_lo, v48, v19
	v_add_co_ci_u32_e64 v61, null, v49, v20, vcc_lo
	global_load_ushort v5, v[58:59], off
	global_load_ushort v13, v[60:61], off
	s_waitcnt vmcnt(1)
	v_cvt_f32_f16_e32 v5, v5
	s_waitcnt vmcnt(0)
	v_cvt_f32_f16_e32 v13, v13
.LBB184_14:                             ;   in Loop: Header=BB184_3 Depth=1
	;; [unrolled: 19-line block ×7, first 2 shown]
	s_or_b32 exec_lo, exec_lo, s1
	s_waitcnt vmcnt(0)
	ds_bpermute_b32 v58, v2, v57
	ds_bpermute_b32 v59, v2, v57 offset:4
	ds_bpermute_b32 v60, v2, v57 offset:8
	v_mul_f32_e32 v3, v11, v3
	ds_bpermute_b32 v11, v2, v57 offset:12
	v_mul_f32_e32 v4, v12, v4
	;; [unrolled: 2-line block ×3, first 2 shown]
	s_mov_b32 s1, 0
	s_waitcnt lgkmcnt(4)
	v_fma_f32 v85, v3, v58, v54
	v_mul_f32_e32 v3, v13, v5
	ds_bpermute_b32 v5, v2, v57 offset:20
	s_waitcnt lgkmcnt(4)
	v_fmac_f32_e32 v85, v4, v59
	v_mul_f32_e32 v4, v14, v6
	ds_bpermute_b32 v6, v2, v57 offset:24
	s_waitcnt lgkmcnt(4)
	v_fmac_f32_e32 v85, v3, v60
	ds_bpermute_b32 v3, v2, v57 offset:28
	s_waitcnt lgkmcnt(4)
	v_fmac_f32_e32 v85, v4, v11
	v_mul_f32_e32 v4, v16, v8
	s_waitcnt lgkmcnt(3)
	v_fmac_f32_e32 v85, v7, v12
	s_waitcnt lgkmcnt(2)
	v_fmac_f32_e32 v85, v4, v5
	v_mul_f32_e32 v4, v17, v9
	s_waitcnt lgkmcnt(1)
	v_fmac_f32_e32 v85, v4, v6
.LBB184_25:                             ;   in Loop: Header=BB184_3 Depth=1
	s_and_b32 vcc_lo, exec_lo, s1
	s_cbranch_vccz .LBB184_40
; %bb.26:                               ;   in Loop: Header=BB184_3 Depth=1
	s_load_dword s1, s[18:19], 0x0
	v_mov_b32_e32 v57, 0
	s_waitcnt lgkmcnt(0)
	s_cmp_lt_u32 s6, s1
	s_cselect_b32 s1, 12, 18
	s_add_u32 s28, s18, s1
	s_addc_u32 s29, s19, 0
	s_mov_b32 s1, exec_lo
	global_load_ushort v3, v2, s[28:29]
	s_waitcnt vmcnt(0)
	v_mad_u32_u24 v3, v1, v3, v0
	v_and_b32_e32 v3, 31, v3
	v_cmpx_gt_u32_e32 8, v3
	s_cbranch_execz .LBB184_30
; %bb.27:                               ;   in Loop: Header=BB184_3 Depth=1
	v_add_co_u32 v3, vcc_lo, v55, v3
	v_add_co_ci_u32_e64 v4, null, 0, v56, vcc_lo
	v_mov_b32_e32 v57, 0
	v_add_co_u32 v3, vcc_lo, 0xffffff01, v3
	v_add_co_ci_u32_e64 v4, null, -1, v4, vcc_lo
	s_mov_b32 s28, exec_lo
	v_cmpx_gt_i64_e64 s[8:9], v[3:4]
	s_cbranch_execz .LBB184_29
; %bb.28:                               ;   in Loop: Header=BB184_3 Depth=1
	v_lshlrev_b64 v[3:4], 2, v[3:4]
	v_add_co_u32 v3, vcc_lo, s2, v3
	v_add_co_ci_u32_e64 v4, null, s3, v4, vcc_lo
	global_load_dword v57, v[3:4], off
.LBB184_29:                             ;   in Loop: Header=BB184_3 Depth=1
	s_or_b32 exec_lo, exec_lo, s28
.LBB184_30:                             ;   in Loop: Header=BB184_3 Depth=1
	s_or_b32 exec_lo, exec_lo, s1
	v_mov_b32_e32 v9, v2
	v_mov_b32_e32 v3, v2
	;; [unrolled: 1-line block ×23, first 2 shown]
	s_and_saveexec_b32 s1, s0
	s_cbranch_execnz .LBB184_42
; %bb.31:                               ;   in Loop: Header=BB184_3 Depth=1
	s_or_b32 exec_lo, exec_lo, s1
	s_and_saveexec_b32 s1, s0
	s_cbranch_execnz .LBB184_43
.LBB184_32:                             ;   in Loop: Header=BB184_3 Depth=1
	s_or_b32 exec_lo, exec_lo, s1
	s_and_saveexec_b32 s1, s0
	s_cbranch_execnz .LBB184_44
.LBB184_33:                             ;   in Loop: Header=BB184_3 Depth=1
	s_or_b32 exec_lo, exec_lo, s1
	s_and_saveexec_b32 s1, s0
	s_cbranch_execnz .LBB184_45
.LBB184_34:                             ;   in Loop: Header=BB184_3 Depth=1
	s_or_b32 exec_lo, exec_lo, s1
	s_and_saveexec_b32 s1, s0
	s_cbranch_execnz .LBB184_46
.LBB184_35:                             ;   in Loop: Header=BB184_3 Depth=1
	s_or_b32 exec_lo, exec_lo, s1
	s_and_saveexec_b32 s1, s0
	s_cbranch_execnz .LBB184_47
.LBB184_36:                             ;   in Loop: Header=BB184_3 Depth=1
	s_or_b32 exec_lo, exec_lo, s1
	s_and_saveexec_b32 s1, s0
	s_cbranch_execnz .LBB184_48
.LBB184_37:                             ;   in Loop: Header=BB184_3 Depth=1
	s_or_b32 exec_lo, exec_lo, s1
	s_and_saveexec_b32 s1, s0
	s_cbranch_execz .LBB184_39
.LBB184_38:                             ;   in Loop: Header=BB184_3 Depth=1
	v_add_co_u32 v55, vcc_lo, v26, v19
	v_add_co_ci_u32_e64 v56, null, v27, v20, vcc_lo
	v_add_co_u32 v58, vcc_lo, v28, v19
	v_add_co_ci_u32_e64 v59, null, v29, v20, vcc_lo
	global_load_ushort v10, v[55:56], off
	global_load_ushort v18, v[58:59], off
	s_waitcnt vmcnt(1)
	v_cvt_f32_f16_e32 v10, v10
	s_waitcnt vmcnt(0)
	v_cvt_f32_f16_e32 v18, v18
.LBB184_39:                             ;   in Loop: Header=BB184_3 Depth=1
	s_or_b32 exec_lo, exec_lo, s1
	s_waitcnt vmcnt(0)
	ds_bpermute_b32 v55, v2, v57
	ds_bpermute_b32 v56, v2, v57 offset:4
	ds_bpermute_b32 v58, v2, v57 offset:8
	v_mul_f32_e32 v3, v11, v3
	ds_bpermute_b32 v11, v2, v57 offset:12
	v_mul_f32_e32 v4, v12, v4
	ds_bpermute_b32 v12, v2, v57 offset:16
	s_waitcnt lgkmcnt(4)
	v_fmac_f32_e32 v54, v3, v55
	v_mul_f32_e32 v3, v13, v5
	ds_bpermute_b32 v5, v2, v57 offset:20
	s_waitcnt lgkmcnt(4)
	v_fmac_f32_e32 v54, v4, v56
	v_mul_f32_e32 v4, v14, v6
	ds_bpermute_b32 v6, v2, v57 offset:24
	s_waitcnt lgkmcnt(4)
	v_fmac_f32_e32 v54, v3, v58
	v_mul_f32_e32 v3, v15, v7
	s_waitcnt lgkmcnt(3)
	v_fmac_f32_e32 v54, v4, v11
	v_mul_f32_e32 v4, v16, v8
	s_waitcnt lgkmcnt(2)
	v_fmac_f32_e32 v54, v3, v12
	ds_bpermute_b32 v3, v2, v57 offset:28
	s_waitcnt lgkmcnt(2)
	v_fmac_f32_e32 v54, v4, v5
	v_mul_f32_e32 v4, v17, v9
	s_waitcnt lgkmcnt(1)
	v_fmac_f32_e32 v54, v4, v6
	v_mov_b32_e32 v85, v54
.LBB184_40:                             ;   in Loop: Header=BB184_3 Depth=1
	v_add_co_u32 v22, vcc_lo, v22, s20
	v_add_co_ci_u32_e64 v23, null, s21, v23, vcc_lo
	v_add_co_u32 v24, vcc_lo, v24, s20
	v_add_co_ci_u32_e64 v25, null, s21, v25, vcc_lo
	v_add_co_u32 v26, vcc_lo, v26, s20
	v_add_co_ci_u32_e64 v27, null, s21, v27, vcc_lo
	v_add_co_u32 v28, vcc_lo, v28, s20
	v_add_co_ci_u32_e64 v29, null, s21, v29, vcc_lo
	v_add_co_u32 v30, vcc_lo, v30, s20
	v_add_co_ci_u32_e64 v31, null, s21, v31, vcc_lo
	v_add_co_u32 v32, vcc_lo, v32, s20
	v_add_co_ci_u32_e64 v33, null, s21, v33, vcc_lo
	v_add_co_u32 v34, vcc_lo, v34, s20
	v_add_co_ci_u32_e64 v35, null, s21, v35, vcc_lo
	v_add_co_u32 v36, vcc_lo, v36, s20
	v_add_co_ci_u32_e64 v37, null, s21, v37, vcc_lo
	v_add_co_u32 v38, vcc_lo, v38, s20
	v_add_co_ci_u32_e64 v39, null, s21, v39, vcc_lo
	v_add_co_u32 v40, vcc_lo, v40, s20
	v_add_co_ci_u32_e64 v41, null, s21, v41, vcc_lo
	v_add_co_u32 v42, vcc_lo, v42, s20
	v_add_co_ci_u32_e64 v43, null, s21, v43, vcc_lo
	v_add_co_u32 v44, vcc_lo, v44, s20
	v_add_co_ci_u32_e64 v45, null, s21, v45, vcc_lo
	v_add_co_u32 v46, vcc_lo, v46, s20
	s_add_u32 s24, s24, s27
	v_add_co_ci_u32_e64 v47, null, s21, v47, vcc_lo
	v_add_co_u32 v48, vcc_lo, v48, s20
	v_mul_f32_e32 v4, v10, v18
	s_addc_u32 s25, s25, 0
	v_add_co_ci_u32_e64 v49, null, s21, v49, vcc_lo
	v_add_co_u32 v50, vcc_lo, v50, s20
	v_cmp_lt_i64_e64 s1, s[24:25], s[8:9]
	v_add_co_ci_u32_e64 v51, null, s21, v51, vcc_lo
	v_add_co_u32 v52, vcc_lo, v52, s20
	s_waitcnt lgkmcnt(0)
	v_fmac_f32_e32 v85, v4, v3
	v_add_co_ci_u32_e64 v53, null, s21, v53, vcc_lo
	s_add_u32 s22, s22, s27
	s_addc_u32 s23, s23, 0
	s_and_b32 vcc_lo, exec_lo, s1
	s_cbranch_vccz .LBB184_50
; %bb.41:                               ;   in Loop: Header=BB184_3 Depth=1
	v_mov_b32_e32 v54, v85
	s_branch .LBB184_3
.LBB184_42:                             ;   in Loop: Header=BB184_3 Depth=1
	v_add_co_u32 v3, vcc_lo, v22, v19
	v_add_co_ci_u32_e64 v4, null, v23, v20, vcc_lo
	v_add_co_u32 v5, vcc_lo, v24, v19
	v_add_co_ci_u32_e64 v6, null, v25, v20, vcc_lo
	global_load_ushort v3, v[3:4], off
	global_load_ushort v11, v[5:6], off
	v_mov_b32_e32 v4, v2
	v_mov_b32_e32 v5, v2
	;; [unrolled: 1-line block ×14, first 2 shown]
	s_waitcnt vmcnt(1)
	v_cvt_f32_f16_e32 v3, v3
	s_waitcnt vmcnt(0)
	v_cvt_f32_f16_e32 v11, v11
	s_or_b32 exec_lo, exec_lo, s1
	s_and_saveexec_b32 s1, s0
	s_cbranch_execz .LBB184_32
.LBB184_43:                             ;   in Loop: Header=BB184_3 Depth=1
	v_add_co_u32 v55, vcc_lo, v50, v19
	v_add_co_ci_u32_e64 v56, null, v51, v20, vcc_lo
	v_add_co_u32 v58, vcc_lo, v52, v19
	v_add_co_ci_u32_e64 v59, null, v53, v20, vcc_lo
	global_load_ushort v4, v[55:56], off
	global_load_ushort v12, v[58:59], off
	s_waitcnt vmcnt(1)
	v_cvt_f32_f16_e32 v4, v4
	s_waitcnt vmcnt(0)
	v_cvt_f32_f16_e32 v12, v12
	s_or_b32 exec_lo, exec_lo, s1
	s_and_saveexec_b32 s1, s0
	s_cbranch_execz .LBB184_33
.LBB184_44:                             ;   in Loop: Header=BB184_3 Depth=1
	v_add_co_u32 v55, vcc_lo, v46, v19
	v_add_co_ci_u32_e64 v56, null, v47, v20, vcc_lo
	v_add_co_u32 v58, vcc_lo, v48, v19
	v_add_co_ci_u32_e64 v59, null, v49, v20, vcc_lo
	global_load_ushort v5, v[55:56], off
	global_load_ushort v13, v[58:59], off
	s_waitcnt vmcnt(1)
	v_cvt_f32_f16_e32 v5, v5
	s_waitcnt vmcnt(0)
	v_cvt_f32_f16_e32 v13, v13
	s_or_b32 exec_lo, exec_lo, s1
	s_and_saveexec_b32 s1, s0
	s_cbranch_execz .LBB184_34
.LBB184_45:                             ;   in Loop: Header=BB184_3 Depth=1
	v_add_co_u32 v55, vcc_lo, v42, v19
	v_add_co_ci_u32_e64 v56, null, v43, v20, vcc_lo
	v_add_co_u32 v58, vcc_lo, v44, v19
	v_add_co_ci_u32_e64 v59, null, v45, v20, vcc_lo
	global_load_ushort v6, v[55:56], off
	global_load_ushort v14, v[58:59], off
	s_waitcnt vmcnt(1)
	v_cvt_f32_f16_e32 v6, v6
	s_waitcnt vmcnt(0)
	v_cvt_f32_f16_e32 v14, v14
	s_or_b32 exec_lo, exec_lo, s1
	s_and_saveexec_b32 s1, s0
	s_cbranch_execz .LBB184_35
.LBB184_46:                             ;   in Loop: Header=BB184_3 Depth=1
	v_add_co_u32 v55, vcc_lo, v38, v19
	v_add_co_ci_u32_e64 v56, null, v39, v20, vcc_lo
	v_add_co_u32 v58, vcc_lo, v40, v19
	v_add_co_ci_u32_e64 v59, null, v41, v20, vcc_lo
	global_load_ushort v7, v[55:56], off
	global_load_ushort v15, v[58:59], off
	s_waitcnt vmcnt(1)
	v_cvt_f32_f16_e32 v7, v7
	s_waitcnt vmcnt(0)
	v_cvt_f32_f16_e32 v15, v15
	s_or_b32 exec_lo, exec_lo, s1
	s_and_saveexec_b32 s1, s0
	s_cbranch_execz .LBB184_36
.LBB184_47:                             ;   in Loop: Header=BB184_3 Depth=1
	v_add_co_u32 v55, vcc_lo, v34, v19
	v_add_co_ci_u32_e64 v56, null, v35, v20, vcc_lo
	v_add_co_u32 v58, vcc_lo, v36, v19
	v_add_co_ci_u32_e64 v59, null, v37, v20, vcc_lo
	global_load_ushort v8, v[55:56], off
	global_load_ushort v16, v[58:59], off
	s_waitcnt vmcnt(1)
	v_cvt_f32_f16_e32 v8, v8
	s_waitcnt vmcnt(0)
	v_cvt_f32_f16_e32 v16, v16
	s_or_b32 exec_lo, exec_lo, s1
	s_and_saveexec_b32 s1, s0
	s_cbranch_execz .LBB184_37
.LBB184_48:                             ;   in Loop: Header=BB184_3 Depth=1
	v_add_co_u32 v55, vcc_lo, v30, v19
	v_add_co_ci_u32_e64 v56, null, v31, v20, vcc_lo
	v_add_co_u32 v58, vcc_lo, v32, v19
	v_add_co_ci_u32_e64 v59, null, v33, v20, vcc_lo
	global_load_ushort v9, v[55:56], off
	global_load_ushort v17, v[58:59], off
	s_waitcnt vmcnt(1)
	v_cvt_f32_f16_e32 v9, v9
	s_waitcnt vmcnt(0)
	v_cvt_f32_f16_e32 v17, v17
	s_or_b32 exec_lo, exec_lo, s1
	s_and_saveexec_b32 s1, s0
	s_cbranch_execnz .LBB184_38
	s_branch .LBB184_39
.LBB184_49:
                                        ; implicit-def: $vgpr85
	s_branch .LBB184_51
.LBB184_50:
	s_cbranch_execnz .LBB184_83
.LBB184_51:
	v_mov_b32_e32 v85, 0
	s_andn2_b32 vcc_lo, exec_lo, s7
	s_cbranch_vccnz .LBB184_83
; %bb.52:
	s_load_dword s7, s[4:5], 0x44
	v_lshlrev_b32_e32 v49, 3, v1
	v_lshlrev_b32_e32 v8, 4, v1
	v_mov_b32_e32 v82, 0
	v_add_co_u32 v4, s0, v49, s16
	v_add_co_ci_u32_e64 v5, null, 0, 0, s0
	s_add_u32 s0, s4, 64
	v_mul_lo_u32 v6, s11, v4
	v_mad_u64_u32 v[2:3], null, s10, v4, 0
	v_mul_lo_u32 v7, s10, v5
	s_addc_u32 s1, s5, 0
	s_waitcnt lgkmcnt(0)
	s_lshl_b32 s7, s7, 8
	v_add3_u32 v3, v3, v7, v6
	s_mul_i32 s19, s11, s7
	s_mul_hi_u32 s20, s10, s7
	s_mul_i32 s18, s10, s7
	s_add_i32 s19, s20, s19
	v_lshlrev_b64 v[6:7], 1, v[2:3]
	s_lshl_b64 s[18:19], s[18:19], 1
	s_add_u32 s20, s16, 0xff
	s_addc_u32 s21, 0, 0
	s_lshl_b64 s[22:23], s[16:17], 1
	v_add_co_u32 v8, s22, v8, s22
	v_add_co_ci_u32_e64 v9, null, 0, s23, s22
	v_add_co_u32 v10, vcc_lo, v8, 2
	v_add_co_ci_u32_e64 v11, null, 0, v9, vcc_lo
	v_add_co_u32 v50, vcc_lo, s12, v6
	v_add_co_ci_u32_e64 v51, null, s13, v7, vcc_lo
	v_add_co_u32 v52, vcc_lo, s14, v6
	v_add_co_ci_u32_e64 v53, null, s15, v7, vcc_lo
	v_add_co_u32 v6, vcc_lo, v8, 4
	v_add_co_ci_u32_e64 v7, null, 0, v9, vcc_lo
	v_add_co_u32 v13, vcc_lo, v8, 6
	v_add_co_ci_u32_e64 v14, null, 0, v9, vcc_lo
	v_add_co_u32 v16, vcc_lo, v8, 8
	v_add_co_ci_u32_e64 v18, null, 0, v9, vcc_lo
	v_add_co_u32 v41, vcc_lo, v8, 10
	v_mad_u64_u32 v[21:22], null, s10, v6, s[12:13]
	v_mul_lo_u32 v7, s10, v7
	v_mul_lo_u32 v15, s11, v6
	v_mad_u64_u32 v[35:36], null, s10, v6, s[14:15]
	v_add_co_ci_u32_e64 v29, null, 0, v9, vcc_lo
	v_add_co_u32 v43, vcc_lo, v8, 12
	v_add_co_ci_u32_e64 v31, null, 0, v9, vcc_lo
	v_add_co_u32 v8, vcc_lo, v8, 14
	v_mad_u64_u32 v[19:20], null, s10, v10, s[12:13]
	v_mul_lo_u32 v11, s10, v11
	v_mul_lo_u32 v12, s11, v10
	v_mad_u64_u32 v[33:34], null, s10, v10, s[14:15]
	v_add_co_ci_u32_e64 v9, null, 0, v9, vcc_lo
	v_add_co_u32 v6, vcc_lo, v4, 7
	v_add3_u32 v22, v15, v22, v7
	v_add3_u32 v36, v15, v36, v7
	v_add_co_ci_u32_e64 v7, null, 0, v5, vcc_lo
	v_mul_lo_u32 v57, s10, v9
	v_add_co_u32 v9, vcc_lo, v4, 6
	v_add3_u32 v20, v12, v20, v11
	v_add3_u32 v34, v12, v34, v11
	v_add_co_ci_u32_e64 v12, null, 0, v5, vcc_lo
	v_mul_lo_u32 v10, s11, v6
	v_mul_lo_u32 v11, s10, v7
	v_mad_u64_u32 v[6:7], null, s10, v6, 0
	v_mad_u64_u32 v[23:24], null, s10, v13, s[12:13]
	v_mul_lo_u32 v17, s11, v13
	v_mul_lo_u32 v55, s10, v31
	v_mad_u64_u32 v[31:32], null, s10, v8, s[12:13]
	v_mul_lo_u32 v58, s11, v8
	v_mad_u64_u32 v[37:38], null, s10, v13, s[14:15]
	v_mad_u64_u32 v[45:46], null, s10, v8, s[14:15]
	v_mul_lo_u32 v13, s11, v9
	v_mul_lo_u32 v12, s10, v12
	v_mad_u64_u32 v[8:9], null, s10, v9, 0
	v_add3_u32 v7, v7, v11, v10
	v_add_co_u32 v10, vcc_lo, v4, 5
	v_mad_u64_u32 v[27:28], null, s10, v41, s[12:13]
	v_mul_lo_u32 v48, s10, v29
	v_mul_lo_u32 v54, s11, v41
	v_mad_u64_u32 v[41:42], null, s10, v41, s[14:15]
	v_add3_u32 v9, v9, v12, v13
	v_add_co_ci_u32_e64 v11, null, 0, v5, vcc_lo
	v_mad_u64_u32 v[29:30], null, s10, v43, s[12:13]
	v_mul_lo_u32 v56, s11, v43
	v_mad_u64_u32 v[43:44], null, s10, v43, s[14:15]
	v_lshlrev_b64 v[6:7], 1, v[6:7]
	v_lshlrev_b64 v[8:9], 1, v[8:9]
	v_mul_lo_u32 v12, s11, v10
	v_mul_lo_u32 v13, s10, v11
	v_mad_u64_u32 v[10:11], null, s10, v10, 0
	v_add3_u32 v28, v54, v28, v48
	v_add3_u32 v42, v54, v42, v48
	v_add_co_u32 v54, vcc_lo, s12, v6
	v_add3_u32 v30, v56, v30, v55
	v_add3_u32 v44, v56, v44, v55
	v_add_co_ci_u32_e64 v55, null, s13, v7, vcc_lo
	v_add_co_u32 v56, vcc_lo, s14, v6
	v_add3_u32 v32, v58, v32, v57
	v_add3_u32 v46, v58, v46, v57
	v_add_co_ci_u32_e64 v57, null, s15, v7, vcc_lo
	v_add_co_u32 v58, vcc_lo, s12, v8
	v_add_co_ci_u32_e64 v59, null, s13, v9, vcc_lo
	v_add3_u32 v11, v11, v13, v12
	v_add_co_u32 v12, vcc_lo, v4, 4
	v_add_co_ci_u32_e64 v13, null, 0, v5, vcc_lo
	v_add_co_u32 v60, vcc_lo, s14, v8
	v_mul_lo_u32 v14, s10, v14
	v_add_co_ci_u32_e64 v61, null, s15, v9, vcc_lo
	v_lshlrev_b64 v[6:7], 1, v[10:11]
	v_mul_lo_u32 v10, s11, v12
	v_mul_lo_u32 v11, s10, v13
	v_mad_u64_u32 v[8:9], null, s10, v12, 0
	v_add_co_u32 v12, vcc_lo, v4, 3
	v_add_co_ci_u32_e64 v13, null, 0, v5, vcc_lo
	v_add_co_u32 v62, vcc_lo, s12, v6
	v_add3_u32 v24, v17, v24, v14
	v_add3_u32 v38, v17, v38, v14
	v_add_co_ci_u32_e64 v63, null, s13, v7, vcc_lo
	v_add3_u32 v9, v9, v11, v10
	v_mul_lo_u32 v14, s11, v12
	v_mad_u64_u32 v[10:11], null, s10, v12, 0
	v_add_co_u32 v12, vcc_lo, v4, 2
	v_mul_lo_u32 v13, s10, v13
	v_add_co_ci_u32_e64 v15, null, 0, v5, vcc_lo
	v_add_co_u32 v64, vcc_lo, s14, v6
	v_lshlrev_b64 v[4:5], 1, v[8:9]
	v_add_co_ci_u32_e64 v65, null, s15, v7, vcc_lo
	v_mul_lo_u32 v8, s11, v12
	v_mul_lo_u32 v9, s10, v15
	v_mad_u64_u32 v[6:7], null, s10, v12, 0
	v_add3_u32 v11, v11, v13, v14
	v_add_co_u32 v66, vcc_lo, s12, v4
	v_add_co_ci_u32_e64 v67, null, s13, v5, vcc_lo
	v_add_co_u32 v68, vcc_lo, s14, v4
	v_add_co_ci_u32_e64 v69, null, s15, v5, vcc_lo
	v_lshlrev_b64 v[4:5], 1, v[10:11]
	v_add3_u32 v7, v7, v9, v8
	v_add_co_u32 v2, vcc_lo, v2, s10
	v_add_co_ci_u32_e64 v3, null, s11, v3, vcc_lo
	v_lshlrev_b64 v[6:7], 1, v[6:7]
	v_add_co_u32 v70, vcc_lo, s12, v4
	v_add_co_ci_u32_e64 v71, null, s13, v5, vcc_lo
	v_add_co_u32 v72, vcc_lo, s14, v4
	v_lshlrev_b64 v[3:4], 1, v[2:3]
	v_mov_b32_e32 v2, 0
	v_mad_u64_u32 v[25:26], null, s10, v16, s[12:13]
	v_mul_lo_u32 v18, s10, v18
	v_mul_lo_u32 v47, s11, v16
	v_mad_u64_u32 v[39:40], null, s10, v16, s[14:15]
	v_add_co_ci_u32_e64 v73, null, s15, v5, vcc_lo
	v_add_co_u32 v74, vcc_lo, s12, v6
	v_add_co_ci_u32_e64 v75, null, s13, v7, vcc_lo
	v_add_co_u32 v76, vcc_lo, s14, v6
	v_add_nc_u32_e32 v5, s26, v0
	v_mov_b32_e32 v6, v2
	v_add_co_ci_u32_e64 v77, null, s15, v7, vcc_lo
	v_add_co_u32 v78, vcc_lo, s12, v3
	v_add_co_ci_u32_e64 v79, null, s13, v4, vcc_lo
	v_add_co_u32 v80, vcc_lo, s14, v3
	v_add3_u32 v26, v47, v26, v18
	v_add3_u32 v40, v47, v40, v18
	v_lshlrev_b64 v[47:48], 1, v[5:6]
	v_add_co_ci_u32_e64 v81, null, s15, v4, vcc_lo
.LBB184_53:                             ; =>This Inner Loop Header: Depth=1
	v_cmp_ge_i64_e64 s12, s[20:21], s[8:9]
	v_add_co_u32 v83, s13, v49, s20
	v_add_co_ci_u32_e64 v84, null, 0, s21, s13
                                        ; implicit-def: $vgpr85
	s_and_b32 vcc_lo, exec_lo, s12
	s_mov_b32 s12, -1
	s_cbranch_vccz .LBB184_75
; %bb.54:                               ;   in Loop: Header=BB184_53 Depth=1
	s_load_dword s12, s[0:1], 0xc
	v_mov_b32_e32 v86, 0
	s_waitcnt lgkmcnt(0)
	s_and_b32 s12, s12, 0xffff
	v_mad_u32_u24 v3, v1, s12, v0
	s_mov_b32 s12, exec_lo
	v_and_b32_e32 v3, 31, v3
	v_cmpx_gt_u32_e32 8, v3
	s_cbranch_execz .LBB184_58
; %bb.55:                               ;   in Loop: Header=BB184_53 Depth=1
	v_add_co_u32 v3, vcc_lo, v83, v3
	v_add_co_ci_u32_e64 v4, null, 0, v84, vcc_lo
	v_mov_b32_e32 v86, 0
	v_add_co_u32 v3, vcc_lo, 0xffffff01, v3
	v_add_co_ci_u32_e64 v4, null, -1, v4, vcc_lo
	s_mov_b32 s13, exec_lo
	v_cmpx_gt_i64_e64 s[8:9], v[3:4]
	s_cbranch_execz .LBB184_57
; %bb.56:                               ;   in Loop: Header=BB184_53 Depth=1
	v_lshlrev_b64 v[3:4], 2, v[3:4]
	v_add_co_u32 v3, vcc_lo, s2, v3
	v_add_co_ci_u32_e64 v4, null, s3, v4, vcc_lo
	global_load_dword v86, v[3:4], off
.LBB184_57:                             ;   in Loop: Header=BB184_53 Depth=1
	s_or_b32 exec_lo, exec_lo, s13
.LBB184_58:                             ;   in Loop: Header=BB184_53 Depth=1
	s_or_b32 exec_lo, exec_lo, s12
	v_add_co_u32 v10, vcc_lo, 0xffffff01, v83
	v_add_co_ci_u32_e64 v11, null, -1, v84, vcc_lo
	v_mov_b32_e32 v9, v2
	v_mov_b32_e32 v3, v2
	;; [unrolled: 1-line block ×7, first 2 shown]
	v_cmp_gt_i64_e32 vcc_lo, s[8:9], v[10:11]
	v_mov_b32_e32 v18, v9
	v_mov_b32_e32 v15, v6
	;; [unrolled: 1-line block ×16, first 2 shown]
	s_and_saveexec_b32 s12, vcc_lo
	s_cbranch_execz .LBB184_60
; %bb.59:                               ;   in Loop: Header=BB184_53 Depth=1
	v_add_co_u32 v3, vcc_lo, v50, v47
	v_add_co_ci_u32_e64 v4, null, v51, v48, vcc_lo
	v_add_co_u32 v5, vcc_lo, v52, v47
	v_add_co_ci_u32_e64 v6, null, v53, v48, vcc_lo
	global_load_ushort v3, v[3:4], off
	global_load_ushort v11, v[5:6], off
	v_mov_b32_e32 v4, v2
	v_mov_b32_e32 v5, v2
	;; [unrolled: 1-line block ×14, first 2 shown]
	s_waitcnt vmcnt(1)
	v_cvt_f32_f16_e32 v3, v3
	s_waitcnt vmcnt(0)
	v_cvt_f32_f16_e32 v11, v11
.LBB184_60:                             ;   in Loop: Header=BB184_53 Depth=1
	s_or_b32 exec_lo, exec_lo, s12
	v_add_co_u32 v87, vcc_lo, 0xffffff02, v83
	v_add_co_ci_u32_e64 v88, null, -1, v84, vcc_lo
	s_mov_b32 s12, exec_lo
	v_cmpx_gt_i64_e64 s[8:9], v[87:88]
	s_cbranch_execz .LBB184_62
; %bb.61:                               ;   in Loop: Header=BB184_53 Depth=1
	v_add_co_u32 v87, vcc_lo, v78, v47
	v_add_co_ci_u32_e64 v88, null, v79, v48, vcc_lo
	v_add_co_u32 v89, vcc_lo, v80, v47
	v_add_co_ci_u32_e64 v90, null, v81, v48, vcc_lo
	global_load_ushort v4, v[87:88], off
	global_load_ushort v12, v[89:90], off
	s_waitcnt vmcnt(1)
	v_cvt_f32_f16_e32 v4, v4
	s_waitcnt vmcnt(0)
	v_cvt_f32_f16_e32 v12, v12
.LBB184_62:                             ;   in Loop: Header=BB184_53 Depth=1
	s_or_b32 exec_lo, exec_lo, s12
	v_add_co_u32 v87, vcc_lo, 0xffffff03, v83
	v_add_co_ci_u32_e64 v88, null, -1, v84, vcc_lo
	s_mov_b32 s12, exec_lo
	v_cmpx_gt_i64_e64 s[8:9], v[87:88]
	s_cbranch_execz .LBB184_64
; %bb.63:                               ;   in Loop: Header=BB184_53 Depth=1
	v_add_co_u32 v87, vcc_lo, v74, v47
	v_add_co_ci_u32_e64 v88, null, v75, v48, vcc_lo
	v_add_co_u32 v89, vcc_lo, v76, v47
	v_add_co_ci_u32_e64 v90, null, v77, v48, vcc_lo
	global_load_ushort v5, v[87:88], off
	global_load_ushort v13, v[89:90], off
	s_waitcnt vmcnt(1)
	v_cvt_f32_f16_e32 v5, v5
	s_waitcnt vmcnt(0)
	v_cvt_f32_f16_e32 v13, v13
.LBB184_64:                             ;   in Loop: Header=BB184_53 Depth=1
	;; [unrolled: 18-line block ×7, first 2 shown]
	s_or_b32 exec_lo, exec_lo, s12
	s_waitcnt vmcnt(0)
	ds_bpermute_b32 v85, v2, v86
	ds_bpermute_b32 v87, v2, v86 offset:4
	ds_bpermute_b32 v88, v2, v86 offset:8
	v_mul_f32_e32 v3, v11, v3
	ds_bpermute_b32 v11, v2, v86 offset:12
	v_mul_f32_e32 v4, v12, v4
	ds_bpermute_b32 v12, v2, v86 offset:16
	s_mov_b32 s12, 0
	s_waitcnt lgkmcnt(4)
	v_fma_f32 v85, v3, v85, v82
	v_mul_f32_e32 v3, v13, v5
	ds_bpermute_b32 v5, v2, v86 offset:20
	s_waitcnt lgkmcnt(4)
	v_fmac_f32_e32 v85, v4, v87
	v_mul_f32_e32 v4, v14, v6
	ds_bpermute_b32 v6, v2, v86 offset:24
	s_waitcnt lgkmcnt(4)
	v_fmac_f32_e32 v85, v3, v88
	v_mul_f32_e32 v3, v15, v7
	v_mul_f32_e32 v7, v16, v8
	s_waitcnt lgkmcnt(3)
	v_fmac_f32_e32 v85, v4, v11
	ds_bpermute_b32 v4, v2, v86 offset:28
	s_waitcnt lgkmcnt(3)
	v_fmac_f32_e32 v85, v3, v12
	v_mul_f32_e32 v3, v17, v9
	s_waitcnt lgkmcnt(2)
	v_fmac_f32_e32 v85, v7, v5
	s_waitcnt lgkmcnt(1)
	v_fmac_f32_e32 v85, v3, v6
	v_mul_f32_e32 v3, v18, v10
	s_waitcnt lgkmcnt(0)
	v_fmac_f32_e32 v85, v3, v4
.LBB184_75:                             ;   in Loop: Header=BB184_53 Depth=1
	s_and_b32 vcc_lo, exec_lo, s12
	s_cbranch_vccz .LBB184_81
; %bb.76:                               ;   in Loop: Header=BB184_53 Depth=1
	s_load_dword s12, s[0:1], 0x0
	v_mov_b32_e32 v5, 0
	s_waitcnt lgkmcnt(0)
	s_cmp_lt_u32 s6, s12
	s_cselect_b32 s12, 12, 18
	s_add_u32 s12, s0, s12
	s_addc_u32 s13, s1, 0
	global_load_ushort v3, v2, s[12:13]
	s_mov_b32 s12, exec_lo
	s_waitcnt vmcnt(0)
	v_mad_u32_u24 v3, v1, v3, v0
	v_and_b32_e32 v3, 31, v3
	v_cmpx_gt_u32_e32 8, v3
	s_cbranch_execz .LBB184_80
; %bb.77:                               ;   in Loop: Header=BB184_53 Depth=1
	v_add_co_u32 v3, vcc_lo, v83, v3
	v_add_co_ci_u32_e64 v4, null, 0, v84, vcc_lo
	v_mov_b32_e32 v5, 0
	v_add_co_u32 v3, vcc_lo, 0xffffff01, v3
	v_add_co_ci_u32_e64 v4, null, -1, v4, vcc_lo
	s_mov_b32 s13, exec_lo
	v_cmpx_gt_i64_e64 s[8:9], v[3:4]
	s_cbranch_execz .LBB184_79
; %bb.78:                               ;   in Loop: Header=BB184_53 Depth=1
	v_lshlrev_b64 v[3:4], 2, v[3:4]
	v_add_co_u32 v3, vcc_lo, s2, v3
	v_add_co_ci_u32_e64 v4, null, s3, v4, vcc_lo
	global_load_dword v5, v[3:4], off
.LBB184_79:                             ;   in Loop: Header=BB184_53 Depth=1
	s_or_b32 exec_lo, exec_lo, s13
.LBB184_80:                             ;   in Loop: Header=BB184_53 Depth=1
	s_or_b32 exec_lo, exec_lo, s12
	v_add_co_u32 v3, vcc_lo, v50, v47
	v_add_co_ci_u32_e64 v4, null, v51, v48, vcc_lo
	v_add_co_u32 v6, vcc_lo, v52, v47
	v_add_co_ci_u32_e64 v7, null, v53, v48, vcc_lo
	;; [unrolled: 2-line block ×5, first 2 shown]
	global_load_ushort v14, v[3:4], off
	global_load_ushort v15, v[6:7], off
	;; [unrolled: 1-line block ×5, first 2 shown]
	v_add_co_u32 v3, vcc_lo, v35, v47
	v_add_co_ci_u32_e64 v4, null, v36, v48, vcc_lo
	v_add_co_u32 v6, vcc_lo, v23, v47
	v_add_co_ci_u32_e64 v7, null, v24, v48, vcc_lo
	;; [unrolled: 2-line block ×5, first 2 shown]
	global_load_ushort v83, v[3:4], off
	global_load_ushort v84, v[6:7], off
	;; [unrolled: 1-line block ×5, first 2 shown]
	v_add_co_u32 v3, vcc_lo, v27, v47
	v_add_co_ci_u32_e64 v4, null, v28, v48, vcc_lo
	v_add_co_u32 v6, vcc_lo, v41, v47
	v_add_co_ci_u32_e64 v7, null, v42, v48, vcc_lo
	;; [unrolled: 2-line block ×4, first 2 shown]
	global_load_ushort v13, v[3:4], off
	global_load_ushort v87, v[6:7], off
	;; [unrolled: 1-line block ×4, first 2 shown]
	v_add_co_u32 v3, vcc_lo, v31, v47
	v_add_co_ci_u32_e64 v4, null, v32, v48, vcc_lo
	v_add_co_u32 v6, vcc_lo, v45, v47
	v_add_co_ci_u32_e64 v7, null, v46, v48, vcc_lo
	global_load_ushort v3, v[3:4], off
	global_load_ushort v4, v[6:7], off
	s_waitcnt vmcnt(16)
	ds_bpermute_b32 v6, v2, v5
	ds_bpermute_b32 v7, v2, v5 offset:4
	ds_bpermute_b32 v10, v2, v5 offset:8
	s_waitcnt vmcnt(15)
	v_cvt_f32_f16_e32 v11, v14
	s_waitcnt vmcnt(14)
	v_cvt_f32_f16_e32 v14, v15
	ds_bpermute_b32 v15, v2, v5 offset:12
	s_waitcnt vmcnt(13)
	v_cvt_f32_f16_e32 v16, v16
	s_waitcnt vmcnt(12)
	v_cvt_f32_f16_e32 v17, v17
	;; [unrolled: 2-line block ×3, first 2 shown]
	v_mul_f32_e32 v11, v11, v14
	ds_bpermute_b32 v14, v2, v5 offset:16
	v_mul_f32_e32 v16, v16, v17
	s_waitcnt lgkmcnt(4)
	v_fmac_f32_e32 v82, v11, v6
	ds_bpermute_b32 v6, v2, v5 offset:20
	s_waitcnt lgkmcnt(4)
	v_fmac_f32_e32 v82, v16, v7
	ds_bpermute_b32 v7, v2, v5 offset:24
	ds_bpermute_b32 v5, v2, v5 offset:28
	s_waitcnt vmcnt(10)
	v_cvt_f32_f16_e32 v83, v83
	s_waitcnt vmcnt(9)
	v_cvt_f32_f16_e32 v11, v84
	;; [unrolled: 2-line block ×5, first 2 shown]
	v_mul_f32_e32 v18, v18, v83
	v_mul_f32_e32 v11, v11, v17
	;; [unrolled: 1-line block ×3, first 2 shown]
	s_waitcnt lgkmcnt(5)
	v_fmac_f32_e32 v82, v18, v10
	s_waitcnt lgkmcnt(4)
	v_fmac_f32_e32 v82, v11, v15
	s_waitcnt vmcnt(5)
	v_cvt_f32_f16_e32 v10, v13
	s_waitcnt vmcnt(4)
	v_cvt_f32_f16_e32 v13, v87
	;; [unrolled: 2-line block ×4, first 2 shown]
	s_waitcnt lgkmcnt(3)
	v_fmac_f32_e32 v82, v12, v14
	v_mul_f32_e32 v10, v10, v13
	v_mul_f32_e32 v8, v8, v9
	s_waitcnt lgkmcnt(2)
	v_fmac_f32_e32 v82, v10, v6
	s_waitcnt vmcnt(1)
	v_cvt_f32_f16_e32 v3, v3
	s_waitcnt vmcnt(0)
	v_cvt_f32_f16_e32 v4, v4
	s_waitcnt lgkmcnt(1)
	v_fmac_f32_e32 v82, v8, v7
	v_mul_f32_e32 v3, v3, v4
	s_waitcnt lgkmcnt(0)
	v_fmac_f32_e32 v82, v3, v5
	v_mov_b32_e32 v85, v82
.LBB184_81:                             ;   in Loop: Header=BB184_53 Depth=1
	v_add_co_u32 v50, vcc_lo, v50, s18
	v_add_co_ci_u32_e64 v51, null, s19, v51, vcc_lo
	v_add_co_u32 v52, vcc_lo, v52, s18
	v_add_co_ci_u32_e64 v53, null, s19, v53, vcc_lo
	;; [unrolled: 2-line block ×26, first 2 shown]
	v_add_co_u32 v74, vcc_lo, v74, s18
	s_add_u32 s16, s16, s7
	v_add_co_ci_u32_e64 v75, null, s19, v75, vcc_lo
	v_add_co_u32 v76, vcc_lo, v76, s18
	s_addc_u32 s17, s17, 0
	v_add_co_ci_u32_e64 v77, null, s19, v77, vcc_lo
	v_add_co_u32 v78, vcc_lo, v78, s18
	v_cmp_ge_i64_e64 s12, s[16:17], s[8:9]
	v_add_co_ci_u32_e64 v79, null, s19, v79, vcc_lo
	v_add_co_u32 v80, vcc_lo, v80, s18
	v_add_co_ci_u32_e64 v81, null, s19, v81, vcc_lo
	s_add_u32 s20, s20, s7
	s_addc_u32 s21, s21, 0
	s_and_b32 vcc_lo, exec_lo, s12
	s_cbranch_vccnz .LBB184_83
; %bb.82:                               ;   in Loop: Header=BB184_53 Depth=1
	v_mov_b32_e32 v82, v85
	s_branch .LBB184_53
.LBB184_83:
	v_mad_u32_u24 v2, v1, 33, v0
	v_lshrrev_b32_e32 v3, 5, v0
	s_mov_b32 s7, 0
	s_mov_b32 s0, exec_lo
	v_lshl_add_u32 v2, v2, 2, 0
	v_add_nc_u32_e32 v1, v3, v1
	v_mov_b32_e32 v3, 0
	ds_write_b32 v2, v85
	ds_write_b32 v2, v3 offset:4224
	s_waitcnt lgkmcnt(0)
	s_barrier
	buffer_gl0_inv
	v_cmpx_gt_u32_e32 32, v1
	s_cbranch_execz .LBB184_86
; %bb.84:
	v_and_b32_e32 v2, 31, v0
	v_lshlrev_b32_e32 v3, 2, v1
	s_load_dwordx2 s[2:3], s[4:5], 0x30
	s_lshl_b64 s[0:1], s[6:7], 5
	v_or_b32_e32 v1, s0, v1
	v_mul_u32_u24_e32 v2, 0x84, v2
	v_cmp_eq_u32_e64 s0, 0, v0
	v_add3_u32 v2, 0, v3, v2
	v_mbcnt_lo_u32_b32 v3, -1, 0
	ds_read_b32 v2, v2
	v_xor_b32_e32 v4, 16, v3
	v_xor_b32_e32 v5, 8, v3
	v_cmp_gt_i32_e32 vcc_lo, 32, v4
	s_waitcnt lgkmcnt(0)
	s_cmp_lg_u64 s[2:3], 0
	v_cndmask_b32_e32 v4, v3, v4, vcc_lo
	v_cmp_gt_i32_e32 vcc_lo, 32, v5
	v_lshlrev_b32_e32 v4, 2, v4
	v_cndmask_b32_e32 v5, v3, v5, vcc_lo
	ds_bpermute_b32 v4, v4, v2
	v_lshlrev_b32_e32 v5, 2, v5
	s_waitcnt lgkmcnt(0)
	v_add_f32_e32 v2, v2, v4
	ds_bpermute_b32 v4, v5, v2
	v_xor_b32_e32 v5, 4, v3
	v_cmp_gt_i32_e32 vcc_lo, 32, v5
	v_cndmask_b32_e32 v5, v3, v5, vcc_lo
	v_lshlrev_b32_e32 v5, 2, v5
	s_waitcnt lgkmcnt(0)
	v_add_f32_e32 v2, v2, v4
	ds_bpermute_b32 v4, v5, v2
	v_xor_b32_e32 v5, 2, v3
	v_cmp_gt_i32_e32 vcc_lo, 32, v5
	v_cndmask_b32_e32 v5, v3, v5, vcc_lo
	;; [unrolled: 7-line block ×3, first 2 shown]
	s_waitcnt lgkmcnt(0)
	v_add_f32_e32 v3, v2, v4
	v_lshlrev_b32_e32 v2, 2, v5
	ds_bpermute_b32 v4, v2, v3
	v_mov_b32_e32 v2, s1
	s_cselect_b32 s1, -1, 0
	v_cmp_gt_i64_e32 vcc_lo, s[10:11], v[1:2]
	s_and_b32 s0, s0, vcc_lo
	s_and_b32 s0, s1, s0
	s_and_b32 exec_lo, exec_lo, s0
	s_cbranch_execz .LBB184_86
; %bb.85:
	v_lshlrev_b64 v[0:1], 1, v[1:2]
	s_waitcnt lgkmcnt(0)
	v_add_f32_e32 v2, v3, v4
	v_cvt_f16_f32_e32 v2, v2
	v_add_co_u32 v0, vcc_lo, s2, v0
	v_add_co_ci_u32_e64 v1, null, s3, v1, vcc_lo
	global_store_short v[0:1], v2, off
.LBB184_86:
	s_endpgm
	.section	.rodata,"a",@progbits
	.p2align	6, 0x0
	.amdhsa_kernel _ZN2at6native12_GLOBAL__N_135GammaBetaBackwardCUDAKernelTemplateIN3c104HalfEfLj32ELj32ELj256ELb0ELb0ELb1EEEvllPKT_S7_PKT0_SA_PS5_SB_
		.amdhsa_group_segment_fixed_size 0
		.amdhsa_private_segment_fixed_size 0
		.amdhsa_kernarg_size 320
		.amdhsa_user_sgpr_count 6
		.amdhsa_user_sgpr_private_segment_buffer 1
		.amdhsa_user_sgpr_dispatch_ptr 0
		.amdhsa_user_sgpr_queue_ptr 0
		.amdhsa_user_sgpr_kernarg_segment_ptr 1
		.amdhsa_user_sgpr_dispatch_id 0
		.amdhsa_user_sgpr_flat_scratch_init 0
		.amdhsa_user_sgpr_private_segment_size 0
		.amdhsa_wavefront_size32 1
		.amdhsa_uses_dynamic_stack 0
		.amdhsa_system_sgpr_private_segment_wavefront_offset 0
		.amdhsa_system_sgpr_workgroup_id_x 1
		.amdhsa_system_sgpr_workgroup_id_y 1
		.amdhsa_system_sgpr_workgroup_id_z 0
		.amdhsa_system_sgpr_workgroup_info 0
		.amdhsa_system_vgpr_workitem_id 1
		.amdhsa_next_free_vgpr 91
		.amdhsa_next_free_sgpr 30
		.amdhsa_reserve_vcc 1
		.amdhsa_reserve_flat_scratch 0
		.amdhsa_float_round_mode_32 0
		.amdhsa_float_round_mode_16_64 0
		.amdhsa_float_denorm_mode_32 3
		.amdhsa_float_denorm_mode_16_64 3
		.amdhsa_dx10_clamp 1
		.amdhsa_ieee_mode 1
		.amdhsa_fp16_overflow 0
		.amdhsa_workgroup_processor_mode 1
		.amdhsa_memory_ordered 1
		.amdhsa_forward_progress 1
		.amdhsa_shared_vgpr_count 0
		.amdhsa_exception_fp_ieee_invalid_op 0
		.amdhsa_exception_fp_denorm_src 0
		.amdhsa_exception_fp_ieee_div_zero 0
		.amdhsa_exception_fp_ieee_overflow 0
		.amdhsa_exception_fp_ieee_underflow 0
		.amdhsa_exception_fp_ieee_inexact 0
		.amdhsa_exception_int_div_zero 0
	.end_amdhsa_kernel
	.section	.text._ZN2at6native12_GLOBAL__N_135GammaBetaBackwardCUDAKernelTemplateIN3c104HalfEfLj32ELj32ELj256ELb0ELb0ELb1EEEvllPKT_S7_PKT0_SA_PS5_SB_,"axG",@progbits,_ZN2at6native12_GLOBAL__N_135GammaBetaBackwardCUDAKernelTemplateIN3c104HalfEfLj32ELj32ELj256ELb0ELb0ELb1EEEvllPKT_S7_PKT0_SA_PS5_SB_,comdat
.Lfunc_end184:
	.size	_ZN2at6native12_GLOBAL__N_135GammaBetaBackwardCUDAKernelTemplateIN3c104HalfEfLj32ELj32ELj256ELb0ELb0ELb1EEEvllPKT_S7_PKT0_SA_PS5_SB_, .Lfunc_end184-_ZN2at6native12_GLOBAL__N_135GammaBetaBackwardCUDAKernelTemplateIN3c104HalfEfLj32ELj32ELj256ELb0ELb0ELb1EEEvllPKT_S7_PKT0_SA_PS5_SB_
                                        ; -- End function
	.set _ZN2at6native12_GLOBAL__N_135GammaBetaBackwardCUDAKernelTemplateIN3c104HalfEfLj32ELj32ELj256ELb0ELb0ELb1EEEvllPKT_S7_PKT0_SA_PS5_SB_.num_vgpr, 91
	.set _ZN2at6native12_GLOBAL__N_135GammaBetaBackwardCUDAKernelTemplateIN3c104HalfEfLj32ELj32ELj256ELb0ELb0ELb1EEEvllPKT_S7_PKT0_SA_PS5_SB_.num_agpr, 0
	.set _ZN2at6native12_GLOBAL__N_135GammaBetaBackwardCUDAKernelTemplateIN3c104HalfEfLj32ELj32ELj256ELb0ELb0ELb1EEEvllPKT_S7_PKT0_SA_PS5_SB_.numbered_sgpr, 30
	.set _ZN2at6native12_GLOBAL__N_135GammaBetaBackwardCUDAKernelTemplateIN3c104HalfEfLj32ELj32ELj256ELb0ELb0ELb1EEEvllPKT_S7_PKT0_SA_PS5_SB_.num_named_barrier, 0
	.set _ZN2at6native12_GLOBAL__N_135GammaBetaBackwardCUDAKernelTemplateIN3c104HalfEfLj32ELj32ELj256ELb0ELb0ELb1EEEvllPKT_S7_PKT0_SA_PS5_SB_.private_seg_size, 0
	.set _ZN2at6native12_GLOBAL__N_135GammaBetaBackwardCUDAKernelTemplateIN3c104HalfEfLj32ELj32ELj256ELb0ELb0ELb1EEEvllPKT_S7_PKT0_SA_PS5_SB_.uses_vcc, 1
	.set _ZN2at6native12_GLOBAL__N_135GammaBetaBackwardCUDAKernelTemplateIN3c104HalfEfLj32ELj32ELj256ELb0ELb0ELb1EEEvllPKT_S7_PKT0_SA_PS5_SB_.uses_flat_scratch, 0
	.set _ZN2at6native12_GLOBAL__N_135GammaBetaBackwardCUDAKernelTemplateIN3c104HalfEfLj32ELj32ELj256ELb0ELb0ELb1EEEvllPKT_S7_PKT0_SA_PS5_SB_.has_dyn_sized_stack, 0
	.set _ZN2at6native12_GLOBAL__N_135GammaBetaBackwardCUDAKernelTemplateIN3c104HalfEfLj32ELj32ELj256ELb0ELb0ELb1EEEvllPKT_S7_PKT0_SA_PS5_SB_.has_recursion, 0
	.set _ZN2at6native12_GLOBAL__N_135GammaBetaBackwardCUDAKernelTemplateIN3c104HalfEfLj32ELj32ELj256ELb0ELb0ELb1EEEvllPKT_S7_PKT0_SA_PS5_SB_.has_indirect_call, 0
	.section	.AMDGPU.csdata,"",@progbits
; Kernel info:
; codeLenInByte = 7984
; TotalNumSgprs: 32
; NumVgprs: 91
; ScratchSize: 0
; MemoryBound: 0
; FloatMode: 240
; IeeeMode: 1
; LDSByteSize: 0 bytes/workgroup (compile time only)
; SGPRBlocks: 0
; VGPRBlocks: 11
; NumSGPRsForWavesPerEU: 32
; NumVGPRsForWavesPerEU: 91
; Occupancy: 10
; WaveLimiterHint : 0
; COMPUTE_PGM_RSRC2:SCRATCH_EN: 0
; COMPUTE_PGM_RSRC2:USER_SGPR: 6
; COMPUTE_PGM_RSRC2:TRAP_HANDLER: 0
; COMPUTE_PGM_RSRC2:TGID_X_EN: 1
; COMPUTE_PGM_RSRC2:TGID_Y_EN: 1
; COMPUTE_PGM_RSRC2:TGID_Z_EN: 0
; COMPUTE_PGM_RSRC2:TIDIG_COMP_CNT: 1
	.section	.text._ZN2at6native12_GLOBAL__N_118cuComputeGradInputIN3c108BFloat16EfLb1EEEvPKT_S7_llPKT0_SA_S7_PS5_,"axG",@progbits,_ZN2at6native12_GLOBAL__N_118cuComputeGradInputIN3c108BFloat16EfLb1EEEvPKT_S7_llPKT0_SA_S7_PS5_,comdat
	.globl	_ZN2at6native12_GLOBAL__N_118cuComputeGradInputIN3c108BFloat16EfLb1EEEvPKT_S7_llPKT0_SA_S7_PS5_ ; -- Begin function _ZN2at6native12_GLOBAL__N_118cuComputeGradInputIN3c108BFloat16EfLb1EEEvPKT_S7_llPKT0_SA_S7_PS5_
	.p2align	8
	.type	_ZN2at6native12_GLOBAL__N_118cuComputeGradInputIN3c108BFloat16EfLb1EEEvPKT_S7_llPKT0_SA_S7_PS5_,@function
_ZN2at6native12_GLOBAL__N_118cuComputeGradInputIN3c108BFloat16EfLb1EEEvPKT_S7_llPKT0_SA_S7_PS5_: ; @_ZN2at6native12_GLOBAL__N_118cuComputeGradInputIN3c108BFloat16EfLb1EEEvPKT_S7_llPKT0_SA_S7_PS5_
; %bb.0:
	s_load_dwordx4 s[8:11], s[4:5], 0x10
	s_mov_b32 s6, s7
	s_ashr_i32 s7, s7, 31
	s_waitcnt lgkmcnt(0)
	v_cmp_le_i64_e64 s0, s[8:9], s[6:7]
	s_and_b32 vcc_lo, exec_lo, s0
	s_cbranch_vccnz .LBB185_47
; %bb.1:
	s_clause 0x2
	s_load_dword s0, s[4:5], 0x4c
	s_load_dwordx4 s[12:15], s[4:5], 0x30
	s_load_dword s24, s[4:5], 0x44
	s_flbit_i32 s1, s11
	s_clause 0x1
	s_load_dwordx4 s[16:19], s[4:5], 0x0
	s_load_dwordx2 s[20:21], s[4:5], 0x28
	v_mov_b32_e32 v3, 0
	v_cmp_gt_i64_e64 s30, s[10:11], 0
	v_lshlrev_b32_e32 v7, 3, v0
	v_mbcnt_lo_u32_b32 v12, -1, 0
	v_cndmask_b32_e64 v11, 0, 1, s30
	v_add_nc_u32_e32 v16, 0, v7
	s_waitcnt lgkmcnt(0)
	s_lshr_b32 s25, s0, 16
	s_and_b32 s26, s0, 0xffff
	s_cmp_lg_u64 s[12:13], 0
	s_mul_i32 s31, s25, s26
	s_cselect_b32 s27, -1, 0
	s_cmp_gt_u32 s26, 1
	s_cselect_b32 s28, -1, 0
	s_cmp_gt_u32 s25, 1
	s_cselect_b32 s29, -1, 0
	s_xor_b32 s0, s10, s11
	s_add_i32 s1, s1, -1
	s_ashr_i32 s0, s0, 31
	s_ashr_i32 s33, s31, 31
	s_add_i32 s0, s0, 32
	s_min_u32 s2, s1, s0
	s_lshl_b64 s[0:1], s[10:11], s2
	s_min_u32 s0, s0, 1
	s_or_b32 s0, s1, s0
	v_cmp_ne_u32_e64 s1, 0, v1
	v_cvt_f32_i32_e32 v2, s0
	s_sub_i32 s0, 32, s2
	v_ldexp_f32 v10, v2, s0
	v_cmp_eq_u32_e64 s0, 0, v1
	v_div_scale_f32 v4, null, v10, v10, 1.0
	v_div_scale_f32 v6, vcc_lo, 1.0, v10, 1.0
	v_rcp_f32_e32 v5, v4
	v_fma_f32 v2, -v4, v5, 1.0
	v_fmac_f32_e32 v5, v2, v5
	v_mad_u32_u24 v2, v1, s26, v0
	v_mul_f32_e32 v8, v6, v5
	v_add_nc_u32_e32 v13, s31, v2
	v_cmp_gt_i64_e64 s2, s[10:11], v[2:3]
	v_fma_f32 v9, -v4, v8, v6
	v_fmac_f32_e32 v8, v9, v5
	v_lshlrev_b32_e32 v9, 3, v2
	v_fma_f32 v4, -v4, v8, v6
	v_ashrrev_i32_e32 v6, 31, v13
	v_add_nc_u32_e32 v14, 0, v9
	v_div_fmas_f32 v8, v4, v5, v8
	v_sub_co_u32 v4, vcc_lo, v13, s31
	v_subrev_co_ci_u32_e64 v5, null, s33, v6, vcc_lo
	v_div_fixup_f32 v15, v8, v10, 1.0
	s_branch .LBB185_4
.LBB185_2:                              ;   in Loop: Header=BB185_4 Depth=1
	s_or_b32 exec_lo, exec_lo, s22
.LBB185_3:                              ;   in Loop: Header=BB185_4 Depth=1
	s_add_i32 s6, s24, s6
	s_waitcnt_vscnt null, 0x0
	s_ashr_i32 s7, s6, 31
	s_barrier
	v_cmp_le_i64_e64 s3, s[8:9], s[6:7]
	buffer_gl0_inv
	s_and_b32 vcc_lo, exec_lo, s3
	s_cbranch_vccnz .LBB185_47
.LBB185_4:                              ; =>This Loop Header: Depth=1
                                        ;     Child Loop BB185_8 Depth 2
                                        ;     Child Loop BB185_19 Depth 2
	;; [unrolled: 1-line block ×6, first 2 shown]
	s_mul_i32 s3, s6, s11
	s_mul_hi_u32 s4, s6, s10
	s_mul_i32 s22, s7, s10
	s_add_i32 s3, s4, s3
	s_lshl_b64 s[4:5], s[6:7], 2
	s_add_i32 s23, s3, s22
	s_add_u32 s4, s20, s4
	s_addc_u32 s5, s21, s5
	s_mul_i32 s22, s6, s10
	s_load_dword s37, s[4:5], 0x0
	s_lshl_b64 s[22:23], s[22:23], 1
	v_cmp_ne_u32_e64 s3, 1, v11
	s_add_u32 s7, s18, s22
	s_addc_u32 s34, s19, s23
	s_add_u32 s35, s16, s22
	s_addc_u32 s36, s17, s23
	s_andn2_b32 vcc_lo, exec_lo, s27
	s_mov_b32 s4, -1
                                        ; implicit-def: $vgpr17
	s_cbranch_vccnz .LBB185_15
; %bb.5:                                ;   in Loop: Header=BB185_4 Depth=1
	v_mov_b32_e32 v17, 0
	s_and_b32 vcc_lo, exec_lo, s3
	s_cbranch_vccnz .LBB185_14
; %bb.6:                                ;   in Loop: Header=BB185_4 Depth=1
	s_mov_b32 s4, 0
	s_inst_prefetch 0x1
	s_branch .LBB185_8
	.p2align	6
.LBB185_7:                              ;   in Loop: Header=BB185_8 Depth=2
	s_or_b32 exec_lo, exec_lo, s3
	v_mul_f32_e32 v6, v8, v18
	s_add_i32 s4, s4, s31
	s_ashr_i32 s5, s4, 31
	v_cmp_le_i64_e64 s3, s[10:11], s[4:5]
	v_mul_f32_e32 v6, v9, v6
	s_waitcnt lgkmcnt(0)
	v_fmac_f32_e32 v17, s37, v6
	s_and_b32 vcc_lo, exec_lo, s3
	s_cbranch_vccnz .LBB185_14
.LBB185_8:                              ;   Parent Loop BB185_4 Depth=1
                                        ; =>  This Inner Loop Header: Depth=2
	v_add_nc_u32_e32 v6, s4, v2
	v_mov_b32_e32 v8, 0
	v_ashrrev_i32_e32 v7, 31, v6
	v_cmp_gt_i64_e32 vcc_lo, s[10:11], v[6:7]
	v_lshlrev_b64 v[6:7], 1, v[6:7]
	s_and_saveexec_b32 s5, vcc_lo
	s_cbranch_execz .LBB185_10
; %bb.9:                                ;   in Loop: Header=BB185_8 Depth=2
	v_add_co_u32 v8, s3, s12, v6
	v_add_co_ci_u32_e64 v9, null, s13, v7, s3
	global_load_ushort v8, v[8:9], off
	s_waitcnt vmcnt(0)
	v_lshlrev_b32_e32 v8, 16, v8
.LBB185_10:                             ;   in Loop: Header=BB185_8 Depth=2
	s_or_b32 exec_lo, exec_lo, s5
	v_mov_b32_e32 v18, 0
	v_mov_b32_e32 v9, 0
	s_and_saveexec_b32 s5, vcc_lo
	s_cbranch_execz .LBB185_12
; %bb.11:                               ;   in Loop: Header=BB185_8 Depth=2
	v_add_co_u32 v19, s3, s7, v6
	v_add_co_ci_u32_e64 v20, null, s34, v7, s3
	global_load_ushort v9, v[19:20], off
	s_waitcnt vmcnt(0)
	v_lshlrev_b32_e32 v9, 16, v9
.LBB185_12:                             ;   in Loop: Header=BB185_8 Depth=2
	s_or_b32 exec_lo, exec_lo, s5
	s_and_saveexec_b32 s3, vcc_lo
	s_cbranch_execz .LBB185_7
; %bb.13:                               ;   in Loop: Header=BB185_8 Depth=2
	v_add_co_u32 v6, vcc_lo, s35, v6
	v_add_co_ci_u32_e64 v7, null, s36, v7, vcc_lo
	global_load_ushort v6, v[6:7], off
	s_waitcnt vmcnt(0)
	v_lshlrev_b32_e32 v18, 16, v6
	s_branch .LBB185_7
.LBB185_14:                             ;   in Loop: Header=BB185_4 Depth=1
	s_inst_prefetch 0x2
	s_mov_b32 s4, 0
.LBB185_15:                             ;   in Loop: Header=BB185_4 Depth=1
	s_andn2_b32 vcc_lo, exec_lo, s4
	s_cbranch_vccnz .LBB185_23
; %bb.16:                               ;   in Loop: Header=BB185_4 Depth=1
	v_mov_b32_e32 v17, 0
	s_andn2_b32 vcc_lo, exec_lo, s30
	s_cbranch_vccnz .LBB185_23
; %bb.17:                               ;   in Loop: Header=BB185_4 Depth=1
	s_mov_b32 s4, 0
	s_inst_prefetch 0x1
	s_branch .LBB185_19
	.p2align	6
.LBB185_18:                             ;   in Loop: Header=BB185_19 Depth=2
	s_or_b32 exec_lo, exec_lo, s3
	s_add_i32 s4, s4, s31
	v_mul_f32_e32 v6, v8, v9
	s_ashr_i32 s5, s4, 31
	v_cmp_le_i64_e64 s3, s[10:11], s[4:5]
	s_waitcnt lgkmcnt(0)
	v_fmac_f32_e32 v17, s37, v6
	s_and_b32 vcc_lo, exec_lo, s3
	s_cbranch_vccnz .LBB185_23
.LBB185_19:                             ;   Parent Loop BB185_4 Depth=1
                                        ; =>  This Inner Loop Header: Depth=2
	v_add_nc_u32_e32 v6, s4, v2
	v_mov_b32_e32 v8, 0
	v_ashrrev_i32_e32 v7, 31, v6
	v_cmp_gt_i64_e32 vcc_lo, s[10:11], v[6:7]
	v_lshlrev_b64 v[6:7], 1, v[6:7]
	s_and_saveexec_b32 s5, vcc_lo
	s_cbranch_execz .LBB185_21
; %bb.20:                               ;   in Loop: Header=BB185_19 Depth=2
	v_add_co_u32 v8, s3, s7, v6
	v_add_co_ci_u32_e64 v9, null, s34, v7, s3
	global_load_ushort v8, v[8:9], off
	s_waitcnt vmcnt(0)
	v_lshlrev_b32_e32 v8, 16, v8
.LBB185_21:                             ;   in Loop: Header=BB185_19 Depth=2
	s_or_b32 exec_lo, exec_lo, s5
	v_mov_b32_e32 v9, 0
	s_and_saveexec_b32 s3, vcc_lo
	s_cbranch_execz .LBB185_18
; %bb.22:                               ;   in Loop: Header=BB185_19 Depth=2
	v_add_co_u32 v6, vcc_lo, s35, v6
	v_add_co_ci_u32_e64 v7, null, s36, v7, vcc_lo
	global_load_ushort v6, v[6:7], off
	s_waitcnt vmcnt(0)
	v_lshlrev_b32_e32 v9, 16, v6
	s_branch .LBB185_18
.LBB185_23:                             ;   in Loop: Header=BB185_4 Depth=1
	s_inst_prefetch 0x2
	s_andn2_b32 vcc_lo, exec_lo, s28
	s_cbranch_vccnz .LBB185_26
; %bb.24:                               ;   in Loop: Header=BB185_4 Depth=1
	s_mov_b32 s3, s26
.LBB185_25:                             ;   Parent Loop BB185_4 Depth=1
                                        ; =>  This Inner Loop Header: Depth=2
	s_lshr_b32 s4, s3, 1
	s_cmp_lt_u32 s3, 4
	v_xor_b32_e32 v6, s4, v12
	s_mov_b32 s3, s4
	v_cmp_gt_i32_e32 vcc_lo, 32, v6
	v_cndmask_b32_e32 v6, v12, v6, vcc_lo
	v_lshlrev_b32_e32 v6, 2, v6
	ds_bpermute_b32 v6, v6, v17
	s_waitcnt lgkmcnt(0)
	v_add_f32_e32 v17, v17, v6
	s_cbranch_scc0 .LBB185_25
.LBB185_26:                             ;   in Loop: Header=BB185_4 Depth=1
	s_andn2_b32 vcc_lo, exec_lo, s29
	s_mov_b32 s5, s25
	s_cbranch_vccnz .LBB185_38
	.p2align	6
.LBB185_27:                             ;   Parent Loop BB185_4 Depth=1
                                        ; =>  This Inner Loop Header: Depth=2
	s_lshr_b32 s38, s5, 1
	s_and_b32 s4, s5, 0xfffe
	v_cmp_le_u32_e64 s3, s38, v1
	v_cmp_gt_u32_e64 s4, s4, v1
	v_cmp_gt_u32_e32 vcc_lo, s38, v1
	s_and_b32 s4, s3, s4
	s_and_saveexec_b32 s3, s4
	s_cbranch_execz .LBB185_29
; %bb.28:                               ;   in Loop: Header=BB185_27 Depth=2
	v_subrev_nc_u32_e32 v6, s38, v1
	v_mad_u32_u24 v6, v6, s26, v0
	v_lshl_add_u32 v6, v6, 3, 0
	ds_write_b32 v6, v17 offset:4
.LBB185_29:                             ;   in Loop: Header=BB185_27 Depth=2
	s_or_b32 exec_lo, exec_lo, s3
	s_waitcnt lgkmcnt(0)
	s_barrier
	buffer_gl0_inv
	s_and_saveexec_b32 s3, vcc_lo
	s_cbranch_execz .LBB185_31
; %bb.30:                               ;   in Loop: Header=BB185_27 Depth=2
	ds_read_b32 v6, v14 offset:4
	s_waitcnt lgkmcnt(0)
	v_add_f32_e32 v17, v17, v6
.LBB185_31:                             ;   in Loop: Header=BB185_27 Depth=2
	s_or_b32 exec_lo, exec_lo, s3
	s_cmp_lt_u32 s5, 4
	s_barrier
	buffer_gl0_inv
	s_cbranch_scc1 .LBB185_33
; %bb.32:                               ;   in Loop: Header=BB185_27 Depth=2
	s_mov_b32 s5, s38
	s_branch .LBB185_27
.LBB185_33:                             ;   in Loop: Header=BB185_4 Depth=1
	s_and_saveexec_b32 s3, s0
; %bb.34:                               ;   in Loop: Header=BB185_4 Depth=1
	ds_write_b32 v16, v17 offset:4
; %bb.35:                               ;   in Loop: Header=BB185_4 Depth=1
	s_or_b32 exec_lo, exec_lo, s3
	s_waitcnt lgkmcnt(0)
	s_barrier
	buffer_gl0_inv
	s_and_saveexec_b32 s3, s1
; %bb.36:                               ;   in Loop: Header=BB185_4 Depth=1
	ds_read_b32 v17, v16 offset:4
; %bb.37:                               ;   in Loop: Header=BB185_4 Depth=1
	s_or_b32 exec_lo, exec_lo, s3
.LBB185_38:                             ;   in Loop: Header=BB185_4 Depth=1
	s_waitcnt lgkmcnt(0)
	v_mul_f32_e32 v18, s37, v15
	s_add_u32 s4, s14, s22
	s_addc_u32 s5, s15, s23
	s_andn2_b32 vcc_lo, exec_lo, s27
	s_cbranch_vccnz .LBB185_43
; %bb.39:                               ;   in Loop: Header=BB185_4 Depth=1
	s_and_saveexec_b32 s22, s2
	s_cbranch_execz .LBB185_42
; %bb.40:                               ;   in Loop: Header=BB185_4 Depth=1
	v_mov_b32_e32 v9, v3
	v_mov_b32_e32 v19, s37
	;; [unrolled: 1-line block ×4, first 2 shown]
	s_mov_b32 s23, 0
.LBB185_41:                             ;   Parent Loop BB185_4 Depth=1
                                        ; =>  This Inner Loop Header: Depth=2
	v_lshlrev_b64 v[20:21], 1, v[8:9]
	v_add_co_u32 v7, vcc_lo, s7, v20
	v_add_co_ci_u32_e64 v8, null, s34, v21, vcc_lo
	v_add_co_u32 v22, vcc_lo, s35, v20
	v_add_co_ci_u32_e64 v23, null, s36, v21, vcc_lo
	;; [unrolled: 2-line block ×3, first 2 shown]
	global_load_ushort v7, v[7:8], off
	global_load_ushort v8, v[22:23], off
	;; [unrolled: 1-line block ×3, first 2 shown]
	v_add_co_u32 v20, s3, s4, v20
	v_add_co_ci_u32_e64 v21, null, s5, v21, s3
	s_waitcnt vmcnt(2)
	v_lshlrev_b32_e32 v7, 16, v7
	s_waitcnt vmcnt(1)
	v_lshlrev_b32_e32 v8, 16, v8
	;; [unrolled: 2-line block ×3, first 2 shown]
	v_mul_f32_e32 v7, v19, v7
	v_mul_f32_e32 v8, v10, v8
	;; [unrolled: 1-line block ×3, first 2 shown]
	v_fma_f32 v7, v8, v9, -v7
	v_mul_f32_e32 v22, v18, v7
	v_bfe_u32 v7, v22, 16, 1
	v_cmp_o_f32_e64 s3, v22, v22
	v_add3_u32 v23, v22, v7, 0x7fff
	v_ashrrev_i32_e32 v7, 31, v6
	v_mov_b32_e32 v9, v7
	v_mov_b32_e32 v8, v6
	v_cmp_le_i64_e32 vcc_lo, s[10:11], v[6:7]
	v_lshrrev_b32_e32 v7, 16, v23
	v_add_nc_u32_e32 v6, s31, v6
	v_cndmask_b32_e64 v7, 0x7fc0, v7, s3
	s_or_b32 s23, vcc_lo, s23
	global_store_short v[20:21], v7, off
	s_andn2_b32 exec_lo, exec_lo, s23
	s_cbranch_execnz .LBB185_41
.LBB185_42:                             ;   in Loop: Header=BB185_4 Depth=1
	s_or_b32 exec_lo, exec_lo, s22
	s_cbranch_execnz .LBB185_3
	s_branch .LBB185_44
.LBB185_43:                             ;   in Loop: Header=BB185_4 Depth=1
.LBB185_44:                             ;   in Loop: Header=BB185_4 Depth=1
	s_and_saveexec_b32 s22, s2
	s_cbranch_execz .LBB185_2
; %bb.45:                               ;   in Loop: Header=BB185_4 Depth=1
	v_mov_b32_e32 v7, v5
	v_mov_b32_e32 v9, v3
	;; [unrolled: 1-line block ×5, first 2 shown]
	s_mov_b32 s23, 0
.LBB185_46:                             ;   Parent Loop BB185_4 Depth=1
                                        ; =>  This Inner Loop Header: Depth=2
	v_lshlrev_b64 v[20:21], 1, v[8:9]
	v_add_co_u32 v8, vcc_lo, s35, v20
	v_add_co_ci_u32_e64 v9, null, s36, v21, vcc_lo
	v_add_co_u32 v22, vcc_lo, s7, v20
	v_add_co_ci_u32_e64 v23, null, s34, v21, vcc_lo
	global_load_ushort v8, v[8:9], off
	global_load_ushort v9, v[22:23], off
	v_add_co_u32 v6, vcc_lo, v6, s31
	v_add_co_ci_u32_e64 v7, null, s33, v7, vcc_lo
	v_add_co_u32 v20, s3, s4, v20
	v_add_co_ci_u32_e64 v21, null, s5, v21, s3
	v_cmp_le_i64_e32 vcc_lo, s[10:11], v[6:7]
	s_or_b32 s23, vcc_lo, s23
	s_waitcnt vmcnt(1)
	v_lshlrev_b32_e32 v8, 16, v8
	s_waitcnt vmcnt(0)
	v_lshlrev_b32_e32 v9, 16, v9
	v_mul_f32_e32 v8, v10, v8
	v_mul_f32_e32 v9, v19, v9
	v_fma_f32 v8, -v17, v9, v8
	v_mul_f32_e32 v8, v18, v8
	v_bfe_u32 v9, v8, 16, 1
	v_cmp_o_f32_e64 s3, v8, v8
	v_add3_u32 v22, v8, v9, 0x7fff
	v_ashrrev_i32_e32 v9, 31, v6
	v_mov_b32_e32 v8, v6
	v_lshrrev_b32_e32 v22, 16, v22
	v_cndmask_b32_e64 v22, 0x7fc0, v22, s3
	global_store_short v[20:21], v22, off
	s_andn2_b32 exec_lo, exec_lo, s23
	s_cbranch_execnz .LBB185_46
	s_branch .LBB185_2
.LBB185_47:
	s_endpgm
	.section	.rodata,"a",@progbits
	.p2align	6, 0x0
	.amdhsa_kernel _ZN2at6native12_GLOBAL__N_118cuComputeGradInputIN3c108BFloat16EfLb1EEEvPKT_S7_llPKT0_SA_S7_PS5_
		.amdhsa_group_segment_fixed_size 0
		.amdhsa_private_segment_fixed_size 0
		.amdhsa_kernarg_size 320
		.amdhsa_user_sgpr_count 6
		.amdhsa_user_sgpr_private_segment_buffer 1
		.amdhsa_user_sgpr_dispatch_ptr 0
		.amdhsa_user_sgpr_queue_ptr 0
		.amdhsa_user_sgpr_kernarg_segment_ptr 1
		.amdhsa_user_sgpr_dispatch_id 0
		.amdhsa_user_sgpr_flat_scratch_init 0
		.amdhsa_user_sgpr_private_segment_size 0
		.amdhsa_wavefront_size32 1
		.amdhsa_uses_dynamic_stack 0
		.amdhsa_system_sgpr_private_segment_wavefront_offset 0
		.amdhsa_system_sgpr_workgroup_id_x 1
		.amdhsa_system_sgpr_workgroup_id_y 1
		.amdhsa_system_sgpr_workgroup_id_z 0
		.amdhsa_system_sgpr_workgroup_info 0
		.amdhsa_system_vgpr_workitem_id 1
		.amdhsa_next_free_vgpr 26
		.amdhsa_next_free_sgpr 39
		.amdhsa_reserve_vcc 1
		.amdhsa_reserve_flat_scratch 0
		.amdhsa_float_round_mode_32 0
		.amdhsa_float_round_mode_16_64 0
		.amdhsa_float_denorm_mode_32 3
		.amdhsa_float_denorm_mode_16_64 3
		.amdhsa_dx10_clamp 1
		.amdhsa_ieee_mode 1
		.amdhsa_fp16_overflow 0
		.amdhsa_workgroup_processor_mode 1
		.amdhsa_memory_ordered 1
		.amdhsa_forward_progress 1
		.amdhsa_shared_vgpr_count 0
		.amdhsa_exception_fp_ieee_invalid_op 0
		.amdhsa_exception_fp_denorm_src 0
		.amdhsa_exception_fp_ieee_div_zero 0
		.amdhsa_exception_fp_ieee_overflow 0
		.amdhsa_exception_fp_ieee_underflow 0
		.amdhsa_exception_fp_ieee_inexact 0
		.amdhsa_exception_int_div_zero 0
	.end_amdhsa_kernel
	.section	.text._ZN2at6native12_GLOBAL__N_118cuComputeGradInputIN3c108BFloat16EfLb1EEEvPKT_S7_llPKT0_SA_S7_PS5_,"axG",@progbits,_ZN2at6native12_GLOBAL__N_118cuComputeGradInputIN3c108BFloat16EfLb1EEEvPKT_S7_llPKT0_SA_S7_PS5_,comdat
.Lfunc_end185:
	.size	_ZN2at6native12_GLOBAL__N_118cuComputeGradInputIN3c108BFloat16EfLb1EEEvPKT_S7_llPKT0_SA_S7_PS5_, .Lfunc_end185-_ZN2at6native12_GLOBAL__N_118cuComputeGradInputIN3c108BFloat16EfLb1EEEvPKT_S7_llPKT0_SA_S7_PS5_
                                        ; -- End function
	.set _ZN2at6native12_GLOBAL__N_118cuComputeGradInputIN3c108BFloat16EfLb1EEEvPKT_S7_llPKT0_SA_S7_PS5_.num_vgpr, 26
	.set _ZN2at6native12_GLOBAL__N_118cuComputeGradInputIN3c108BFloat16EfLb1EEEvPKT_S7_llPKT0_SA_S7_PS5_.num_agpr, 0
	.set _ZN2at6native12_GLOBAL__N_118cuComputeGradInputIN3c108BFloat16EfLb1EEEvPKT_S7_llPKT0_SA_S7_PS5_.numbered_sgpr, 39
	.set _ZN2at6native12_GLOBAL__N_118cuComputeGradInputIN3c108BFloat16EfLb1EEEvPKT_S7_llPKT0_SA_S7_PS5_.num_named_barrier, 0
	.set _ZN2at6native12_GLOBAL__N_118cuComputeGradInputIN3c108BFloat16EfLb1EEEvPKT_S7_llPKT0_SA_S7_PS5_.private_seg_size, 0
	.set _ZN2at6native12_GLOBAL__N_118cuComputeGradInputIN3c108BFloat16EfLb1EEEvPKT_S7_llPKT0_SA_S7_PS5_.uses_vcc, 1
	.set _ZN2at6native12_GLOBAL__N_118cuComputeGradInputIN3c108BFloat16EfLb1EEEvPKT_S7_llPKT0_SA_S7_PS5_.uses_flat_scratch, 0
	.set _ZN2at6native12_GLOBAL__N_118cuComputeGradInputIN3c108BFloat16EfLb1EEEvPKT_S7_llPKT0_SA_S7_PS5_.has_dyn_sized_stack, 0
	.set _ZN2at6native12_GLOBAL__N_118cuComputeGradInputIN3c108BFloat16EfLb1EEEvPKT_S7_llPKT0_SA_S7_PS5_.has_recursion, 0
	.set _ZN2at6native12_GLOBAL__N_118cuComputeGradInputIN3c108BFloat16EfLb1EEEvPKT_S7_llPKT0_SA_S7_PS5_.has_indirect_call, 0
	.section	.AMDGPU.csdata,"",@progbits
; Kernel info:
; codeLenInByte = 1752
; TotalNumSgprs: 41
; NumVgprs: 26
; ScratchSize: 0
; MemoryBound: 0
; FloatMode: 240
; IeeeMode: 1
; LDSByteSize: 0 bytes/workgroup (compile time only)
; SGPRBlocks: 0
; VGPRBlocks: 3
; NumSGPRsForWavesPerEU: 41
; NumVGPRsForWavesPerEU: 26
; Occupancy: 16
; WaveLimiterHint : 0
; COMPUTE_PGM_RSRC2:SCRATCH_EN: 0
; COMPUTE_PGM_RSRC2:USER_SGPR: 6
; COMPUTE_PGM_RSRC2:TRAP_HANDLER: 0
; COMPUTE_PGM_RSRC2:TGID_X_EN: 1
; COMPUTE_PGM_RSRC2:TGID_Y_EN: 1
; COMPUTE_PGM_RSRC2:TGID_Z_EN: 0
; COMPUTE_PGM_RSRC2:TIDIG_COMP_CNT: 1
	.section	.text._ZN2at6native12_GLOBAL__N_128layer_norm_grad_input_kernelIN3c108BFloat16EfLb1EEEvPKT_S7_PKT0_SA_S7_PS5_i,"axG",@progbits,_ZN2at6native12_GLOBAL__N_128layer_norm_grad_input_kernelIN3c108BFloat16EfLb1EEEvPKT_S7_PKT0_SA_S7_PS5_i,comdat
	.globl	_ZN2at6native12_GLOBAL__N_128layer_norm_grad_input_kernelIN3c108BFloat16EfLb1EEEvPKT_S7_PKT0_SA_S7_PS5_i ; -- Begin function _ZN2at6native12_GLOBAL__N_128layer_norm_grad_input_kernelIN3c108BFloat16EfLb1EEEvPKT_S7_PKT0_SA_S7_PS5_i
	.p2align	8
	.type	_ZN2at6native12_GLOBAL__N_128layer_norm_grad_input_kernelIN3c108BFloat16EfLb1EEEvPKT_S7_PKT0_SA_S7_PS5_i,@function
_ZN2at6native12_GLOBAL__N_128layer_norm_grad_input_kernelIN3c108BFloat16EfLb1EEEvPKT_S7_PKT0_SA_S7_PS5_i: ; @_ZN2at6native12_GLOBAL__N_128layer_norm_grad_input_kernelIN3c108BFloat16EfLb1EEEvPKT_S7_PKT0_SA_S7_PS5_i
; %bb.0:
	s_clause 0x2
	s_load_dword s14, s[4:5], 0x30
	s_load_dwordx4 s[0:3], s[4:5], 0x18
	s_load_dwordx4 s[8:11], s[4:5], 0x0
	s_mov_b32 s7, 0
	v_lshlrev_b32_e32 v1, 2, v0
	v_mov_b32_e32 v9, 0
	v_or_b32_e32 v2, 3, v1
	s_waitcnt lgkmcnt(0)
	s_ashr_i32 s12, s14, 31
	s_mul_hi_u32 s15, s14, s6
	s_mul_i32 s16, s12, s6
	s_lshl_b64 s[12:13], s[6:7], 2
	s_add_i32 s17, s15, s16
	s_add_u32 s0, s0, s12
	s_addc_u32 s1, s1, s13
	s_mul_i32 s16, s14, s6
	s_load_dword s1, s[0:1], 0x0
	s_lshl_b64 s[12:13], s[16:17], 1
	s_mov_b32 s0, exec_lo
	s_add_u32 s6, s10, s12
	s_addc_u32 s15, s11, s13
	s_add_u32 s16, s8, s12
	s_addc_u32 s17, s9, s13
	v_cmpx_gt_u32_e64 s14, v2
	s_cbranch_execz .LBB186_12
; %bb.1:
	s_load_dword s19, s[4:5], 0x44
	s_cmp_lg_u64 s[2:3], 0
	v_mov_b32_e32 v2, 0
	v_mov_b32_e32 v9, 0
	s_cselect_b32 s18, -1, 0
	s_waitcnt lgkmcnt(0)
	s_and_b32 s19, s19, 0xffff
	s_lshl_b32 s19, s19, 2
	s_branch .LBB186_3
.LBB186_2:                              ;   in Loop: Header=BB186_3 Depth=1
	global_load_ushort v5, v[5:6], off offset:6
	global_load_ushort v3, v[3:4], off offset:6
	s_waitcnt vmcnt(6)
	v_lshlrev_b32_e32 v4, 16, v13
	v_lshlrev_b32_e32 v6, 16, v12
	s_waitcnt vmcnt(4)
	v_lshlrev_b32_e32 v7, 16, v16
	s_waitcnt vmcnt(2)
	v_lshlrev_b32_e32 v8, 16, v19
	v_add_nc_u32_e32 v1, s19, v1
	v_mul_f32_e32 v4, v11, v4
	v_mul_f32_e32 v7, v10, v7
	;; [unrolled: 1-line block ×3, first 2 shown]
	v_lshlrev_b32_e32 v6, 16, v15
	v_fmac_f32_e32 v9, s1, v4
	v_mul_f32_e32 v4, v7, v6
	v_lshlrev_b32_e32 v6, 16, v18
	v_mul_f32_e32 v7, v17, v8
	v_fmac_f32_e32 v9, s1, v4
	v_mul_f32_e32 v4, v7, v6
	v_add_nc_u32_e32 v6, 3, v1
	v_fmac_f32_e32 v9, s1, v4
	v_cmp_le_u32_e32 vcc_lo, s14, v6
	s_or_b32 s7, vcc_lo, s7
	s_waitcnt vmcnt(1)
	v_lshlrev_b32_e32 v5, 16, v5
	s_waitcnt vmcnt(0)
	v_lshlrev_b32_e32 v3, 16, v3
	v_mul_f32_e32 v5, v14, v5
	v_mul_f32_e32 v3, v5, v3
	v_fmac_f32_e32 v9, s1, v3
	s_andn2_b32 exec_lo, exec_lo, s7
	s_cbranch_execz .LBB186_11
.LBB186_3:                              ; =>This Inner Loop Header: Depth=1
	v_lshlrev_b64 v[7:8], 1, v[1:2]
	v_mov_b32_e32 v10, 1.0
	v_mov_b32_e32 v11, 1.0
	s_and_b32 vcc_lo, exec_lo, s18
	s_cbranch_vccz .LBB186_5
; %bb.4:                                ;   in Loop: Header=BB186_3 Depth=1
	v_add_co_u32 v3, vcc_lo, s2, v7
	v_add_co_ci_u32_e64 v4, null, s3, v8, vcc_lo
	global_load_ushort v3, v[3:4], off
	s_waitcnt vmcnt(0)
	v_lshlrev_b32_e32 v11, 16, v3
.LBB186_5:                              ;   in Loop: Header=BB186_3 Depth=1
	v_add_co_u32 v3, vcc_lo, s6, v7
	v_add_co_ci_u32_e64 v4, null, s15, v8, vcc_lo
	v_add_co_u32 v5, vcc_lo, s16, v7
	v_add_co_ci_u32_e64 v6, null, s17, v8, vcc_lo
	global_load_ushort v12, v[3:4], off
	global_load_ushort v13, v[5:6], off
	s_andn2_b32 vcc_lo, exec_lo, s18
	s_cbranch_vccnz .LBB186_7
; %bb.6:                                ;   in Loop: Header=BB186_3 Depth=1
	v_add_co_u32 v14, vcc_lo, s2, v7
	v_add_co_ci_u32_e64 v15, null, s3, v8, vcc_lo
	global_load_ushort v10, v[14:15], off offset:2
	s_waitcnt vmcnt(0)
	v_lshlrev_b32_e32 v10, 16, v10
.LBB186_7:                              ;   in Loop: Header=BB186_3 Depth=1
	global_load_ushort v15, v[3:4], off offset:2
	global_load_ushort v16, v[5:6], off offset:2
	v_mov_b32_e32 v14, 1.0
	v_mov_b32_e32 v17, 1.0
	s_andn2_b32 vcc_lo, exec_lo, s18
	s_cbranch_vccnz .LBB186_9
; %bb.8:                                ;   in Loop: Header=BB186_3 Depth=1
	v_add_co_u32 v17, vcc_lo, s2, v7
	v_add_co_ci_u32_e64 v18, null, s3, v8, vcc_lo
	global_load_ushort v17, v[17:18], off offset:4
	s_waitcnt vmcnt(0)
	v_lshlrev_b32_e32 v17, 16, v17
.LBB186_9:                              ;   in Loop: Header=BB186_3 Depth=1
	global_load_ushort v18, v[3:4], off offset:4
	global_load_ushort v19, v[5:6], off offset:4
	s_andn2_b32 vcc_lo, exec_lo, s18
	s_cbranch_vccnz .LBB186_2
; %bb.10:                               ;   in Loop: Header=BB186_3 Depth=1
	v_add_co_u32 v7, vcc_lo, s2, v7
	v_add_co_ci_u32_e64 v8, null, s3, v8, vcc_lo
	global_load_ushort v7, v[7:8], off offset:6
	s_waitcnt vmcnt(0)
	v_lshlrev_b32_e32 v14, 16, v7
	s_branch .LBB186_2
.LBB186_11:
	s_or_b32 exec_lo, exec_lo, s7
.LBB186_12:
	s_or_b32 exec_lo, exec_lo, s0
	s_mov_b32 s7, exec_lo
	v_cmpx_gt_u32_e64 s14, v1
	s_cbranch_execz .LBB186_19
; %bb.13:
	v_mov_b32_e32 v2, 0
	s_cmp_lg_u64 s[2:3], 0
	v_lshlrev_b64 v[2:3], 1, v[1:2]
	v_add_co_u32 v6, vcc_lo, s12, v2
	v_add_co_ci_u32_e64 v7, null, s13, v3, vcc_lo
	v_add_co_u32 v2, vcc_lo, s2, v2
	v_add_co_ci_u32_e64 v3, null, s3, v3, vcc_lo
	;; [unrolled: 2-line block ×4, first 2 shown]
	s_cselect_b32 s8, -1, 0
	s_mov_b32 s9, 0
	s_inst_prefetch 0x1
	s_branch .LBB186_16
	.p2align	6
.LBB186_14:                             ;   in Loop: Header=BB186_16 Depth=1
	global_load_ushort v8, v[2:3], off
	s_waitcnt vmcnt(0)
	v_lshlrev_b32_e32 v8, 16, v8
.LBB186_15:                             ;   in Loop: Header=BB186_16 Depth=1
	global_load_ushort v10, v[6:7], off
	global_load_ushort v11, v[4:5], off
	v_add_nc_u32_e32 v1, 1, v1
	v_add_co_u32 v2, vcc_lo, v2, 2
	v_add_co_ci_u32_e64 v3, null, 0, v3, vcc_lo
	v_add_co_u32 v4, vcc_lo, v4, 2
	v_add_co_ci_u32_e64 v5, null, 0, v5, vcc_lo
	v_cmp_le_u32_e32 vcc_lo, s14, v1
	v_add_co_u32 v6, s0, v6, 2
	v_add_co_ci_u32_e64 v7, null, 0, v7, s0
	s_or_b32 s9, vcc_lo, s9
	s_waitcnt vmcnt(1)
	v_lshlrev_b32_e32 v10, 16, v10
	s_waitcnt vmcnt(0)
	v_lshlrev_b32_e32 v11, 16, v11
	v_mul_f32_e32 v8, v8, v10
	v_mul_f32_e32 v8, v8, v11
	s_waitcnt lgkmcnt(0)
	v_fmac_f32_e32 v9, s1, v8
	s_andn2_b32 exec_lo, exec_lo, s9
	s_cbranch_execz .LBB186_18
.LBB186_16:                             ; =>This Inner Loop Header: Depth=1
	s_andn2_b32 vcc_lo, exec_lo, s8
	s_cbranch_vccz .LBB186_14
; %bb.17:                               ;   in Loop: Header=BB186_16 Depth=1
	v_mov_b32_e32 v8, 1.0
	s_branch .LBB186_15
.LBB186_18:
	s_inst_prefetch 0x2
	s_or_b32 exec_lo, exec_lo, s9
.LBB186_19:
	s_or_b32 exec_lo, exec_lo, s7
	v_mbcnt_lo_u32_b32 v5, -1, 0
	s_mov_b32 s0, exec_lo
	s_waitcnt lgkmcnt(0)
	s_barrier
	buffer_gl0_inv
	v_lshl_or_b32 v1, v5, 2, 64
	v_cmp_gt_u32_e32 vcc_lo, 24, v5
	ds_bpermute_b32 v3, v1, v9
	v_cndmask_b32_e64 v2, 0, 8, vcc_lo
	v_cmp_gt_u32_e32 vcc_lo, 28, v5
	v_add_lshl_u32 v2, v2, v5, 2
	s_waitcnt lgkmcnt(0)
	v_add_f32_e32 v4, v9, v3
	v_cndmask_b32_e64 v3, 0, 4, vcc_lo
	v_cmp_gt_u32_e32 vcc_lo, 30, v5
	ds_bpermute_b32 v6, v2, v4
	v_add_lshl_u32 v3, v3, v5, 2
	s_waitcnt lgkmcnt(0)
	v_add_f32_e32 v6, v4, v6
	v_cndmask_b32_e64 v4, 0, 2, vcc_lo
	v_cmp_ne_u32_e32 vcc_lo, 31, v5
	ds_bpermute_b32 v7, v3, v6
	v_add_lshl_u32 v4, v4, v5, 2
	v_add_co_ci_u32_e64 v5, null, 0, v5, vcc_lo
	v_lshlrev_b32_e32 v5, 2, v5
	s_waitcnt lgkmcnt(0)
	v_add_f32_e32 v6, v6, v7
	ds_bpermute_b32 v7, v4, v6
	s_waitcnt lgkmcnt(0)
	v_add_f32_e32 v7, v6, v7
	v_and_b32_e32 v6, 31, v0
	ds_bpermute_b32 v8, v5, v7
	v_cmpx_eq_u32_e32 0, v6
	s_cbranch_execz .LBB186_21
; %bb.20:
	v_lshrrev_b32_e32 v9, 3, v0
	s_waitcnt lgkmcnt(0)
	v_add_f32_e32 v7, v7, v8
	v_add_nc_u32_e32 v9, 0, v9
	ds_write_b32 v9, v7
.LBB186_21:
	s_or_b32 exec_lo, exec_lo, s0
	s_waitcnt lgkmcnt(0)
	s_barrier
	buffer_gl0_inv
	s_load_dword s0, s[4:5], 0x44
	v_mov_b32_e32 v7, 0
	s_waitcnt lgkmcnt(0)
	s_bfe_u32 s7, s0, 0xb0005
	v_cmp_gt_u32_e32 vcc_lo, s7, v0
	s_and_saveexec_b32 s7, vcc_lo
; %bb.22:
	v_lshl_add_u32 v6, v6, 2, 0
	ds_read_b32 v7, v6
; %bb.23:
	s_or_b32 exec_lo, exec_lo, s7
	s_mov_b32 s7, exec_lo
	v_cmpx_gt_u32_e32 32, v0
	s_cbranch_execz .LBB186_25
; %bb.24:
	s_waitcnt lgkmcnt(0)
	ds_bpermute_b32 v1, v1, v7
	s_waitcnt lgkmcnt(0)
	v_add_f32_e32 v1, v7, v1
	ds_bpermute_b32 v2, v2, v1
	s_waitcnt lgkmcnt(0)
	v_add_f32_e32 v1, v1, v2
	;; [unrolled: 3-line block ×5, first 2 shown]
.LBB186_25:
	s_or_b32 exec_lo, exec_lo, s7
	s_mov_b32 s7, exec_lo
	v_cmpx_eq_u32_e32 0, v0
	s_cbranch_execz .LBB186_27
; %bb.26:
	v_mov_b32_e32 v1, 0
	s_waitcnt lgkmcnt(0)
	ds_write_b32 v1, v7 offset:4
.LBB186_27:
	s_or_b32 exec_lo, exec_lo, s7
	s_waitcnt lgkmcnt(0)
	s_barrier
	buffer_gl0_inv
	s_mov_b32 s7, exec_lo
	v_cmpx_gt_i32_e64 s14, v0
	s_cbranch_execz .LBB186_33
; %bb.28:
	v_cvt_f32_i32_e32 v3, s14
	s_load_dwordx2 s[8:9], s[4:5], 0x28
	s_and_b32 s4, 0xffff, s0
	v_div_scale_f32 v1, null, v3, v3, 1.0
	v_div_scale_f32 v5, vcc_lo, 1.0, v3, 1.0
	v_rcp_f32_e32 v2, v1
	v_fma_f32 v4, -v1, v2, 1.0
	s_waitcnt lgkmcnt(0)
	s_add_u32 s5, s8, s12
	s_addc_u32 s7, s9, s13
	s_cmp_lg_u64 s[2:3], 0
	s_mov_b32 s9, 0
	v_fmac_f32_e32 v2, v4, v2
	s_cselect_b32 s8, -1, 0
	v_mul_f32_e32 v6, v5, v2
	v_fma_f32 v4, -v1, v6, v5
	v_fmac_f32_e32 v6, v4, v2
	v_mov_b32_e32 v4, 0
	v_fma_f32 v1, -v1, v6, v5
	ds_read_b32 v4, v4 offset:4
	v_div_fmas_f32 v1, v1, v2, v6
	v_mov_b32_e32 v6, 0x7fc0
	v_div_fixup_f32 v1, v1, v3, 1.0
	v_mul_f32_e32 v5, s1, v1
	s_branch .LBB186_31
.LBB186_29:                             ;   in Loop: Header=BB186_31 Depth=1
	v_add_co_u32 v9, vcc_lo, s2, v1
	v_add_co_ci_u32_e64 v10, null, s3, v2, vcc_lo
	global_load_ushort v9, v[9:10], off
	s_waitcnt vmcnt(0)
	v_lshlrev_b32_e32 v9, 16, v9
.LBB186_30:                             ;   in Loop: Header=BB186_31 Depth=1
	s_waitcnt vmcnt(1)
	v_lshlrev_b32_e32 v7, 16, v7
	v_mul_f32_e32 v9, v9, v3
	s_waitcnt vmcnt(0)
	v_lshlrev_b32_e32 v8, 16, v8
	v_add_nc_u32_e32 v0, s4, v0
	v_mul_f32_e32 v7, s1, v7
	v_cmp_le_i32_e64 s0, s14, v0
	s_waitcnt lgkmcnt(0)
	v_mul_f32_e32 v7, v4, v7
	s_or_b32 s9, s0, s9
	v_fma_f32 v7, v9, v8, -v7
	v_mul_f32_e32 v7, v5, v7
	v_bfe_u32 v8, v7, 16, 1
	v_cmp_o_f32_e32 vcc_lo, v7, v7
	v_add3_u32 v7, v7, v8, 0x7fff
	v_cndmask_b32_sdwa v7, v6, v7, vcc_lo dst_sel:DWORD dst_unused:UNUSED_PAD src0_sel:DWORD src1_sel:WORD_1
	v_add_co_u32 v1, vcc_lo, s5, v1
	v_add_co_ci_u32_e64 v2, null, s7, v2, vcc_lo
	global_store_short v[1:2], v7, off
	s_andn2_b32 exec_lo, exec_lo, s9
	s_cbranch_execz .LBB186_33
.LBB186_31:                             ; =>This Inner Loop Header: Depth=1
	v_ashrrev_i32_e32 v1, 31, v0
	v_lshlrev_b64 v[1:2], 1, v[0:1]
	v_add_co_u32 v7, vcc_lo, s6, v1
	v_add_co_ci_u32_e64 v8, null, s15, v2, vcc_lo
	v_add_co_u32 v9, vcc_lo, s16, v1
	v_add_co_ci_u32_e64 v10, null, s17, v2, vcc_lo
	global_load_ushort v7, v[7:8], off
	global_load_ushort v8, v[9:10], off
	s_andn2_b32 vcc_lo, exec_lo, s8
	s_cbranch_vccz .LBB186_29
; %bb.32:                               ;   in Loop: Header=BB186_31 Depth=1
	v_mov_b32_e32 v9, 1.0
	s_branch .LBB186_30
.LBB186_33:
	s_endpgm
	.section	.rodata,"a",@progbits
	.p2align	6, 0x0
	.amdhsa_kernel _ZN2at6native12_GLOBAL__N_128layer_norm_grad_input_kernelIN3c108BFloat16EfLb1EEEvPKT_S7_PKT0_SA_S7_PS5_i
		.amdhsa_group_segment_fixed_size 0
		.amdhsa_private_segment_fixed_size 0
		.amdhsa_kernarg_size 312
		.amdhsa_user_sgpr_count 6
		.amdhsa_user_sgpr_private_segment_buffer 1
		.amdhsa_user_sgpr_dispatch_ptr 0
		.amdhsa_user_sgpr_queue_ptr 0
		.amdhsa_user_sgpr_kernarg_segment_ptr 1
		.amdhsa_user_sgpr_dispatch_id 0
		.amdhsa_user_sgpr_flat_scratch_init 0
		.amdhsa_user_sgpr_private_segment_size 0
		.amdhsa_wavefront_size32 1
		.amdhsa_uses_dynamic_stack 0
		.amdhsa_system_sgpr_private_segment_wavefront_offset 0
		.amdhsa_system_sgpr_workgroup_id_x 1
		.amdhsa_system_sgpr_workgroup_id_y 0
		.amdhsa_system_sgpr_workgroup_id_z 0
		.amdhsa_system_sgpr_workgroup_info 0
		.amdhsa_system_vgpr_workitem_id 0
		.amdhsa_next_free_vgpr 20
		.amdhsa_next_free_sgpr 20
		.amdhsa_reserve_vcc 1
		.amdhsa_reserve_flat_scratch 0
		.amdhsa_float_round_mode_32 0
		.amdhsa_float_round_mode_16_64 0
		.amdhsa_float_denorm_mode_32 3
		.amdhsa_float_denorm_mode_16_64 3
		.amdhsa_dx10_clamp 1
		.amdhsa_ieee_mode 1
		.amdhsa_fp16_overflow 0
		.amdhsa_workgroup_processor_mode 1
		.amdhsa_memory_ordered 1
		.amdhsa_forward_progress 1
		.amdhsa_shared_vgpr_count 0
		.amdhsa_exception_fp_ieee_invalid_op 0
		.amdhsa_exception_fp_denorm_src 0
		.amdhsa_exception_fp_ieee_div_zero 0
		.amdhsa_exception_fp_ieee_overflow 0
		.amdhsa_exception_fp_ieee_underflow 0
		.amdhsa_exception_fp_ieee_inexact 0
		.amdhsa_exception_int_div_zero 0
	.end_amdhsa_kernel
	.section	.text._ZN2at6native12_GLOBAL__N_128layer_norm_grad_input_kernelIN3c108BFloat16EfLb1EEEvPKT_S7_PKT0_SA_S7_PS5_i,"axG",@progbits,_ZN2at6native12_GLOBAL__N_128layer_norm_grad_input_kernelIN3c108BFloat16EfLb1EEEvPKT_S7_PKT0_SA_S7_PS5_i,comdat
.Lfunc_end186:
	.size	_ZN2at6native12_GLOBAL__N_128layer_norm_grad_input_kernelIN3c108BFloat16EfLb1EEEvPKT_S7_PKT0_SA_S7_PS5_i, .Lfunc_end186-_ZN2at6native12_GLOBAL__N_128layer_norm_grad_input_kernelIN3c108BFloat16EfLb1EEEvPKT_S7_PKT0_SA_S7_PS5_i
                                        ; -- End function
	.set _ZN2at6native12_GLOBAL__N_128layer_norm_grad_input_kernelIN3c108BFloat16EfLb1EEEvPKT_S7_PKT0_SA_S7_PS5_i.num_vgpr, 20
	.set _ZN2at6native12_GLOBAL__N_128layer_norm_grad_input_kernelIN3c108BFloat16EfLb1EEEvPKT_S7_PKT0_SA_S7_PS5_i.num_agpr, 0
	.set _ZN2at6native12_GLOBAL__N_128layer_norm_grad_input_kernelIN3c108BFloat16EfLb1EEEvPKT_S7_PKT0_SA_S7_PS5_i.numbered_sgpr, 20
	.set _ZN2at6native12_GLOBAL__N_128layer_norm_grad_input_kernelIN3c108BFloat16EfLb1EEEvPKT_S7_PKT0_SA_S7_PS5_i.num_named_barrier, 0
	.set _ZN2at6native12_GLOBAL__N_128layer_norm_grad_input_kernelIN3c108BFloat16EfLb1EEEvPKT_S7_PKT0_SA_S7_PS5_i.private_seg_size, 0
	.set _ZN2at6native12_GLOBAL__N_128layer_norm_grad_input_kernelIN3c108BFloat16EfLb1EEEvPKT_S7_PKT0_SA_S7_PS5_i.uses_vcc, 1
	.set _ZN2at6native12_GLOBAL__N_128layer_norm_grad_input_kernelIN3c108BFloat16EfLb1EEEvPKT_S7_PKT0_SA_S7_PS5_i.uses_flat_scratch, 0
	.set _ZN2at6native12_GLOBAL__N_128layer_norm_grad_input_kernelIN3c108BFloat16EfLb1EEEvPKT_S7_PKT0_SA_S7_PS5_i.has_dyn_sized_stack, 0
	.set _ZN2at6native12_GLOBAL__N_128layer_norm_grad_input_kernelIN3c108BFloat16EfLb1EEEvPKT_S7_PKT0_SA_S7_PS5_i.has_recursion, 0
	.set _ZN2at6native12_GLOBAL__N_128layer_norm_grad_input_kernelIN3c108BFloat16EfLb1EEEvPKT_S7_PKT0_SA_S7_PS5_i.has_indirect_call, 0
	.section	.AMDGPU.csdata,"",@progbits
; Kernel info:
; codeLenInByte = 1700
; TotalNumSgprs: 22
; NumVgprs: 20
; ScratchSize: 0
; MemoryBound: 0
; FloatMode: 240
; IeeeMode: 1
; LDSByteSize: 0 bytes/workgroup (compile time only)
; SGPRBlocks: 0
; VGPRBlocks: 2
; NumSGPRsForWavesPerEU: 22
; NumVGPRsForWavesPerEU: 20
; Occupancy: 16
; WaveLimiterHint : 0
; COMPUTE_PGM_RSRC2:SCRATCH_EN: 0
; COMPUTE_PGM_RSRC2:USER_SGPR: 6
; COMPUTE_PGM_RSRC2:TRAP_HANDLER: 0
; COMPUTE_PGM_RSRC2:TGID_X_EN: 1
; COMPUTE_PGM_RSRC2:TGID_Y_EN: 0
; COMPUTE_PGM_RSRC2:TGID_Z_EN: 0
; COMPUTE_PGM_RSRC2:TIDIG_COMP_CNT: 0
	.section	.text._ZN2at6native12_GLOBAL__N_133GammaBetaBackwardSimpleCUDAKernelIN3c108BFloat16EfLb1EEEvllPKT_S7_PKT0_SA_PS5_SB_,"axG",@progbits,_ZN2at6native12_GLOBAL__N_133GammaBetaBackwardSimpleCUDAKernelIN3c108BFloat16EfLb1EEEvllPKT_S7_PKT0_SA_PS5_SB_,comdat
	.globl	_ZN2at6native12_GLOBAL__N_133GammaBetaBackwardSimpleCUDAKernelIN3c108BFloat16EfLb1EEEvllPKT_S7_PKT0_SA_PS5_SB_ ; -- Begin function _ZN2at6native12_GLOBAL__N_133GammaBetaBackwardSimpleCUDAKernelIN3c108BFloat16EfLb1EEEvllPKT_S7_PKT0_SA_PS5_SB_
	.p2align	8
	.type	_ZN2at6native12_GLOBAL__N_133GammaBetaBackwardSimpleCUDAKernelIN3c108BFloat16EfLb1EEEvllPKT_S7_PKT0_SA_PS5_SB_,@function
_ZN2at6native12_GLOBAL__N_133GammaBetaBackwardSimpleCUDAKernelIN3c108BFloat16EfLb1EEEvllPKT_S7_PKT0_SA_PS5_SB_: ; @_ZN2at6native12_GLOBAL__N_133GammaBetaBackwardSimpleCUDAKernelIN3c108BFloat16EfLb1EEEvllPKT_S7_PKT0_SA_PS5_SB_
; %bb.0:
	s_clause 0x1
	s_load_dword s0, s[4:5], 0x4c
	s_load_dwordx8 s[8:15], s[4:5], 0x0
	v_mov_b32_e32 v1, 0
	s_waitcnt lgkmcnt(0)
	s_and_b32 s0, s0, 0xffff
	v_mad_u64_u32 v[2:3], null, s0, s6, v[0:1]
	s_mov_b32 s0, exec_lo
	v_cmpx_gt_i64_e64 s[10:11], v[2:3]
	s_cbranch_execz .LBB187_8
; %bb.1:
	s_load_dwordx4 s[0:3], s[4:5], 0x28
	v_cmp_lt_i64_e64 s4, s[8:9], 1
	v_lshlrev_b64 v[2:3], 1, v[2:3]
	s_and_b32 vcc_lo, exec_lo, s4
	s_cbranch_vccnz .LBB187_6
; %bb.2:
	v_mov_b32_e32 v5, v3
	v_mov_b32_e32 v1, 0
	;; [unrolled: 1-line block ×3, first 2 shown]
	s_waitcnt lgkmcnt(0)
	s_cmp_lg_u64 s[2:3], 0
	s_cselect_b32 s6, -1, 0
	s_lshl_b64 s[4:5], s[10:11], 1
	s_inst_prefetch 0x1
	s_branch .LBB187_4
	.p2align	6
.LBB187_3:                              ;   in Loop: Header=BB187_4 Depth=1
	v_add_co_u32 v4, vcc_lo, v4, s4
	s_add_u32 s8, s8, -1
	v_add_f32_e32 v1, v1, v0
	s_addc_u32 s9, s9, -1
	v_add_co_ci_u32_e64 v5, null, s5, v5, vcc_lo
	s_add_u32 s0, s0, 4
	s_addc_u32 s1, s1, 0
	s_cmp_eq_u64 s[8:9], 0
	s_cbranch_scc1 .LBB187_6
.LBB187_4:                              ; =>This Inner Loop Header: Depth=1
	v_mov_b32_e32 v0, 0
	s_andn2_b32 vcc_lo, exec_lo, s6
	s_cbranch_vccnz .LBB187_3
; %bb.5:                                ;   in Loop: Header=BB187_4 Depth=1
	v_add_co_u32 v6, vcc_lo, s14, v4
	v_add_co_ci_u32_e64 v7, null, s15, v5, vcc_lo
	v_add_co_u32 v8, vcc_lo, s12, v4
	v_add_co_ci_u32_e64 v9, null, s13, v5, vcc_lo
	global_load_ushort v0, v[6:7], off
	global_load_ushort v6, v[8:9], off
	s_load_dword s7, s[0:1], 0x0
	s_waitcnt vmcnt(1)
	v_lshlrev_b32_e32 v0, 16, v0
	s_waitcnt vmcnt(0)
	v_lshlrev_b32_e32 v6, 16, v6
	v_mul_f32_e32 v0, v6, v0
	s_waitcnt lgkmcnt(0)
	v_mul_f32_e32 v0, s7, v0
	s_branch .LBB187_3
.LBB187_6:
	s_inst_prefetch 0x2
	s_waitcnt lgkmcnt(0)
	s_cmp_lg_u64 s[2:3], 0
	s_cbranch_scc0 .LBB187_8
; %bb.7:
	v_bfe_u32 v0, v1, 16, 1
	v_cmp_o_f32_e32 vcc_lo, v1, v1
	v_mov_b32_e32 v4, 0x7fc0
	v_add3_u32 v0, v1, v0, 0x7fff
	v_cndmask_b32_sdwa v4, v4, v0, vcc_lo dst_sel:DWORD dst_unused:UNUSED_PAD src0_sel:DWORD src1_sel:WORD_1
	v_add_co_u32 v0, vcc_lo, s2, v2
	v_add_co_ci_u32_e64 v1, null, s3, v3, vcc_lo
	global_store_short v[0:1], v4, off
.LBB187_8:
	s_endpgm
	.section	.rodata,"a",@progbits
	.p2align	6, 0x0
	.amdhsa_kernel _ZN2at6native12_GLOBAL__N_133GammaBetaBackwardSimpleCUDAKernelIN3c108BFloat16EfLb1EEEvllPKT_S7_PKT0_SA_PS5_SB_
		.amdhsa_group_segment_fixed_size 0
		.amdhsa_private_segment_fixed_size 0
		.amdhsa_kernarg_size 320
		.amdhsa_user_sgpr_count 6
		.amdhsa_user_sgpr_private_segment_buffer 1
		.amdhsa_user_sgpr_dispatch_ptr 0
		.amdhsa_user_sgpr_queue_ptr 0
		.amdhsa_user_sgpr_kernarg_segment_ptr 1
		.amdhsa_user_sgpr_dispatch_id 0
		.amdhsa_user_sgpr_flat_scratch_init 0
		.amdhsa_user_sgpr_private_segment_size 0
		.amdhsa_wavefront_size32 1
		.amdhsa_uses_dynamic_stack 0
		.amdhsa_system_sgpr_private_segment_wavefront_offset 0
		.amdhsa_system_sgpr_workgroup_id_x 1
		.amdhsa_system_sgpr_workgroup_id_y 0
		.amdhsa_system_sgpr_workgroup_id_z 0
		.amdhsa_system_sgpr_workgroup_info 0
		.amdhsa_system_vgpr_workitem_id 0
		.amdhsa_next_free_vgpr 10
		.amdhsa_next_free_sgpr 16
		.amdhsa_reserve_vcc 1
		.amdhsa_reserve_flat_scratch 0
		.amdhsa_float_round_mode_32 0
		.amdhsa_float_round_mode_16_64 0
		.amdhsa_float_denorm_mode_32 3
		.amdhsa_float_denorm_mode_16_64 3
		.amdhsa_dx10_clamp 1
		.amdhsa_ieee_mode 1
		.amdhsa_fp16_overflow 0
		.amdhsa_workgroup_processor_mode 1
		.amdhsa_memory_ordered 1
		.amdhsa_forward_progress 1
		.amdhsa_shared_vgpr_count 0
		.amdhsa_exception_fp_ieee_invalid_op 0
		.amdhsa_exception_fp_denorm_src 0
		.amdhsa_exception_fp_ieee_div_zero 0
		.amdhsa_exception_fp_ieee_overflow 0
		.amdhsa_exception_fp_ieee_underflow 0
		.amdhsa_exception_fp_ieee_inexact 0
		.amdhsa_exception_int_div_zero 0
	.end_amdhsa_kernel
	.section	.text._ZN2at6native12_GLOBAL__N_133GammaBetaBackwardSimpleCUDAKernelIN3c108BFloat16EfLb1EEEvllPKT_S7_PKT0_SA_PS5_SB_,"axG",@progbits,_ZN2at6native12_GLOBAL__N_133GammaBetaBackwardSimpleCUDAKernelIN3c108BFloat16EfLb1EEEvllPKT_S7_PKT0_SA_PS5_SB_,comdat
.Lfunc_end187:
	.size	_ZN2at6native12_GLOBAL__N_133GammaBetaBackwardSimpleCUDAKernelIN3c108BFloat16EfLb1EEEvllPKT_S7_PKT0_SA_PS5_SB_, .Lfunc_end187-_ZN2at6native12_GLOBAL__N_133GammaBetaBackwardSimpleCUDAKernelIN3c108BFloat16EfLb1EEEvllPKT_S7_PKT0_SA_PS5_SB_
                                        ; -- End function
	.set _ZN2at6native12_GLOBAL__N_133GammaBetaBackwardSimpleCUDAKernelIN3c108BFloat16EfLb1EEEvllPKT_S7_PKT0_SA_PS5_SB_.num_vgpr, 10
	.set _ZN2at6native12_GLOBAL__N_133GammaBetaBackwardSimpleCUDAKernelIN3c108BFloat16EfLb1EEEvllPKT_S7_PKT0_SA_PS5_SB_.num_agpr, 0
	.set _ZN2at6native12_GLOBAL__N_133GammaBetaBackwardSimpleCUDAKernelIN3c108BFloat16EfLb1EEEvllPKT_S7_PKT0_SA_PS5_SB_.numbered_sgpr, 16
	.set _ZN2at6native12_GLOBAL__N_133GammaBetaBackwardSimpleCUDAKernelIN3c108BFloat16EfLb1EEEvllPKT_S7_PKT0_SA_PS5_SB_.num_named_barrier, 0
	.set _ZN2at6native12_GLOBAL__N_133GammaBetaBackwardSimpleCUDAKernelIN3c108BFloat16EfLb1EEEvllPKT_S7_PKT0_SA_PS5_SB_.private_seg_size, 0
	.set _ZN2at6native12_GLOBAL__N_133GammaBetaBackwardSimpleCUDAKernelIN3c108BFloat16EfLb1EEEvllPKT_S7_PKT0_SA_PS5_SB_.uses_vcc, 1
	.set _ZN2at6native12_GLOBAL__N_133GammaBetaBackwardSimpleCUDAKernelIN3c108BFloat16EfLb1EEEvllPKT_S7_PKT0_SA_PS5_SB_.uses_flat_scratch, 0
	.set _ZN2at6native12_GLOBAL__N_133GammaBetaBackwardSimpleCUDAKernelIN3c108BFloat16EfLb1EEEvllPKT_S7_PKT0_SA_PS5_SB_.has_dyn_sized_stack, 0
	.set _ZN2at6native12_GLOBAL__N_133GammaBetaBackwardSimpleCUDAKernelIN3c108BFloat16EfLb1EEEvllPKT_S7_PKT0_SA_PS5_SB_.has_recursion, 0
	.set _ZN2at6native12_GLOBAL__N_133GammaBetaBackwardSimpleCUDAKernelIN3c108BFloat16EfLb1EEEvllPKT_S7_PKT0_SA_PS5_SB_.has_indirect_call, 0
	.section	.AMDGPU.csdata,"",@progbits
; Kernel info:
; codeLenInByte = 356
; TotalNumSgprs: 18
; NumVgprs: 10
; ScratchSize: 0
; MemoryBound: 0
; FloatMode: 240
; IeeeMode: 1
; LDSByteSize: 0 bytes/workgroup (compile time only)
; SGPRBlocks: 0
; VGPRBlocks: 1
; NumSGPRsForWavesPerEU: 18
; NumVGPRsForWavesPerEU: 10
; Occupancy: 16
; WaveLimiterHint : 0
; COMPUTE_PGM_RSRC2:SCRATCH_EN: 0
; COMPUTE_PGM_RSRC2:USER_SGPR: 6
; COMPUTE_PGM_RSRC2:TRAP_HANDLER: 0
; COMPUTE_PGM_RSRC2:TGID_X_EN: 1
; COMPUTE_PGM_RSRC2:TGID_Y_EN: 0
; COMPUTE_PGM_RSRC2:TGID_Z_EN: 0
; COMPUTE_PGM_RSRC2:TIDIG_COMP_CNT: 0
	.section	.text._ZN2at6native12_GLOBAL__N_135GammaBetaBackwardCUDAKernelTemplateIN3c108BFloat16EfLj64ELj1ELj32ELb1ELb1ELb1EEEvllPKT_S7_PKT0_SA_PS5_SB_,"axG",@progbits,_ZN2at6native12_GLOBAL__N_135GammaBetaBackwardCUDAKernelTemplateIN3c108BFloat16EfLj64ELj1ELj32ELb1ELb1ELb1EEEvllPKT_S7_PKT0_SA_PS5_SB_,comdat
	.globl	_ZN2at6native12_GLOBAL__N_135GammaBetaBackwardCUDAKernelTemplateIN3c108BFloat16EfLj64ELj1ELj32ELb1ELb1ELb1EEEvllPKT_S7_PKT0_SA_PS5_SB_ ; -- Begin function _ZN2at6native12_GLOBAL__N_135GammaBetaBackwardCUDAKernelTemplateIN3c108BFloat16EfLj64ELj1ELj32ELb1ELb1ELb1EEEvllPKT_S7_PKT0_SA_PS5_SB_
	.p2align	8
	.type	_ZN2at6native12_GLOBAL__N_135GammaBetaBackwardCUDAKernelTemplateIN3c108BFloat16EfLj64ELj1ELj32ELb1ELb1ELb1EEEvllPKT_S7_PKT0_SA_PS5_SB_,@function
_ZN2at6native12_GLOBAL__N_135GammaBetaBackwardCUDAKernelTemplateIN3c108BFloat16EfLj64ELj1ELj32ELb1ELb1ELb1EEEvllPKT_S7_PKT0_SA_PS5_SB_: ; @_ZN2at6native12_GLOBAL__N_135GammaBetaBackwardCUDAKernelTemplateIN3c108BFloat16EfLj64ELj1ELj32ELb1ELb1ELb1EEEvllPKT_S7_PKT0_SA_PS5_SB_
; %bb.0:
	s_clause 0x1
	s_load_dwordx4 s[0:3], s[4:5], 0x0
	s_load_dwordx2 s[12:13], s[4:5], 0x30
	s_lshl_b32 s14, s7, 5
	s_mov_b32 s15, 0
	v_mov_b32_e32 v29, 0
	s_waitcnt lgkmcnt(0)
	v_cmp_le_i64_e64 s8, s[0:1], s[14:15]
	s_and_b32 vcc_lo, exec_lo, s8
	s_cbranch_vccnz .LBB188_5
; %bb.1:
	s_clause 0x3
	s_load_dword s16, s[4:5], 0x4c
	s_load_dword s17, s[4:5], 0x44
	s_load_dwordx4 s[8:11], s[4:5], 0x10
	s_load_dwordx2 s[18:19], s[4:5], 0x28
	v_lshlrev_b32_e32 v4, 5, v1
	v_mov_b32_e32 v3, 0
	v_lshl_or_b32 v2, s6, 6, v0
	v_mov_b32_e32 v8, 4
	v_mov_b32_e32 v9, 8
	;; [unrolled: 1-line block ×13, first 2 shown]
	s_waitcnt lgkmcnt(0)
	s_and_b32 s16, s16, 0xffff
	v_mov_b32_e32 v21, 56
	v_mad_u32_u24 v5, v1, s16, v0
	v_add_co_u32 v40, s16, v4, s14
	v_add_co_ci_u32_e64 v41, null, 0, 0, s16
	v_and_b32_e32 v29, 31, v5
	v_mul_lo_u32 v6, s3, v40
	v_mad_u64_u32 v[4:5], null, s2, v40, 0
	v_mul_lo_u32 v7, s2, v41
	s_lshl_b32 s16, s17, 5
	v_mov_b32_e32 v22, 60
	s_mul_i32 s20, s3, s16
	s_mul_hi_u32 s21, s2, s16
	v_mov_b32_e32 v23, 64
	v_mov_b32_e32 v24, 0x44
	;; [unrolled: 1-line block ×3, first 2 shown]
	v_add3_u32 v5, v5, v7, v6
	v_mov_b32_e32 v26, 0x4c
	v_mov_b32_e32 v27, 0x50
	;; [unrolled: 1-line block ×4, first 2 shown]
	v_lshlrev_b64 v[6:7], 1, v[4:5]
	v_add_co_u32 v4, vcc_lo, v40, v29
	v_add_co_ci_u32_e64 v5, null, 0, v41, vcc_lo
	v_lshlrev_b64 v[40:41], 1, v[2:3]
	v_mov_b32_e32 v31, 0x5c
	v_mov_b32_e32 v32, 0x60
	v_lshlrev_b64 v[42:43], 2, v[4:5]
	v_mov_b32_e32 v33, 0x64
	v_mov_b32_e32 v34, 0x68
	v_add_co_u32 v2, vcc_lo, v6, v40
	v_add_co_ci_u32_e64 v40, null, v7, v41, vcc_lo
	v_add_co_u32 v6, vcc_lo, s18, v42
	v_mov_b32_e32 v35, 0x6c
	v_mov_b32_e32 v36, 0x70
	;; [unrolled: 1-line block ×5, first 2 shown]
	v_add_co_ci_u32_e64 v7, null, s19, v43, vcc_lo
	v_mov_b32_e32 v29, 0
	s_mov_b32 s17, s15
	s_add_i32 s21, s21, s20
	s_mul_i32 s20, s2, s16
	s_lshl_b64 s[22:23], s[2:3], 1
	s_lshl_b64 s[18:19], s[20:21], 1
	;; [unrolled: 1-line block ×3, first 2 shown]
	s_branch .LBB188_3
.LBB188_2:                              ;   in Loop: Header=BB188_3 Depth=1
	s_or_b32 exec_lo, exec_lo, s17
	v_add_co_u32 v42, vcc_lo, s8, v2
	v_add_co_ci_u32_e64 v43, null, s9, v40, vcc_lo
	v_add_co_u32 v44, vcc_lo, s10, v2
	v_add_co_ci_u32_e64 v45, null, s11, v40, vcc_lo
	global_load_ushort v48, v[42:43], off
	global_load_ushort v49, v[44:45], off
	v_add_co_u32 v42, vcc_lo, v42, s22
	v_add_co_ci_u32_e64 v43, null, s23, v43, vcc_lo
	v_add_co_u32 v44, vcc_lo, v44, s22
	v_add_co_ci_u32_e64 v45, null, s23, v45, vcc_lo
	global_load_ushort v50, v[42:43], off
	global_load_ushort v51, v[44:45], off
	;; [unrolled: 6-line block ×6, first 2 shown]
	v_add_co_u32 v42, vcc_lo, v42, s22
	v_add_co_ci_u32_e64 v43, null, s23, v43, vcc_lo
	v_add_co_u32 v44, vcc_lo, v44, s22
	v_add_co_ci_u32_e64 v45, null, s23, v45, vcc_lo
	global_load_ushort v60, v[42:43], off
	v_add_co_u32 v42, vcc_lo, v42, s22
	global_load_ushort v61, v[44:45], off
	v_add_co_ci_u32_e64 v43, null, s23, v43, vcc_lo
	v_add_co_u32 v46, vcc_lo, v44, s22
	v_add_co_ci_u32_e64 v47, null, s23, v45, vcc_lo
	v_add_co_u32 v44, vcc_lo, v42, s22
	global_load_ushort v62, v[42:43], off
	v_add_co_ci_u32_e64 v45, null, s23, v43, vcc_lo
	s_add_u32 s14, s14, s16
	s_addc_u32 s15, s15, 0
	v_cmp_lt_i64_e64 s17, s[14:15], s[0:1]
	s_waitcnt vmcnt(14)
	v_lshlrev_b32_e32 v42, 16, v48
	global_load_ushort v48, v[46:47], off
	s_waitcnt vmcnt(14)
	v_lshlrev_b32_e32 v43, 16, v49
	global_load_ushort v49, v[44:45], off
	v_mul_f32_e32 v42, v42, v43
	ds_bpermute_b32 v43, v3, v41
	s_waitcnt lgkmcnt(0)
	v_fmac_f32_e32 v29, v42, v43
	v_add_co_u32 v42, vcc_lo, v46, s22
	v_add_co_ci_u32_e64 v43, null, s23, v47, vcc_lo
	v_add_co_u32 v46, vcc_lo, v44, s22
	v_add_co_ci_u32_e64 v47, null, s23, v45, vcc_lo
	s_waitcnt vmcnt(14)
	v_lshlrev_b32_e32 v44, 16, v50
	s_waitcnt vmcnt(13)
	v_lshlrev_b32_e32 v45, 16, v51
	global_load_ushort v50, v[42:43], off
	global_load_ushort v51, v[46:47], off
	v_mul_f32_e32 v44, v44, v45
	ds_bpermute_b32 v45, v8, v41
	s_waitcnt lgkmcnt(0)
	v_fmac_f32_e32 v29, v44, v45
	v_add_co_u32 v44, vcc_lo, v42, s22
	v_add_co_ci_u32_e64 v45, null, s23, v43, vcc_lo
	v_add_co_u32 v42, vcc_lo, v46, s22
	v_add_co_ci_u32_e64 v43, null, s23, v47, vcc_lo
	s_waitcnt vmcnt(14)
	v_lshlrev_b32_e32 v46, 16, v52
	s_waitcnt vmcnt(13)
	v_lshlrev_b32_e32 v47, 16, v53
	global_load_ushort v52, v[44:45], off
	;; [unrolled: 14-line block ×6, first 2 shown]
	global_load_ushort v61, v[44:45], off
	v_mul_f32_e32 v42, v42, v43
	ds_bpermute_b32 v43, v13, v41
	s_waitcnt lgkmcnt(0)
	v_fmac_f32_e32 v29, v42, v43
	v_add_co_u32 v42, vcc_lo, v46, s22
	v_add_co_ci_u32_e64 v43, null, s23, v47, vcc_lo
	v_add_co_u32 v46, vcc_lo, v44, s22
	v_add_co_ci_u32_e64 v47, null, s23, v45, vcc_lo
	s_waitcnt vmcnt(14)
	v_lshlrev_b32_e32 v44, 16, v62
	global_load_ushort v62, v[46:47], off
	s_waitcnt vmcnt(14)
	v_lshlrev_b32_e32 v45, 16, v48
	global_load_ushort v48, v[42:43], off
	v_mul_f32_e32 v44, v44, v45
	ds_bpermute_b32 v45, v14, v41
	s_waitcnt lgkmcnt(0)
	v_fmac_f32_e32 v29, v44, v45
	v_add_co_u32 v44, vcc_lo, v42, s22
	v_add_co_ci_u32_e64 v45, null, s23, v43, vcc_lo
	v_add_co_u32 v42, vcc_lo, v46, s22
	s_waitcnt vmcnt(14)
	v_lshlrev_b32_e32 v46, 16, v49
	global_load_ushort v49, v[44:45], off
	v_add_co_ci_u32_e64 v43, null, s23, v47, vcc_lo
	s_waitcnt vmcnt(14)
	v_lshlrev_b32_e32 v47, 16, v50
	global_load_ushort v50, v[42:43], off
	v_mul_f32_e32 v46, v46, v47
	ds_bpermute_b32 v47, v15, v41
	s_waitcnt lgkmcnt(0)
	v_fmac_f32_e32 v29, v46, v47
	v_add_co_u32 v46, vcc_lo, v44, s22
	v_add_co_ci_u32_e64 v47, null, s23, v45, vcc_lo
	v_add_co_u32 v44, vcc_lo, v42, s22
	v_add_co_ci_u32_e64 v45, null, s23, v43, vcc_lo
	s_waitcnt vmcnt(14)
	v_lshlrev_b32_e32 v42, 16, v51
	s_waitcnt vmcnt(13)
	v_lshlrev_b32_e32 v43, 16, v52
	global_load_ushort v51, v[46:47], off
	global_load_ushort v52, v[44:45], off
	v_mul_f32_e32 v42, v42, v43
	ds_bpermute_b32 v43, v16, v41
	s_waitcnt lgkmcnt(0)
	v_fmac_f32_e32 v29, v42, v43
	v_add_co_u32 v42, vcc_lo, v46, s22
	v_add_co_ci_u32_e64 v43, null, s23, v47, vcc_lo
	v_add_co_u32 v46, vcc_lo, v44, s22
	v_add_co_ci_u32_e64 v47, null, s23, v45, vcc_lo
	s_waitcnt vmcnt(14)
	v_lshlrev_b32_e32 v44, 16, v53
	s_waitcnt vmcnt(13)
	v_lshlrev_b32_e32 v45, 16, v54
	global_load_ushort v53, v[42:43], off
	;; [unrolled: 14-line block ×6, first 2 shown]
	v_mul_f32_e32 v46, v46, v47
	ds_bpermute_b32 v47, v21, v41
	s_waitcnt lgkmcnt(0)
	v_fmac_f32_e32 v29, v46, v47
	v_add_co_u32 v46, vcc_lo, v44, s22
	v_add_co_ci_u32_e64 v47, null, s23, v45, vcc_lo
	v_add_co_u32 v44, vcc_lo, v46, s22
	v_add_co_ci_u32_e64 v45, null, s23, v47, vcc_lo
	global_load_ushort v61, v[46:47], off
	s_waitcnt vmcnt(13)
	v_lshlrev_b32_e32 v47, 16, v49
	global_load_ushort v49, v[42:43], off
	v_lshlrev_b32_e32 v46, 16, v62
	v_mul_f32_e32 v46, v46, v47
	ds_bpermute_b32 v47, v22, v41
	s_waitcnt lgkmcnt(0)
	v_fmac_f32_e32 v29, v46, v47
	v_add_co_u32 v46, vcc_lo, v42, s22
	v_add_co_ci_u32_e64 v47, null, s23, v43, vcc_lo
	v_add_co_u32 v42, vcc_lo, v46, s22
	v_add_co_ci_u32_e64 v43, null, s23, v47, vcc_lo
	global_load_ushort v62, v[46:47], off
	s_waitcnt vmcnt(14)
	v_lshlrev_b32_e32 v46, 16, v50
	s_waitcnt vmcnt(13)
	v_lshlrev_b32_e32 v47, 16, v51
	global_load_ushort v50, v[44:45], off
	global_load_ushort v51, v[42:43], off
	v_mul_f32_e32 v46, v46, v47
	ds_bpermute_b32 v47, v23, v41
	s_waitcnt lgkmcnt(0)
	v_fmac_f32_e32 v29, v46, v47
	v_add_co_u32 v46, vcc_lo, v44, s22
	v_add_co_ci_u32_e64 v47, null, s23, v45, vcc_lo
	v_add_co_u32 v44, vcc_lo, v42, s22
	v_add_co_ci_u32_e64 v45, null, s23, v43, vcc_lo
	s_waitcnt vmcnt(14)
	v_lshlrev_b32_e32 v42, 16, v52
	s_waitcnt vmcnt(13)
	v_lshlrev_b32_e32 v43, 16, v53
	global_load_ushort v52, v[46:47], off
	global_load_ushort v53, v[44:45], off
	v_mul_f32_e32 v42, v42, v43
	ds_bpermute_b32 v43, v24, v41
	s_waitcnt lgkmcnt(0)
	v_fmac_f32_e32 v29, v42, v43
	v_add_co_u32 v42, vcc_lo, v46, s22
	v_add_co_ci_u32_e64 v43, null, s23, v47, vcc_lo
	v_add_co_u32 v46, vcc_lo, v44, s22
	v_add_co_ci_u32_e64 v47, null, s23, v45, vcc_lo
	;; [unrolled: 14-line block ×5, first 2 shown]
	s_waitcnt vmcnt(14)
	v_lshlrev_b32_e32 v44, 16, v60
	global_load_ushort v60, v[46:47], off
	s_waitcnt vmcnt(14)
	v_lshlrev_b32_e32 v45, 16, v48
	global_load_ushort v48, v[42:43], off
	v_mul_f32_e32 v44, v44, v45
	ds_bpermute_b32 v45, v28, v41
	s_waitcnt lgkmcnt(0)
	v_fmac_f32_e32 v29, v44, v45
	v_add_co_u32 v44, vcc_lo, v42, s22
	v_add_co_ci_u32_e64 v45, null, s23, v43, vcc_lo
	v_add_co_u32 v42, vcc_lo, v46, s22
	v_add_co_ci_u32_e64 v43, null, s23, v47, vcc_lo
	s_waitcnt vmcnt(14)
	v_lshlrev_b32_e32 v46, 16, v61
	s_waitcnt vmcnt(13)
	v_lshlrev_b32_e32 v47, 16, v49
	global_load_ushort v49, v[44:45], off
	v_mul_f32_e32 v46, v47, v46
	ds_bpermute_b32 v47, v30, v41
	s_waitcnt lgkmcnt(0)
	v_fmac_f32_e32 v29, v46, v47
	v_add_co_u32 v46, vcc_lo, v44, s22
	v_add_co_ci_u32_e64 v47, null, s23, v45, vcc_lo
	v_add_co_u32 v44, vcc_lo, v46, s22
	v_add_co_ci_u32_e64 v45, null, s23, v47, vcc_lo
	global_load_ushort v61, v[46:47], off
	v_add_co_u32 v46, vcc_lo, v42, s22
	v_add_co_ci_u32_e64 v47, null, s23, v43, vcc_lo
	global_load_ushort v42, v[42:43], off
	global_load_ushort v43, v[44:45], off
	;; [unrolled: 1-line block ×3, first 2 shown]
	ds_bpermute_b32 v45, v31, v41
	s_waitcnt vmcnt(16)
	v_lshlrev_b32_e32 v46, 16, v50
	v_lshlrev_b32_e32 v47, 16, v62
	s_waitcnt vmcnt(15)
	v_lshlrev_b32_e32 v50, 16, v51
	ds_bpermute_b32 v51, v34, v41
	v_add_co_u32 v2, vcc_lo, v2, s18
	v_mul_f32_e32 v46, v47, v46
	ds_bpermute_b32 v47, v32, v41
	v_add_co_ci_u32_e64 v40, null, s19, v40, vcc_lo
	v_add_co_u32 v6, vcc_lo, v6, s20
	v_add_co_ci_u32_e64 v7, null, s21, v7, vcc_lo
	v_add_co_u32 v4, vcc_lo, v4, s16
	v_add_co_ci_u32_e64 v5, null, 0, v5, vcc_lo
	s_and_b32 vcc_lo, exec_lo, s17
	s_waitcnt lgkmcnt(2)
	v_fmac_f32_e32 v29, v46, v45
	ds_bpermute_b32 v45, v33, v41
	s_waitcnt vmcnt(14)
	v_lshlrev_b32_e32 v46, 16, v52
	v_mul_f32_e32 v46, v50, v46
	s_waitcnt vmcnt(13)
	v_lshlrev_b32_e32 v50, 16, v53
	ds_bpermute_b32 v53, v35, v41
	s_waitcnt lgkmcnt(2)
	v_fmac_f32_e32 v29, v46, v47
	s_waitcnt vmcnt(12)
	v_lshlrev_b32_e32 v52, 16, v54
	s_waitcnt vmcnt(11)
	v_lshlrev_b32_e32 v47, 16, v55
	v_mul_f32_e32 v46, v50, v52
	ds_bpermute_b32 v50, v36, v41
	s_waitcnt lgkmcnt(2)
	v_fmac_f32_e32 v29, v46, v45
	s_waitcnt vmcnt(10)
	v_lshlrev_b32_e32 v54, 16, v56
	s_waitcnt vmcnt(9)
	v_lshlrev_b32_e32 v46, 16, v57
	v_mul_f32_e32 v45, v47, v54
	ds_bpermute_b32 v47, v37, v41
	v_fmac_f32_e32 v29, v45, v51
	ds_bpermute_b32 v51, v38, v41
	ds_bpermute_b32 v41, v39, v41
	s_waitcnt vmcnt(8)
	v_lshlrev_b32_e32 v52, 16, v58
	v_mul_f32_e32 v45, v46, v52
	s_waitcnt vmcnt(7)
	v_lshlrev_b32_e32 v46, 16, v59
	s_waitcnt lgkmcnt(4)
	v_fmac_f32_e32 v29, v45, v53
	s_waitcnt vmcnt(5)
	v_lshlrev_b32_e32 v48, 16, v48
	v_mul_f32_e32 v45, v46, v48
	v_lshlrev_b32_e32 v46, 16, v60
	s_waitcnt lgkmcnt(3)
	v_fmac_f32_e32 v29, v45, v50
	s_waitcnt vmcnt(4)
	v_lshlrev_b32_e32 v49, 16, v49
	v_mul_f32_e32 v45, v46, v49
	s_waitcnt lgkmcnt(2)
	v_fmac_f32_e32 v29, v45, v47
	s_waitcnt vmcnt(3)
	v_lshlrev_b32_e32 v48, 16, v61
	s_waitcnt vmcnt(2)
	v_lshlrev_b32_e32 v42, 16, v42
	;; [unrolled: 2-line block ×4, first 2 shown]
	v_mul_f32_e32 v42, v42, v48
	s_waitcnt lgkmcnt(1)
	v_fmac_f32_e32 v29, v42, v51
	v_mul_f32_e32 v42, v44, v43
	s_waitcnt lgkmcnt(0)
	v_fmac_f32_e32 v29, v42, v41
	s_cbranch_vccz .LBB188_5
.LBB188_3:                              ; =>This Inner Loop Header: Depth=1
	v_mov_b32_e32 v41, 0
	s_mov_b32 s17, exec_lo
	v_cmpx_gt_i64_e64 s[0:1], v[4:5]
	s_cbranch_execz .LBB188_2
; %bb.4:                                ;   in Loop: Header=BB188_3 Depth=1
	global_load_dword v41, v[6:7], off
	s_branch .LBB188_2
.LBB188_5:
	s_cmp_eq_u64 s[12:13], 0
	s_cbranch_scc1 .LBB188_7
; %bb.6:
	s_load_dword s0, s[4:5], 0x4c
	v_mov_b32_e32 v2, 0
	v_lshlrev_b32_e32 v0, 1, v0
	s_waitcnt lgkmcnt(0)
	s_lshr_b32 s0, s0, 16
	v_mad_u64_u32 v[1:2], null, s0, s7, v[1:2]
	s_mov_b32 s7, 0
	s_lshl_b64 s[0:1], s[6:7], 7
	v_mul_lo_u32 v3, v2, s2
	v_mul_lo_u32 v4, v1, s3
	v_mad_u64_u32 v[1:2], null, v1, s2, 0
	v_add3_u32 v2, v2, v4, v3
	v_bfe_u32 v3, v29, 16, 1
	v_lshlrev_b64 v[1:2], 1, v[1:2]
	v_add3_u32 v3, v29, v3, 0x7fff
	v_lshrrev_b32_e32 v3, 16, v3
	v_add_co_u32 v1, vcc_lo, s12, v1
	v_add_co_ci_u32_e64 v2, null, s13, v2, vcc_lo
	v_add_co_u32 v1, vcc_lo, v1, s0
	v_add_co_ci_u32_e64 v2, null, s1, v2, vcc_lo
	v_cmp_o_f32_e32 vcc_lo, v29, v29
	v_cndmask_b32_e32 v3, 0x7fc0, v3, vcc_lo
	v_add_co_u32 v0, vcc_lo, v1, v0
	v_add_co_ci_u32_e64 v1, null, 0, v2, vcc_lo
	global_store_short v[0:1], v3, off
.LBB188_7:
	s_endpgm
	.section	.rodata,"a",@progbits
	.p2align	6, 0x0
	.amdhsa_kernel _ZN2at6native12_GLOBAL__N_135GammaBetaBackwardCUDAKernelTemplateIN3c108BFloat16EfLj64ELj1ELj32ELb1ELb1ELb1EEEvllPKT_S7_PKT0_SA_PS5_SB_
		.amdhsa_group_segment_fixed_size 0
		.amdhsa_private_segment_fixed_size 0
		.amdhsa_kernarg_size 320
		.amdhsa_user_sgpr_count 6
		.amdhsa_user_sgpr_private_segment_buffer 1
		.amdhsa_user_sgpr_dispatch_ptr 0
		.amdhsa_user_sgpr_queue_ptr 0
		.amdhsa_user_sgpr_kernarg_segment_ptr 1
		.amdhsa_user_sgpr_dispatch_id 0
		.amdhsa_user_sgpr_flat_scratch_init 0
		.amdhsa_user_sgpr_private_segment_size 0
		.amdhsa_wavefront_size32 1
		.amdhsa_uses_dynamic_stack 0
		.amdhsa_system_sgpr_private_segment_wavefront_offset 0
		.amdhsa_system_sgpr_workgroup_id_x 1
		.amdhsa_system_sgpr_workgroup_id_y 1
		.amdhsa_system_sgpr_workgroup_id_z 0
		.amdhsa_system_sgpr_workgroup_info 0
		.amdhsa_system_vgpr_workitem_id 1
		.amdhsa_next_free_vgpr 63
		.amdhsa_next_free_sgpr 24
		.amdhsa_reserve_vcc 1
		.amdhsa_reserve_flat_scratch 0
		.amdhsa_float_round_mode_32 0
		.amdhsa_float_round_mode_16_64 0
		.amdhsa_float_denorm_mode_32 3
		.amdhsa_float_denorm_mode_16_64 3
		.amdhsa_dx10_clamp 1
		.amdhsa_ieee_mode 1
		.amdhsa_fp16_overflow 0
		.amdhsa_workgroup_processor_mode 1
		.amdhsa_memory_ordered 1
		.amdhsa_forward_progress 1
		.amdhsa_shared_vgpr_count 0
		.amdhsa_exception_fp_ieee_invalid_op 0
		.amdhsa_exception_fp_denorm_src 0
		.amdhsa_exception_fp_ieee_div_zero 0
		.amdhsa_exception_fp_ieee_overflow 0
		.amdhsa_exception_fp_ieee_underflow 0
		.amdhsa_exception_fp_ieee_inexact 0
		.amdhsa_exception_int_div_zero 0
	.end_amdhsa_kernel
	.section	.text._ZN2at6native12_GLOBAL__N_135GammaBetaBackwardCUDAKernelTemplateIN3c108BFloat16EfLj64ELj1ELj32ELb1ELb1ELb1EEEvllPKT_S7_PKT0_SA_PS5_SB_,"axG",@progbits,_ZN2at6native12_GLOBAL__N_135GammaBetaBackwardCUDAKernelTemplateIN3c108BFloat16EfLj64ELj1ELj32ELb1ELb1ELb1EEEvllPKT_S7_PKT0_SA_PS5_SB_,comdat
.Lfunc_end188:
	.size	_ZN2at6native12_GLOBAL__N_135GammaBetaBackwardCUDAKernelTemplateIN3c108BFloat16EfLj64ELj1ELj32ELb1ELb1ELb1EEEvllPKT_S7_PKT0_SA_PS5_SB_, .Lfunc_end188-_ZN2at6native12_GLOBAL__N_135GammaBetaBackwardCUDAKernelTemplateIN3c108BFloat16EfLj64ELj1ELj32ELb1ELb1ELb1EEEvllPKT_S7_PKT0_SA_PS5_SB_
                                        ; -- End function
	.set _ZN2at6native12_GLOBAL__N_135GammaBetaBackwardCUDAKernelTemplateIN3c108BFloat16EfLj64ELj1ELj32ELb1ELb1ELb1EEEvllPKT_S7_PKT0_SA_PS5_SB_.num_vgpr, 63
	.set _ZN2at6native12_GLOBAL__N_135GammaBetaBackwardCUDAKernelTemplateIN3c108BFloat16EfLj64ELj1ELj32ELb1ELb1ELb1EEEvllPKT_S7_PKT0_SA_PS5_SB_.num_agpr, 0
	.set _ZN2at6native12_GLOBAL__N_135GammaBetaBackwardCUDAKernelTemplateIN3c108BFloat16EfLj64ELj1ELj32ELb1ELb1ELb1EEEvllPKT_S7_PKT0_SA_PS5_SB_.numbered_sgpr, 24
	.set _ZN2at6native12_GLOBAL__N_135GammaBetaBackwardCUDAKernelTemplateIN3c108BFloat16EfLj64ELj1ELj32ELb1ELb1ELb1EEEvllPKT_S7_PKT0_SA_PS5_SB_.num_named_barrier, 0
	.set _ZN2at6native12_GLOBAL__N_135GammaBetaBackwardCUDAKernelTemplateIN3c108BFloat16EfLj64ELj1ELj32ELb1ELb1ELb1EEEvllPKT_S7_PKT0_SA_PS5_SB_.private_seg_size, 0
	.set _ZN2at6native12_GLOBAL__N_135GammaBetaBackwardCUDAKernelTemplateIN3c108BFloat16EfLj64ELj1ELj32ELb1ELb1ELb1EEEvllPKT_S7_PKT0_SA_PS5_SB_.uses_vcc, 1
	.set _ZN2at6native12_GLOBAL__N_135GammaBetaBackwardCUDAKernelTemplateIN3c108BFloat16EfLj64ELj1ELj32ELb1ELb1ELb1EEEvllPKT_S7_PKT0_SA_PS5_SB_.uses_flat_scratch, 0
	.set _ZN2at6native12_GLOBAL__N_135GammaBetaBackwardCUDAKernelTemplateIN3c108BFloat16EfLj64ELj1ELj32ELb1ELb1ELb1EEEvllPKT_S7_PKT0_SA_PS5_SB_.has_dyn_sized_stack, 0
	.set _ZN2at6native12_GLOBAL__N_135GammaBetaBackwardCUDAKernelTemplateIN3c108BFloat16EfLj64ELj1ELj32ELb1ELb1ELb1EEEvllPKT_S7_PKT0_SA_PS5_SB_.has_recursion, 0
	.set _ZN2at6native12_GLOBAL__N_135GammaBetaBackwardCUDAKernelTemplateIN3c108BFloat16EfLj64ELj1ELj32ELb1ELb1ELb1EEEvllPKT_S7_PKT0_SA_PS5_SB_.has_indirect_call, 0
	.section	.AMDGPU.csdata,"",@progbits
; Kernel info:
; codeLenInByte = 3440
; TotalNumSgprs: 26
; NumVgprs: 63
; ScratchSize: 0
; MemoryBound: 0
; FloatMode: 240
; IeeeMode: 1
; LDSByteSize: 0 bytes/workgroup (compile time only)
; SGPRBlocks: 0
; VGPRBlocks: 7
; NumSGPRsForWavesPerEU: 26
; NumVGPRsForWavesPerEU: 63
; Occupancy: 16
; WaveLimiterHint : 0
; COMPUTE_PGM_RSRC2:SCRATCH_EN: 0
; COMPUTE_PGM_RSRC2:USER_SGPR: 6
; COMPUTE_PGM_RSRC2:TRAP_HANDLER: 0
; COMPUTE_PGM_RSRC2:TGID_X_EN: 1
; COMPUTE_PGM_RSRC2:TGID_Y_EN: 1
; COMPUTE_PGM_RSRC2:TGID_Z_EN: 0
; COMPUTE_PGM_RSRC2:TIDIG_COMP_CNT: 1
	.section	.text._ZN2at6native12_GLOBAL__N_135GammaBetaBackwardCUDAKernelTemplateIN3c108BFloat16EfLj64ELj1ELj32ELb1ELb0ELb1EEEvllPKT_S7_PKT0_SA_PS5_SB_,"axG",@progbits,_ZN2at6native12_GLOBAL__N_135GammaBetaBackwardCUDAKernelTemplateIN3c108BFloat16EfLj64ELj1ELj32ELb1ELb0ELb1EEEvllPKT_S7_PKT0_SA_PS5_SB_,comdat
	.globl	_ZN2at6native12_GLOBAL__N_135GammaBetaBackwardCUDAKernelTemplateIN3c108BFloat16EfLj64ELj1ELj32ELb1ELb0ELb1EEEvllPKT_S7_PKT0_SA_PS5_SB_ ; -- Begin function _ZN2at6native12_GLOBAL__N_135GammaBetaBackwardCUDAKernelTemplateIN3c108BFloat16EfLj64ELj1ELj32ELb1ELb0ELb1EEEvllPKT_S7_PKT0_SA_PS5_SB_
	.p2align	8
	.type	_ZN2at6native12_GLOBAL__N_135GammaBetaBackwardCUDAKernelTemplateIN3c108BFloat16EfLj64ELj1ELj32ELb1ELb0ELb1EEEvllPKT_S7_PKT0_SA_PS5_SB_,@function
_ZN2at6native12_GLOBAL__N_135GammaBetaBackwardCUDAKernelTemplateIN3c108BFloat16EfLj64ELj1ELj32ELb1ELb0ELb1EEEvllPKT_S7_PKT0_SA_PS5_SB_: ; @_ZN2at6native12_GLOBAL__N_135GammaBetaBackwardCUDAKernelTemplateIN3c108BFloat16EfLj64ELj1ELj32ELb1ELb0ELb1EEEvllPKT_S7_PKT0_SA_PS5_SB_
; %bb.0:
	s_mov_b64 s[38:39], s[2:3]
	s_mov_b64 s[36:37], s[0:1]
	s_mov_b32 s0, s7
	s_add_u32 s36, s36, s8
	s_clause 0x1
	s_load_dwordx8 s[8:15], s[4:5], 0x0
	s_load_dwordx2 s[16:17], s[4:5], 0x28
	s_addc_u32 s37, s37, 0
	s_lshl_b32 s7, s6, 6
	s_mov_b32 s19, 0
	s_or_b32 s18, s7, 63
	v_mov_b32_e32 v224, v0
	v_mov_b32_e32 v223, v1
	s_waitcnt lgkmcnt(0)
	v_cmp_le_i64_e64 s1, s[10:11], s[18:19]
	s_lshl_b32 s18, s0, 5
	v_cmp_gt_i64_e64 s26, s[8:9], s[18:19]
	s_and_b32 vcc_lo, exec_lo, s1
	v_cndmask_b32_e64 v0, 0, 1, s26
	v_cmp_ne_u32_e64 s1, 1, v0
	s_cbranch_vccz .LBB189_141
; %bb.1:
	v_mov_b32_e32 v202, 0
	s_and_b32 vcc_lo, exec_lo, s1
	s_cbranch_vccnz .LBB189_142
; %bb.2:
	v_lshlrev_b32_e32 v39, 5, v223
	v_mov_b32_e32 v2, 0
	v_add_nc_u32_e32 v0, s7, v224
	s_load_dword s2, s[4:5], 0x44
	s_add_u32 s20, s4, 64
	v_add_co_u32 v5, s1, v39, s18
	v_add_co_ci_u32_e64 v6, null, 0, 0, s1
	v_mov_b32_e32 v1, v2
	v_mul_lo_u32 v7, s11, v5
	v_mad_u64_u32 v[3:4], null, s10, v5, 0
	v_mul_lo_u32 v8, s10, v6
	v_cmp_gt_i64_e64 s1, s[10:11], v[0:1]
	v_lshlrev_b64 v[35:36], 1, v[0:1]
	s_addc_u32 s21, s5, 0
	v_mov_b32_e32 v40, v2
	v_mov_b32_e32 v167, 0
	s_mov_b64 s[24:25], s[18:19]
	v_add3_u32 v4, v4, v8, v7
	v_add_co_u32 v7, vcc_lo, v5, 31
	v_add_co_ci_u32_e64 v8, null, 0, v6, vcc_lo
	v_add_co_u32 v9, vcc_lo, v5, 30
	v_add_co_ci_u32_e64 v10, null, 0, v6, vcc_lo
	v_lshlrev_b64 v[0:1], 1, v[3:4]
	v_mul_lo_u32 v11, s11, v7
	v_mul_lo_u32 v12, s10, v8
	v_mad_u64_u32 v[7:8], null, s10, v7, 0
	v_mul_lo_u32 v13, s11, v9
	v_mul_lo_u32 v14, s10, v10
	v_mad_u64_u32 v[9:10], null, s10, v9, 0
	v_add_co_u32 v41, vcc_lo, s12, v0
	v_add_co_ci_u32_e64 v42, null, s13, v1, vcc_lo
	v_add_co_u32 v43, vcc_lo, s14, v0
	v_add3_u32 v8, v8, v12, v11
	v_add_co_ci_u32_e64 v44, null, s15, v1, vcc_lo
	v_add_co_u32 v11, vcc_lo, v5, 29
	v_add3_u32 v10, v10, v14, v13
	v_add_co_ci_u32_e64 v12, null, 0, v6, vcc_lo
	v_lshlrev_b64 v[0:1], 1, v[7:8]
	v_mul_lo_u32 v13, s11, v11
	v_lshlrev_b64 v[7:8], 1, v[9:10]
	v_mul_lo_u32 v12, s10, v12
	v_mad_u64_u32 v[9:10], null, s10, v11, 0
	v_add_co_u32 v45, vcc_lo, s12, v0
	v_add_co_ci_u32_e64 v46, null, s13, v1, vcc_lo
	v_add_co_u32 v47, vcc_lo, s14, v0
	v_add3_u32 v10, v10, v12, v13
	s_waitcnt lgkmcnt(0)
	s_lshl_b32 s27, s2, 5
	v_add_co_ci_u32_e64 v48, null, s15, v1, vcc_lo
	v_add_co_u32 v49, vcc_lo, s12, v7
	s_mul_i32 s2, s11, s27
	s_mul_hi_u32 s3, s10, s27
	v_add_co_ci_u32_e64 v50, null, s13, v8, vcc_lo
	v_add_co_u32 v11, vcc_lo, v5, 28
	s_add_i32 s23, s3, s2
	v_add_co_u32 v51, s2, s14, v7
	v_lshlrev_b64 v[0:1], 1, v[9:10]
	v_add_co_ci_u32_e64 v7, null, 0, v6, vcc_lo
	v_add_co_u32 v9, vcc_lo, v5, 27
	v_add_co_ci_u32_e64 v10, null, 0, v6, vcc_lo
	v_add_co_ci_u32_e64 v52, null, s15, v8, s2
	v_mul_lo_u32 v12, s11, v11
	v_mul_lo_u32 v13, s10, v7
	v_mad_u64_u32 v[7:8], null, s10, v11, 0
	v_mul_lo_u32 v11, s11, v9
	v_mul_lo_u32 v14, s10, v10
	v_mad_u64_u32 v[9:10], null, s10, v9, 0
	v_add_co_u32 v53, vcc_lo, s12, v0
	v_add_co_ci_u32_e64 v54, null, s13, v1, vcc_lo
	v_add_co_u32 v55, vcc_lo, s14, v0
	v_add_co_ci_u32_e64 v56, null, s15, v1, vcc_lo
	v_add3_u32 v10, v10, v14, v11
	v_add_co_u32 v11, vcc_lo, v5, 26
	v_add3_u32 v8, v8, v13, v12
	v_add_co_ci_u32_e64 v12, null, 0, v6, vcc_lo
	v_mul_lo_u32 v13, s11, v11
	s_mul_i32 s22, s10, s27
	v_lshlrev_b64 v[0:1], 1, v[7:8]
	v_lshlrev_b64 v[7:8], 1, v[9:10]
	v_mul_lo_u32 v12, s10, v12
	v_mad_u64_u32 v[9:10], null, s10, v11, 0
	v_add_co_u32 v57, vcc_lo, s12, v0
	v_add_co_ci_u32_e64 v58, null, s13, v1, vcc_lo
	v_add_co_u32 v59, vcc_lo, s14, v0
	v_add3_u32 v10, v10, v12, v13
	v_add_co_ci_u32_e64 v60, null, s15, v1, vcc_lo
	v_add_co_u32 v61, vcc_lo, s12, v7
	v_add_co_ci_u32_e64 v62, null, s13, v8, vcc_lo
	v_add_co_u32 v11, vcc_lo, v5, 25
	v_add_co_u32 v63, s2, s14, v7
	v_lshlrev_b64 v[0:1], 1, v[9:10]
	v_add_co_ci_u32_e64 v7, null, 0, v6, vcc_lo
	v_add_co_u32 v9, vcc_lo, v5, 24
	v_add_co_ci_u32_e64 v10, null, 0, v6, vcc_lo
	v_add_co_ci_u32_e64 v64, null, s15, v8, s2
	v_mul_lo_u32 v12, s11, v11
	v_mul_lo_u32 v13, s10, v7
	v_mad_u64_u32 v[7:8], null, s10, v11, 0
	v_mul_lo_u32 v11, s11, v9
	v_mul_lo_u32 v14, s10, v10
	v_mad_u64_u32 v[9:10], null, s10, v9, 0
	v_add_co_u32 v65, vcc_lo, s12, v0
	v_add_co_ci_u32_e64 v66, null, s13, v1, vcc_lo
	v_add_co_u32 v67, vcc_lo, s14, v0
	v_add_co_ci_u32_e64 v68, null, s15, v1, vcc_lo
	v_add3_u32 v10, v10, v14, v11
	v_add_co_u32 v11, vcc_lo, v5, 23
	v_add3_u32 v8, v8, v13, v12
	v_add_co_ci_u32_e64 v12, null, 0, v6, vcc_lo
	v_mul_lo_u32 v13, s11, v11
	v_lshlrev_b64 v[0:1], 1, v[7:8]
	v_lshlrev_b64 v[7:8], 1, v[9:10]
	v_mul_lo_u32 v12, s10, v12
	v_mad_u64_u32 v[9:10], null, s10, v11, 0
	v_add_co_u32 v69, vcc_lo, s12, v0
	v_add_co_ci_u32_e64 v70, null, s13, v1, vcc_lo
	v_add_co_u32 v71, vcc_lo, s14, v0
	v_add3_u32 v10, v10, v12, v13
	v_add_co_ci_u32_e64 v72, null, s15, v1, vcc_lo
	v_add_co_u32 v73, vcc_lo, s12, v7
	v_add_co_ci_u32_e64 v74, null, s13, v8, vcc_lo
	v_add_co_u32 v11, vcc_lo, v5, 22
	v_add_co_u32 v75, s2, s14, v7
	v_lshlrev_b64 v[0:1], 1, v[9:10]
	v_add_co_ci_u32_e64 v7, null, 0, v6, vcc_lo
	v_add_co_u32 v9, vcc_lo, v5, 21
	v_add_co_ci_u32_e64 v10, null, 0, v6, vcc_lo
	v_add_co_ci_u32_e64 v76, null, s15, v8, s2
	v_mul_lo_u32 v12, s11, v11
	v_mul_lo_u32 v13, s10, v7
	v_mad_u64_u32 v[7:8], null, s10, v11, 0
	v_mul_lo_u32 v11, s11, v9
	v_mul_lo_u32 v14, s10, v10
	v_mad_u64_u32 v[9:10], null, s10, v9, 0
	v_add_co_u32 v77, vcc_lo, s12, v0
	v_add_co_ci_u32_e64 v78, null, s13, v1, vcc_lo
	v_add_co_u32 v79, vcc_lo, s14, v0
	v_add_co_ci_u32_e64 v80, null, s15, v1, vcc_lo
	v_add3_u32 v10, v10, v14, v11
	v_add_co_u32 v11, vcc_lo, v5, 20
	v_add3_u32 v8, v8, v13, v12
	v_add_co_ci_u32_e64 v12, null, 0, v6, vcc_lo
	v_mul_lo_u32 v13, s11, v11
	;; [unrolled: 33-line block ×3, first 2 shown]
	v_lshlrev_b64 v[0:1], 1, v[7:8]
	v_lshlrev_b64 v[7:8], 1, v[9:10]
	v_mul_lo_u32 v12, s10, v12
	v_mad_u64_u32 v[9:10], null, s10, v11, 0
	v_add_co_u32 v93, vcc_lo, s12, v0
	v_add_co_ci_u32_e64 v94, null, s13, v1, vcc_lo
	v_add_co_u32 v95, vcc_lo, s14, v0
	v_add3_u32 v10, v10, v12, v13
	v_add_co_ci_u32_e64 v96, null, s15, v1, vcc_lo
	v_add_co_u32 v97, vcc_lo, s12, v7
	v_add_co_ci_u32_e64 v98, null, s13, v8, vcc_lo
	v_add_co_u32 v11, vcc_lo, v5, 16
	v_add_co_u32 v99, s2, s14, v7
	v_lshlrev_b64 v[0:1], 1, v[9:10]
	v_add_co_ci_u32_e64 v7, null, 0, v6, vcc_lo
	v_add_co_u32 v9, vcc_lo, v5, 15
	v_add_co_ci_u32_e64 v10, null, 0, v6, vcc_lo
	v_add_co_ci_u32_e64 v100, null, s15, v8, s2
	v_mul_lo_u32 v12, s11, v11
	v_mul_lo_u32 v13, s10, v7
	v_mad_u64_u32 v[7:8], null, s10, v11, 0
	v_mul_lo_u32 v11, s11, v9
	v_mul_lo_u32 v14, s10, v10
	v_mad_u64_u32 v[9:10], null, s10, v9, 0
	v_add_co_u32 v101, vcc_lo, s12, v0
	v_add_co_ci_u32_e64 v102, null, s13, v1, vcc_lo
	v_add3_u32 v8, v8, v13, v12
	v_add_co_u32 v103, vcc_lo, s14, v0
	v_add_co_ci_u32_e64 v104, null, s15, v1, vcc_lo
	v_add3_u32 v10, v10, v14, v11
	v_add_co_u32 v11, vcc_lo, v5, 14
	v_add_co_ci_u32_e64 v12, null, 0, v6, vcc_lo
	v_lshlrev_b64 v[0:1], 1, v[7:8]
	v_lshlrev_b64 v[7:8], 1, v[9:10]
	v_mul_lo_u32 v13, s11, v11
	v_mul_lo_u32 v12, s10, v12
	v_mad_u64_u32 v[9:10], null, s10, v11, 0
	v_add_co_u32 v105, vcc_lo, s12, v0
	v_add_co_ci_u32_e64 v106, null, s13, v1, vcc_lo
	v_add_co_u32 v107, vcc_lo, s14, v0
	v_add_co_ci_u32_e64 v108, null, s15, v1, vcc_lo
	;; [unrolled: 2-line block ×3, first 2 shown]
	v_add3_u32 v10, v10, v12, v13
	v_add_co_u32 v0, vcc_lo, v5, 13
	v_add_co_ci_u32_e64 v1, null, 0, v6, vcc_lo
	v_add_co_u32 v11, vcc_lo, v5, 12
	v_add_co_u32 v111, s2, s14, v7
	v_add_co_ci_u32_e64 v12, null, 0, v6, vcc_lo
	v_add_co_ci_u32_e64 v112, null, s15, v8, s2
	v_lshlrev_b64 v[7:8], 1, v[9:10]
	v_mul_lo_u32 v13, s11, v0
	v_mul_lo_u32 v14, s10, v1
	v_mad_u64_u32 v[9:10], null, s10, v0, 0
	v_mul_lo_u32 v15, s11, v11
	v_mul_lo_u32 v16, s10, v12
	v_mad_u64_u32 v[11:12], null, s10, v11, 0
	v_add_co_u32 v0, vcc_lo, s12, v7
	v_add_co_ci_u32_e64 v1, null, s13, v8, vcc_lo
	v_add_co_u32 v113, vcc_lo, s14, v7
	v_add3_u32 v10, v10, v14, v13
	v_add_co_ci_u32_e64 v114, null, s15, v8, vcc_lo
	v_add_co_u32 v13, vcc_lo, v5, 11
	v_add3_u32 v12, v12, v16, v15
	v_add_co_ci_u32_e64 v14, null, 0, v6, vcc_lo
	v_lshlrev_b64 v[7:8], 1, v[9:10]
	v_mul_lo_u32 v15, s11, v13
	v_lshlrev_b64 v[9:10], 1, v[11:12]
	v_mul_lo_u32 v14, s10, v14
	v_mad_u64_u32 v[11:12], null, s10, v13, 0
	v_add_co_u32 v115, vcc_lo, s12, v7
	v_add_co_ci_u32_e64 v116, null, s13, v8, vcc_lo
	v_add_co_u32 v117, vcc_lo, s14, v7
	v_add3_u32 v12, v12, v14, v15
	v_add_co_ci_u32_e64 v118, null, s15, v8, vcc_lo
	v_add_co_u32 v119, vcc_lo, s12, v9
	v_add_co_ci_u32_e64 v120, null, s13, v10, vcc_lo
	v_add_co_u32 v13, vcc_lo, v5, 10
	v_add_co_u32 v121, s2, s14, v9
	v_lshlrev_b64 v[7:8], 1, v[11:12]
	v_add_co_ci_u32_e64 v9, null, 0, v6, vcc_lo
	v_add_co_u32 v11, vcc_lo, v5, 9
	v_add_co_ci_u32_e64 v12, null, 0, v6, vcc_lo
	v_add_co_ci_u32_e64 v122, null, s15, v10, s2
	v_mul_lo_u32 v14, s11, v13
	v_mul_lo_u32 v15, s10, v9
	v_mad_u64_u32 v[9:10], null, s10, v13, 0
	v_mul_lo_u32 v13, s11, v11
	v_mul_lo_u32 v16, s10, v12
	v_mad_u64_u32 v[11:12], null, s10, v11, 0
	v_add_co_u32 v123, vcc_lo, s12, v7
	v_add_co_ci_u32_e64 v124, null, s13, v8, vcc_lo
	v_add_co_u32 v125, vcc_lo, s14, v7
	v_add3_u32 v10, v10, v15, v14
	v_add_co_ci_u32_e64 v126, null, s15, v8, vcc_lo
	v_add3_u32 v12, v12, v16, v13
	v_add_co_u32 v13, vcc_lo, v5, 8
	v_add_co_ci_u32_e64 v14, null, 0, v6, vcc_lo
	v_lshlrev_b64 v[7:8], 1, v[9:10]
	v_lshlrev_b64 v[9:10], 1, v[11:12]
	v_mul_lo_u32 v15, s11, v13
	v_mul_lo_u32 v14, s10, v14
	v_mad_u64_u32 v[11:12], null, s10, v13, 0
	v_add_co_u32 v127, vcc_lo, s12, v7
	v_add_co_ci_u32_e64 v128, null, s13, v8, vcc_lo
	v_add_co_u32 v129, vcc_lo, s14, v7
	v_add_co_ci_u32_e64 v130, null, s15, v8, vcc_lo
	v_add_co_u32 v131, vcc_lo, s12, v9
	v_add3_u32 v12, v12, v14, v15
	v_add_co_ci_u32_e64 v132, null, s13, v10, vcc_lo
	v_add_co_u32 v13, vcc_lo, v5, 7
	v_add_co_u32 v133, s2, s14, v9
	v_add_co_ci_u32_e64 v9, null, 0, v6, vcc_lo
	v_lshlrev_b64 v[7:8], 1, v[11:12]
	v_add_co_u32 v11, vcc_lo, v5, 6
	v_add_co_ci_u32_e64 v12, null, 0, v6, vcc_lo
	v_add_co_ci_u32_e64 v134, null, s15, v10, s2
	v_mul_lo_u32 v14, s11, v13
	v_mul_lo_u32 v15, s10, v9
	v_mad_u64_u32 v[9:10], null, s10, v13, 0
	v_mul_lo_u32 v13, s11, v11
	v_mul_lo_u32 v16, s10, v12
	v_mad_u64_u32 v[11:12], null, s10, v11, 0
	v_add_co_u32 v135, vcc_lo, s12, v7
	v_add3_u32 v10, v10, v15, v14
	v_add_co_ci_u32_e64 v136, null, s13, v8, vcc_lo
	v_add_co_u32 v137, vcc_lo, s14, v7
	v_add_co_ci_u32_e64 v138, null, s15, v8, vcc_lo
	v_add3_u32 v12, v12, v16, v13
	v_add_co_u32 v13, vcc_lo, v5, 5
	v_lshlrev_b64 v[7:8], 1, v[9:10]
	v_add_co_ci_u32_e64 v14, null, 0, v6, vcc_lo
	v_lshlrev_b64 v[9:10], 1, v[11:12]
	v_mul_lo_u32 v15, s11, v13
	v_mad_u64_u32 v[11:12], null, s10, v13, 0
	v_add_co_u32 v139, vcc_lo, s12, v7
	v_mul_lo_u32 v14, s10, v14
	v_add_co_ci_u32_e64 v140, null, s13, v8, vcc_lo
	v_add_co_u32 v141, vcc_lo, s14, v7
	v_add_co_ci_u32_e64 v142, null, s15, v8, vcc_lo
	v_add_co_u32 v143, vcc_lo, s12, v9
	;; [unrolled: 2-line block ×3, first 2 shown]
	v_add3_u32 v12, v12, v14, v15
	v_add_co_u32 v145, s2, s14, v9
	v_add_co_ci_u32_e64 v9, null, 0, v6, vcc_lo
	v_add_co_ci_u32_e64 v146, null, s15, v10, s2
	v_lshlrev_b64 v[7:8], 1, v[11:12]
	v_mul_lo_u32 v14, s11, v13
	v_add_co_u32 v11, vcc_lo, v5, 3
	v_mul_lo_u32 v15, s10, v9
	v_mad_u64_u32 v[9:10], null, s10, v13, 0
	v_add_co_ci_u32_e64 v12, null, 0, v6, vcc_lo
	v_mul_lo_u32 v13, s11, v11
	v_add_co_u32 v147, vcc_lo, s12, v7
	v_mul_lo_u32 v16, s10, v12
	v_mad_u64_u32 v[11:12], null, s10, v11, 0
	v_add3_u32 v10, v10, v15, v14
	v_add_co_ci_u32_e64 v148, null, s13, v8, vcc_lo
	v_add_co_u32 v149, vcc_lo, s14, v7
	v_add_co_ci_u32_e64 v150, null, s15, v8, vcc_lo
	v_lshlrev_b64 v[7:8], 1, v[9:10]
	v_add_co_u32 v9, vcc_lo, v5, 2
	v_add3_u32 v12, v12, v16, v13
	v_add_co_ci_u32_e64 v10, null, 0, v6, vcc_lo
	v_add_co_u32 v151, vcc_lo, s12, v7
	v_lshlrev_b64 v[5:6], 1, v[11:12]
	v_mul_lo_u32 v11, s11, v9
	v_mul_lo_u32 v12, s10, v10
	v_mad_u64_u32 v[9:10], null, s10, v9, 0
	v_add_co_ci_u32_e64 v152, null, s13, v8, vcc_lo
	v_add_co_u32 v153, vcc_lo, s14, v7
	v_add_co_ci_u32_e64 v154, null, s15, v8, vcc_lo
	v_add_co_u32 v155, vcc_lo, s12, v5
	v_add_co_ci_u32_e64 v156, null, s13, v6, vcc_lo
	v_add3_u32 v10, v10, v12, v11
	v_add_co_u32 v157, vcc_lo, s14, v5
	v_add_co_ci_u32_e64 v158, null, s15, v6, vcc_lo
	v_add_co_u32 v3, vcc_lo, v3, s10
	v_add_co_ci_u32_e64 v4, null, s11, v4, vcc_lo
	v_lshlrev_b64 v[5:6], 1, v[9:10]
	s_lshl_b64 s[2:3], s[22:23], 1
	s_mov_b64 s[22:23], 31
	v_lshlrev_b64 v[3:4], 1, v[3:4]
	v_add_co_u32 v159, vcc_lo, s12, v5
	v_add_co_ci_u32_e64 v160, null, s13, v6, vcc_lo
	v_add_co_u32 v161, vcc_lo, s14, v5
	v_add_co_ci_u32_e64 v162, null, s15, v6, vcc_lo
	;; [unrolled: 2-line block ×4, first 2 shown]
.LBB189_3:                              ; =>This Inner Loop Header: Depth=1
	s_add_u32 s28, s18, s22
	s_addc_u32 s29, 0, s23
	v_add_co_u32 v37, vcc_lo, s18, v39
	v_cmp_ge_i64_e64 s28, s[28:29], s[8:9]
	v_add_co_ci_u32_e64 v38, null, 0, v40, vcc_lo
                                        ; implicit-def: $vgpr3_vgpr4_vgpr5_vgpr6_vgpr7_vgpr8_vgpr9_vgpr10_vgpr11_vgpr12_vgpr13_vgpr14_vgpr15_vgpr16_vgpr17_vgpr18_vgpr19_vgpr20_vgpr21_vgpr22_vgpr23_vgpr24_vgpr25_vgpr26_vgpr27_vgpr28_vgpr29_vgpr30_vgpr31_vgpr32_vgpr33_vgpr34
                                        ; implicit-def: $vgpr202
                                        ; implicit-def: $vgpr194
                                        ; implicit-def: $vgpr3
	s_and_b32 vcc_lo, exec_lo, s28
	s_mov_b32 s28, -1
	s_cbranch_vccz .LBB189_71
; %bb.4:                                ;   in Loop: Header=BB189_3 Depth=1
	s_load_dword s28, s[20:21], 0xc
	v_mov_b32_e32 v169, 0
	v_mov_b32_e32 v168, 0
	s_waitcnt lgkmcnt(0)
	s_and_b32 s28, s28, 0xffff
	v_mad_u32_u24 v3, v223, s28, v224
	s_mov_b32 s28, exec_lo
	v_and_b32_e32 v3, 31, v3
	v_add_co_u32 v3, vcc_lo, v37, v3
	v_add_co_ci_u32_e64 v4, null, 0, v38, vcc_lo
	v_cmpx_gt_i64_e64 s[8:9], v[3:4]
	s_cbranch_execz .LBB189_6
; %bb.5:                                ;   in Loop: Header=BB189_3 Depth=1
	v_lshlrev_b64 v[3:4], 2, v[3:4]
	v_add_co_u32 v3, vcc_lo, s16, v3
	v_add_co_ci_u32_e64 v4, null, s17, v4, vcc_lo
	global_load_dword v168, v[3:4], off
.LBB189_6:                              ;   in Loop: Header=BB189_3 Depth=1
	s_or_b32 exec_lo, exec_lo, s28
	v_mov_b32_e32 v33, v2
	v_cmp_gt_i64_e32 vcc_lo, s[8:9], v[37:38]
	v_mov_b32_e32 v3, v2
	v_mov_b32_e32 v4, v2
	;; [unrolled: 1-line block ×62, first 2 shown]
	s_and_b32 s29, s1, vcc_lo
	s_and_saveexec_b32 s28, s29
	s_cbranch_execz .LBB189_8
; %bb.7:                                ;   in Loop: Header=BB189_3 Depth=1
	v_add_co_u32 v3, vcc_lo, v41, v35
	v_add_co_ci_u32_e64 v4, null, v42, v36, vcc_lo
	v_add_co_u32 v5, vcc_lo, v43, v35
	v_add_co_ci_u32_e64 v6, null, v44, v36, vcc_lo
	global_load_ushort v3, v[3:4], off
	global_load_ushort v169, v[5:6], off
	v_mov_b32_e32 v4, v2
	v_mov_b32_e32 v5, v2
	;; [unrolled: 1-line block ×31, first 2 shown]
	s_waitcnt vmcnt(1)
	v_lshlrev_b32_e32 v3, 16, v3
	s_waitcnt vmcnt(0)
	v_lshlrev_b32_e32 v169, 16, v169
.LBB189_8:                              ;   in Loop: Header=BB189_3 Depth=1
	s_or_b32 exec_lo, exec_lo, s28
	v_add_co_u32 v170, vcc_lo, v37, 1
	v_add_co_ci_u32_e64 v171, null, 0, v38, vcc_lo
	v_cmp_gt_i64_e32 vcc_lo, s[8:9], v[170:171]
	v_mov_b32_e32 v170, 0
	v_mov_b32_e32 v171, 0
	s_and_b32 s29, s1, vcc_lo
	s_and_saveexec_b32 s28, s29
	s_cbranch_execz .LBB189_10
; %bb.9:                                ;   in Loop: Header=BB189_3 Depth=1
	v_add_co_u32 v171, vcc_lo, v163, v35
	v_add_co_ci_u32_e64 v172, null, v164, v36, vcc_lo
	v_add_co_u32 v173, vcc_lo, v165, v35
	v_add_co_ci_u32_e64 v174, null, v166, v36, vcc_lo
	global_load_ushort v4, v[171:172], off
	global_load_ushort v171, v[173:174], off
	s_waitcnt vmcnt(1)
	v_lshlrev_b32_e32 v4, 16, v4
	s_waitcnt vmcnt(0)
	v_lshlrev_b32_e32 v171, 16, v171
.LBB189_10:                             ;   in Loop: Header=BB189_3 Depth=1
	s_or_b32 exec_lo, exec_lo, s28
	v_add_co_u32 v172, vcc_lo, v37, 2
	v_add_co_ci_u32_e64 v173, null, 0, v38, vcc_lo
	v_cmp_gt_i64_e32 vcc_lo, s[8:9], v[172:173]
	s_and_b32 s29, s1, vcc_lo
	s_and_saveexec_b32 s28, s29
	s_cbranch_execz .LBB189_12
; %bb.11:                               ;   in Loop: Header=BB189_3 Depth=1
	v_add_co_u32 v172, vcc_lo, v159, v35
	v_add_co_ci_u32_e64 v173, null, v160, v36, vcc_lo
	v_add_co_u32 v174, vcc_lo, v161, v35
	v_add_co_ci_u32_e64 v175, null, v162, v36, vcc_lo
	global_load_ushort v5, v[172:173], off
	global_load_ushort v170, v[174:175], off
	s_waitcnt vmcnt(1)
	v_lshlrev_b32_e32 v5, 16, v5
	s_waitcnt vmcnt(0)
	v_lshlrev_b32_e32 v170, 16, v170
.LBB189_12:                             ;   in Loop: Header=BB189_3 Depth=1
	s_or_b32 exec_lo, exec_lo, s28
	v_add_co_u32 v172, vcc_lo, v37, 3
	v_add_co_ci_u32_e64 v173, null, 0, v38, vcc_lo
	v_cmp_gt_i64_e32 vcc_lo, s[8:9], v[172:173]
	v_mov_b32_e32 v172, 0
	v_mov_b32_e32 v173, 0
	s_and_b32 s29, s1, vcc_lo
	s_and_saveexec_b32 s28, s29
	s_cbranch_execz .LBB189_14
; %bb.13:                               ;   in Loop: Header=BB189_3 Depth=1
	v_add_co_u32 v173, vcc_lo, v155, v35
	v_add_co_ci_u32_e64 v174, null, v156, v36, vcc_lo
	v_add_co_u32 v175, vcc_lo, v157, v35
	v_add_co_ci_u32_e64 v176, null, v158, v36, vcc_lo
	global_load_ushort v6, v[173:174], off
	global_load_ushort v173, v[175:176], off
	s_waitcnt vmcnt(1)
	v_lshlrev_b32_e32 v6, 16, v6
	s_waitcnt vmcnt(0)
	v_lshlrev_b32_e32 v173, 16, v173
.LBB189_14:                             ;   in Loop: Header=BB189_3 Depth=1
	s_or_b32 exec_lo, exec_lo, s28
	v_add_co_u32 v174, vcc_lo, v37, 4
	v_add_co_ci_u32_e64 v175, null, 0, v38, vcc_lo
	v_cmp_gt_i64_e32 vcc_lo, s[8:9], v[174:175]
	s_and_b32 s29, s1, vcc_lo
	s_and_saveexec_b32 s28, s29
	s_cbranch_execz .LBB189_16
; %bb.15:                               ;   in Loop: Header=BB189_3 Depth=1
	v_add_co_u32 v174, vcc_lo, v151, v35
	v_add_co_ci_u32_e64 v175, null, v152, v36, vcc_lo
	v_add_co_u32 v176, vcc_lo, v153, v35
	v_add_co_ci_u32_e64 v177, null, v154, v36, vcc_lo
	global_load_ushort v7, v[174:175], off
	global_load_ushort v172, v[176:177], off
	s_waitcnt vmcnt(1)
	v_lshlrev_b32_e32 v7, 16, v7
	s_waitcnt vmcnt(0)
	v_lshlrev_b32_e32 v172, 16, v172
.LBB189_16:                             ;   in Loop: Header=BB189_3 Depth=1
	s_or_b32 exec_lo, exec_lo, s28
	v_add_co_u32 v174, vcc_lo, v37, 5
	v_add_co_ci_u32_e64 v175, null, 0, v38, vcc_lo
	v_cmp_gt_i64_e32 vcc_lo, s[8:9], v[174:175]
	v_mov_b32_e32 v174, 0
	v_mov_b32_e32 v175, 0
	s_and_b32 s29, s1, vcc_lo
	s_and_saveexec_b32 s28, s29
	s_cbranch_execz .LBB189_18
; %bb.17:                               ;   in Loop: Header=BB189_3 Depth=1
	v_add_co_u32 v175, vcc_lo, v147, v35
	v_add_co_ci_u32_e64 v176, null, v148, v36, vcc_lo
	v_add_co_u32 v177, vcc_lo, v149, v35
	v_add_co_ci_u32_e64 v178, null, v150, v36, vcc_lo
	global_load_ushort v8, v[175:176], off
	global_load_ushort v175, v[177:178], off
	s_waitcnt vmcnt(1)
	v_lshlrev_b32_e32 v8, 16, v8
	s_waitcnt vmcnt(0)
	v_lshlrev_b32_e32 v175, 16, v175
.LBB189_18:                             ;   in Loop: Header=BB189_3 Depth=1
	;; [unrolled: 40-line block ×11, first 2 shown]
	s_or_b32 exec_lo, exec_lo, s28
	v_add_co_u32 v194, vcc_lo, v37, 24
	v_add_co_ci_u32_e64 v195, null, 0, v38, vcc_lo
	v_cmp_gt_i64_e32 vcc_lo, s[8:9], v[194:195]
	s_and_b32 s29, s1, vcc_lo
	s_and_saveexec_b32 s28, s29
	s_cbranch_execz .LBB189_56
; %bb.55:                               ;   in Loop: Header=BB189_3 Depth=1
	v_add_co_u32 v194, vcc_lo, v73, v35
	v_add_co_ci_u32_e64 v195, null, v74, v36, vcc_lo
	v_add_co_u32 v196, vcc_lo, v75, v35
	v_add_co_ci_u32_e64 v197, null, v76, v36, vcc_lo
	global_load_ushort v27, v[194:195], off
	global_load_ushort v192, v[196:197], off
	s_waitcnt vmcnt(1)
	v_lshlrev_b32_e32 v27, 16, v27
	s_waitcnt vmcnt(0)
	v_lshlrev_b32_e32 v192, 16, v192
.LBB189_56:                             ;   in Loop: Header=BB189_3 Depth=1
	s_or_b32 exec_lo, exec_lo, s28
	v_add_co_u32 v194, vcc_lo, v37, 25
	v_add_co_ci_u32_e64 v195, null, 0, v38, vcc_lo
	v_mov_b32_e32 v196, 0
	v_cmp_gt_i64_e32 vcc_lo, s[8:9], v[194:195]
	v_mov_b32_e32 v195, 0
	s_and_b32 s29, s1, vcc_lo
	s_and_saveexec_b32 s28, s29
	s_cbranch_execz .LBB189_58
; %bb.57:                               ;   in Loop: Header=BB189_3 Depth=1
	v_add_co_u32 v196, vcc_lo, v69, v35
	v_add_co_ci_u32_e64 v197, null, v70, v36, vcc_lo
	v_add_co_u32 v198, vcc_lo, v71, v35
	v_add_co_ci_u32_e64 v199, null, v72, v36, vcc_lo
	global_load_ushort v28, v[196:197], off
	global_load_ushort v194, v[198:199], off
	s_waitcnt vmcnt(1)
	v_lshlrev_b32_e32 v28, 16, v28
	s_waitcnt vmcnt(0)
	v_lshlrev_b32_e32 v196, 16, v194
.LBB189_58:                             ;   in Loop: Header=BB189_3 Depth=1
	s_or_b32 exec_lo, exec_lo, s28
	v_add_co_u32 v197, vcc_lo, v37, 26
	v_add_co_ci_u32_e64 v198, null, 0, v38, vcc_lo
	v_cmp_gt_i64_e32 vcc_lo, s[8:9], v[197:198]
	s_and_b32 s29, s1, vcc_lo
	s_and_saveexec_b32 s28, s29
	s_cbranch_execz .LBB189_60
; %bb.59:                               ;   in Loop: Header=BB189_3 Depth=1
	v_add_co_u32 v194, vcc_lo, v65, v35
	v_add_co_ci_u32_e64 v195, null, v66, v36, vcc_lo
	v_add_co_u32 v197, vcc_lo, v67, v35
	v_add_co_ci_u32_e64 v198, null, v68, v36, vcc_lo
	global_load_ushort v29, v[194:195], off
	global_load_ushort v194, v[197:198], off
	s_waitcnt vmcnt(1)
	v_lshlrev_b32_e32 v29, 16, v29
	s_waitcnt vmcnt(0)
	v_lshlrev_b32_e32 v195, 16, v194
.LBB189_60:                             ;   in Loop: Header=BB189_3 Depth=1
	s_or_b32 exec_lo, exec_lo, s28
	v_add_co_u32 v197, vcc_lo, v37, 27
	v_add_co_ci_u32_e64 v198, null, 0, v38, vcc_lo
	v_cmp_gt_i64_e32 vcc_lo, s[8:9], v[197:198]
	v_mov_b32_e32 v197, 0
	v_mov_b32_e32 v198, 0
	s_and_b32 s29, s1, vcc_lo
	s_and_saveexec_b32 s28, s29
	s_cbranch_execz .LBB189_62
; %bb.61:                               ;   in Loop: Header=BB189_3 Depth=1
	v_add_co_u32 v198, vcc_lo, v61, v35
	v_add_co_ci_u32_e64 v199, null, v62, v36, vcc_lo
	v_add_co_u32 v200, vcc_lo, v63, v35
	v_add_co_ci_u32_e64 v201, null, v64, v36, vcc_lo
	global_load_ushort v30, v[198:199], off
	global_load_ushort v194, v[200:201], off
	s_waitcnt vmcnt(1)
	v_lshlrev_b32_e32 v30, 16, v30
	s_waitcnt vmcnt(0)
	v_lshlrev_b32_e32 v198, 16, v194
.LBB189_62:                             ;   in Loop: Header=BB189_3 Depth=1
	s_or_b32 exec_lo, exec_lo, s28
	v_add_co_u32 v199, vcc_lo, v37, 28
	v_add_co_ci_u32_e64 v200, null, 0, v38, vcc_lo
	v_cmp_gt_i64_e32 vcc_lo, s[8:9], v[199:200]
	s_and_b32 s29, s1, vcc_lo
	s_and_saveexec_b32 s28, s29
	s_cbranch_execz .LBB189_64
; %bb.63:                               ;   in Loop: Header=BB189_3 Depth=1
	v_add_co_u32 v199, vcc_lo, v57, v35
	v_add_co_ci_u32_e64 v200, null, v58, v36, vcc_lo
	v_add_co_u32 v201, vcc_lo, v59, v35
	v_add_co_ci_u32_e64 v202, null, v60, v36, vcc_lo
	global_load_ushort v31, v[199:200], off
	global_load_ushort v194, v[201:202], off
	s_waitcnt vmcnt(1)
	v_lshlrev_b32_e32 v31, 16, v31
	s_waitcnt vmcnt(0)
	v_lshlrev_b32_e32 v197, 16, v194
.LBB189_64:                             ;   in Loop: Header=BB189_3 Depth=1
	s_or_b32 exec_lo, exec_lo, s28
	v_add_co_u32 v199, vcc_lo, v37, 29
	v_add_co_ci_u32_e64 v200, null, 0, v38, vcc_lo
	v_cmp_gt_i64_e32 vcc_lo, s[8:9], v[199:200]
	v_mov_b32_e32 v199, 0
	v_mov_b32_e32 v200, 0
	s_and_b32 s29, s1, vcc_lo
	s_and_saveexec_b32 s28, s29
	s_cbranch_execz .LBB189_66
; %bb.65:                               ;   in Loop: Header=BB189_3 Depth=1
	v_add_co_u32 v200, vcc_lo, v53, v35
	v_add_co_ci_u32_e64 v201, null, v54, v36, vcc_lo
	v_add_co_u32 v202, vcc_lo, v55, v35
	v_add_co_ci_u32_e64 v203, null, v56, v36, vcc_lo
	global_load_ushort v32, v[200:201], off
	global_load_ushort v194, v[202:203], off
	s_waitcnt vmcnt(1)
	v_lshlrev_b32_e32 v32, 16, v32
	s_waitcnt vmcnt(0)
	v_lshlrev_b32_e32 v200, 16, v194
.LBB189_66:                             ;   in Loop: Header=BB189_3 Depth=1
	s_or_b32 exec_lo, exec_lo, s28
	v_add_co_u32 v201, vcc_lo, v37, 30
	v_add_co_ci_u32_e64 v202, null, 0, v38, vcc_lo
	v_cmp_gt_i64_e32 vcc_lo, s[8:9], v[201:202]
	s_and_b32 s29, s1, vcc_lo
	s_and_saveexec_b32 s28, s29
	s_cbranch_execz .LBB189_68
; %bb.67:                               ;   in Loop: Header=BB189_3 Depth=1
	v_add_co_u32 v201, vcc_lo, v49, v35
	v_add_co_ci_u32_e64 v202, null, v50, v36, vcc_lo
	v_add_co_u32 v203, vcc_lo, v51, v35
	v_add_co_ci_u32_e64 v204, null, v52, v36, vcc_lo
	global_load_ushort v33, v[201:202], off
	global_load_ushort v194, v[203:204], off
	s_waitcnt vmcnt(1)
	v_lshlrev_b32_e32 v33, 16, v33
	s_waitcnt vmcnt(0)
	v_lshlrev_b32_e32 v199, 16, v194
.LBB189_68:                             ;   in Loop: Header=BB189_3 Depth=1
	s_or_b32 exec_lo, exec_lo, s28
	v_add_co_u32 v201, vcc_lo, v37, 31
	v_add_co_ci_u32_e64 v202, null, 0, v38, vcc_lo
	v_mov_b32_e32 v194, 0
	v_cmp_gt_i64_e32 vcc_lo, s[8:9], v[201:202]
	s_and_b32 s29, s1, vcc_lo
	s_and_saveexec_b32 s28, s29
	s_cbranch_execz .LBB189_70
; %bb.69:                               ;   in Loop: Header=BB189_3 Depth=1
	v_add_co_u32 v201, vcc_lo, v45, v35
	v_add_co_ci_u32_e64 v202, null, v46, v36, vcc_lo
	v_add_co_u32 v203, vcc_lo, v47, v35
	v_add_co_ci_u32_e64 v204, null, v48, v36, vcc_lo
	global_load_ushort v34, v[201:202], off
	global_load_ushort v194, v[203:204], off
	s_waitcnt vmcnt(1)
	v_lshlrev_b32_e32 v34, 16, v34
	s_waitcnt vmcnt(0)
	v_lshlrev_b32_e32 v194, 16, v194
.LBB189_70:                             ;   in Loop: Header=BB189_3 Depth=1
	s_or_b32 exec_lo, exec_lo, s28
	s_waitcnt vmcnt(0)
	ds_bpermute_b32 v201, v2, v168
	ds_bpermute_b32 v203, v2, v168 offset:4
	ds_bpermute_b32 v204, v2, v168 offset:8
	v_mul_f32_e32 v3, v169, v3
	ds_bpermute_b32 v169, v2, v168 offset:12
	v_mul_f32_e32 v4, v171, v4
	ds_bpermute_b32 v171, v2, v168 offset:16
	s_mov_b32 s28, 0
	s_waitcnt lgkmcnt(4)
	v_fma_f32 v202, v3, v201, v167
	v_mul_f32_e32 v3, v170, v5
	ds_bpermute_b32 v5, v2, v168 offset:20
	s_waitcnt lgkmcnt(4)
	v_fmac_f32_e32 v202, v4, v203
	v_mul_f32_e32 v4, v173, v6
	ds_bpermute_b32 v6, v2, v168 offset:24
	s_waitcnt lgkmcnt(4)
	v_fmac_f32_e32 v202, v3, v204
	;; [unrolled: 4-line block ×27, first 2 shown]
	v_mul_f32_e32 v4, v200, v32
	s_waitcnt lgkmcnt(3)
	v_fmac_f32_e32 v202, v6, v8
	s_waitcnt lgkmcnt(2)
	v_fmac_f32_e32 v202, v4, v9
	v_mul_f32_e32 v4, v199, v33
	s_waitcnt lgkmcnt(1)
	v_fmac_f32_e32 v202, v4, v5
.LBB189_71:                             ;   in Loop: Header=BB189_3 Depth=1
	s_and_b32 vcc_lo, exec_lo, s28
	s_cbranch_vccz .LBB189_137
; %bb.72:                               ;   in Loop: Header=BB189_3 Depth=1
	s_load_dword s28, s[20:21], 0x0
	s_waitcnt lgkmcnt(0)
	s_cmp_lt_u32 s6, s28
	s_cselect_b32 s28, 12, 18
	s_add_u32 s28, s20, s28
	s_addc_u32 s29, s21, 0
	global_load_ushort v3, v2, s[28:29]
	s_mov_b32 s28, exec_lo
	s_waitcnt vmcnt(0)
	v_mad_u32_u24 v3, v223, v3, v224
	v_and_b32_e32 v3, 31, v3
	v_add_co_u32 v3, vcc_lo, v37, v3
	v_add_co_ci_u32_e64 v4, null, 0, v38, vcc_lo
	v_mov_b32_e32 v38, 0
	v_mov_b32_e32 v37, 0
	v_cmpx_gt_i64_e64 s[8:9], v[3:4]
	s_cbranch_execz .LBB189_74
; %bb.73:                               ;   in Loop: Header=BB189_3 Depth=1
	v_lshlrev_b64 v[3:4], 2, v[3:4]
	v_add_co_u32 v3, vcc_lo, s16, v3
	v_add_co_ci_u32_e64 v4, null, s17, v4, vcc_lo
	global_load_dword v37, v[3:4], off
.LBB189_74:                             ;   in Loop: Header=BB189_3 Depth=1
	s_or_b32 exec_lo, exec_lo, s28
	v_mov_b32_e32 v33, v2
	v_mov_b32_e32 v3, v2
	v_mov_b32_e32 v4, v2
	v_mov_b32_e32 v5, v2
	v_mov_b32_e32 v6, v2
	v_mov_b32_e32 v7, v2
	v_mov_b32_e32 v8, v2
	v_mov_b32_e32 v9, v2
	v_mov_b32_e32 v10, v2
	v_mov_b32_e32 v11, v2
	v_mov_b32_e32 v12, v2
	v_mov_b32_e32 v13, v2
	v_mov_b32_e32 v14, v2
	v_mov_b32_e32 v15, v2
	v_mov_b32_e32 v16, v2
	v_mov_b32_e32 v17, v2
	v_mov_b32_e32 v18, v2
	v_mov_b32_e32 v19, v2
	v_mov_b32_e32 v20, v2
	v_mov_b32_e32 v21, v2
	v_mov_b32_e32 v22, v2
	v_mov_b32_e32 v23, v2
	v_mov_b32_e32 v24, v2
	v_mov_b32_e32 v25, v2
	v_mov_b32_e32 v26, v2
	v_mov_b32_e32 v27, v2
	v_mov_b32_e32 v28, v2
	v_mov_b32_e32 v29, v2
	v_mov_b32_e32 v30, v2
	v_mov_b32_e32 v31, v2
	v_mov_b32_e32 v32, v2
	v_mov_b32_e32 v34, v33
	v_mov_b32_e32 v33, v32
	v_mov_b32_e32 v32, v31
	v_mov_b32_e32 v31, v30
	v_mov_b32_e32 v30, v29
	v_mov_b32_e32 v29, v28
	v_mov_b32_e32 v28, v27
	v_mov_b32_e32 v27, v26
	v_mov_b32_e32 v26, v25
	v_mov_b32_e32 v25, v24
	v_mov_b32_e32 v24, v23
	v_mov_b32_e32 v23, v22
	v_mov_b32_e32 v22, v21
	v_mov_b32_e32 v21, v20
	v_mov_b32_e32 v20, v19
	v_mov_b32_e32 v19, v18
	v_mov_b32_e32 v18, v17
	v_mov_b32_e32 v17, v16
	v_mov_b32_e32 v16, v15
	v_mov_b32_e32 v15, v14
	v_mov_b32_e32 v14, v13
	v_mov_b32_e32 v13, v12
	v_mov_b32_e32 v12, v11
	v_mov_b32_e32 v11, v10
	v_mov_b32_e32 v10, v9
	v_mov_b32_e32 v9, v8
	v_mov_b32_e32 v8, v7
	v_mov_b32_e32 v7, v6
	v_mov_b32_e32 v6, v5
	v_mov_b32_e32 v5, v4
	v_mov_b32_e32 v4, v3
	v_mov_b32_e32 v3, v2
	s_and_saveexec_b32 s28, s1
	s_cbranch_execz .LBB189_76
; %bb.75:                               ;   in Loop: Header=BB189_3 Depth=1
	v_add_co_u32 v3, vcc_lo, v41, v35
	v_add_co_ci_u32_e64 v4, null, v42, v36, vcc_lo
	v_add_co_u32 v5, vcc_lo, v43, v35
	v_add_co_ci_u32_e64 v6, null, v44, v36, vcc_lo
	global_load_ushort v3, v[3:4], off
	global_load_ushort v38, v[5:6], off
	v_mov_b32_e32 v4, v2
	v_mov_b32_e32 v5, v2
	v_mov_b32_e32 v6, v2
	v_mov_b32_e32 v7, v2
	v_mov_b32_e32 v8, v2
	v_mov_b32_e32 v9, v2
	v_mov_b32_e32 v10, v2
	v_mov_b32_e32 v11, v2
	v_mov_b32_e32 v12, v2
	v_mov_b32_e32 v13, v2
	v_mov_b32_e32 v14, v2
	v_mov_b32_e32 v15, v2
	v_mov_b32_e32 v16, v2
	v_mov_b32_e32 v17, v2
	v_mov_b32_e32 v18, v2
	v_mov_b32_e32 v19, v2
	v_mov_b32_e32 v20, v2
	v_mov_b32_e32 v21, v2
	v_mov_b32_e32 v22, v2
	v_mov_b32_e32 v23, v2
	v_mov_b32_e32 v24, v2
	v_mov_b32_e32 v25, v2
	v_mov_b32_e32 v26, v2
	v_mov_b32_e32 v27, v2
	v_mov_b32_e32 v28, v2
	v_mov_b32_e32 v29, v2
	v_mov_b32_e32 v30, v2
	v_mov_b32_e32 v31, v2
	v_mov_b32_e32 v32, v2
	v_mov_b32_e32 v33, v2
	v_mov_b32_e32 v34, v2
	s_waitcnt vmcnt(1)
	v_lshlrev_b32_e32 v3, 16, v3
	s_waitcnt vmcnt(0)
	v_lshlrev_b32_e32 v38, 16, v38
.LBB189_76:                             ;   in Loop: Header=BB189_3 Depth=1
	s_or_b32 exec_lo, exec_lo, s28
	v_mov_b32_e32 v168, 0
	v_mov_b32_e32 v169, 0
	s_and_saveexec_b32 s28, s1
	s_cbranch_execz .LBB189_78
; %bb.77:                               ;   in Loop: Header=BB189_3 Depth=1
	v_add_co_u32 v169, vcc_lo, v163, v35
	v_add_co_ci_u32_e64 v170, null, v164, v36, vcc_lo
	v_add_co_u32 v171, vcc_lo, v165, v35
	v_add_co_ci_u32_e64 v172, null, v166, v36, vcc_lo
	global_load_ushort v4, v[169:170], off
	global_load_ushort v169, v[171:172], off
	s_waitcnt vmcnt(1)
	v_lshlrev_b32_e32 v4, 16, v4
	s_waitcnt vmcnt(0)
	v_lshlrev_b32_e32 v169, 16, v169
.LBB189_78:                             ;   in Loop: Header=BB189_3 Depth=1
	s_or_b32 exec_lo, exec_lo, s28
	s_and_saveexec_b32 s28, s1
	s_cbranch_execz .LBB189_80
; %bb.79:                               ;   in Loop: Header=BB189_3 Depth=1
	v_add_co_u32 v170, vcc_lo, v159, v35
	v_add_co_ci_u32_e64 v171, null, v160, v36, vcc_lo
	v_add_co_u32 v172, vcc_lo, v161, v35
	v_add_co_ci_u32_e64 v173, null, v162, v36, vcc_lo
	global_load_ushort v5, v[170:171], off
	global_load_ushort v168, v[172:173], off
	s_waitcnt vmcnt(1)
	v_lshlrev_b32_e32 v5, 16, v5
	s_waitcnt vmcnt(0)
	v_lshlrev_b32_e32 v168, 16, v168
.LBB189_80:                             ;   in Loop: Header=BB189_3 Depth=1
	s_or_b32 exec_lo, exec_lo, s28
	v_mov_b32_e32 v170, 0
	v_mov_b32_e32 v171, 0
	s_and_saveexec_b32 s28, s1
	s_cbranch_execz .LBB189_82
; %bb.81:                               ;   in Loop: Header=BB189_3 Depth=1
	v_add_co_u32 v171, vcc_lo, v155, v35
	v_add_co_ci_u32_e64 v172, null, v156, v36, vcc_lo
	v_add_co_u32 v173, vcc_lo, v157, v35
	v_add_co_ci_u32_e64 v174, null, v158, v36, vcc_lo
	global_load_ushort v6, v[171:172], off
	global_load_ushort v171, v[173:174], off
	s_waitcnt vmcnt(1)
	v_lshlrev_b32_e32 v6, 16, v6
	s_waitcnt vmcnt(0)
	v_lshlrev_b32_e32 v171, 16, v171
.LBB189_82:                             ;   in Loop: Header=BB189_3 Depth=1
	s_or_b32 exec_lo, exec_lo, s28
	s_and_saveexec_b32 s28, s1
	s_cbranch_execz .LBB189_84
; %bb.83:                               ;   in Loop: Header=BB189_3 Depth=1
	v_add_co_u32 v172, vcc_lo, v151, v35
	v_add_co_ci_u32_e64 v173, null, v152, v36, vcc_lo
	v_add_co_u32 v174, vcc_lo, v153, v35
	v_add_co_ci_u32_e64 v175, null, v154, v36, vcc_lo
	global_load_ushort v7, v[172:173], off
	global_load_ushort v170, v[174:175], off
	s_waitcnt vmcnt(1)
	v_lshlrev_b32_e32 v7, 16, v7
	s_waitcnt vmcnt(0)
	v_lshlrev_b32_e32 v170, 16, v170
.LBB189_84:                             ;   in Loop: Header=BB189_3 Depth=1
	;; [unrolled: 32-line block ×5, first 2 shown]
	s_or_b32 exec_lo, exec_lo, s28
	v_mov_b32_e32 v178, 0
	v_mov_b32_e32 v179, 0
	s_and_saveexec_b32 s28, s1
	s_cbranch_execz .LBB189_98
; %bb.97:                               ;   in Loop: Header=BB189_3 Depth=1
	v_add_co_u32 v179, vcc_lo, v123, v35
	v_add_co_ci_u32_e64 v180, null, v124, v36, vcc_lo
	v_add_co_u32 v181, vcc_lo, v125, v35
	v_add_co_ci_u32_e64 v182, null, v126, v36, vcc_lo
	global_load_ushort v14, v[179:180], off
	global_load_ushort v179, v[181:182], off
	s_waitcnt vmcnt(1)
	v_lshlrev_b32_e32 v14, 16, v14
	s_waitcnt vmcnt(0)
	v_lshlrev_b32_e32 v179, 16, v179
.LBB189_98:                             ;   in Loop: Header=BB189_3 Depth=1
	s_or_b32 exec_lo, exec_lo, s28
	s_and_saveexec_b32 s28, s1
	s_cbranch_execz .LBB189_100
; %bb.99:                               ;   in Loop: Header=BB189_3 Depth=1
	v_add_co_u32 v180, vcc_lo, v119, v35
	v_add_co_ci_u32_e64 v181, null, v120, v36, vcc_lo
	v_add_co_u32 v182, vcc_lo, v121, v35
	v_add_co_ci_u32_e64 v183, null, v122, v36, vcc_lo
	global_load_ushort v15, v[180:181], off
	global_load_ushort v178, v[182:183], off
	s_waitcnt vmcnt(1)
	v_lshlrev_b32_e32 v15, 16, v15
	s_waitcnt vmcnt(0)
	v_lshlrev_b32_e32 v178, 16, v178
.LBB189_100:                            ;   in Loop: Header=BB189_3 Depth=1
	s_or_b32 exec_lo, exec_lo, s28
	v_mov_b32_e32 v180, 0
	v_mov_b32_e32 v181, 0
	s_and_saveexec_b32 s28, s1
	s_cbranch_execz .LBB189_102
; %bb.101:                              ;   in Loop: Header=BB189_3 Depth=1
	v_add_co_u32 v181, vcc_lo, v115, v35
	v_add_co_ci_u32_e64 v182, null, v116, v36, vcc_lo
	v_add_co_u32 v183, vcc_lo, v117, v35
	v_add_co_ci_u32_e64 v184, null, v118, v36, vcc_lo
	global_load_ushort v16, v[181:182], off
	global_load_ushort v181, v[183:184], off
	s_waitcnt vmcnt(1)
	v_lshlrev_b32_e32 v16, 16, v16
	s_waitcnt vmcnt(0)
	v_lshlrev_b32_e32 v181, 16, v181
.LBB189_102:                            ;   in Loop: Header=BB189_3 Depth=1
	s_or_b32 exec_lo, exec_lo, s28
	s_and_saveexec_b32 s28, s1
	s_cbranch_execz .LBB189_104
; %bb.103:                              ;   in Loop: Header=BB189_3 Depth=1
	v_add_co_u32 v182, vcc_lo, v0, v35
	v_add_co_ci_u32_e64 v183, null, v1, v36, vcc_lo
	v_add_co_u32 v184, vcc_lo, v113, v35
	v_add_co_ci_u32_e64 v185, null, v114, v36, vcc_lo
	global_load_ushort v17, v[182:183], off
	global_load_ushort v180, v[184:185], off
	s_waitcnt vmcnt(1)
	v_lshlrev_b32_e32 v17, 16, v17
	s_waitcnt vmcnt(0)
	v_lshlrev_b32_e32 v180, 16, v180
.LBB189_104:                            ;   in Loop: Header=BB189_3 Depth=1
	s_or_b32 exec_lo, exec_lo, s28
	v_mov_b32_e32 v182, 0
	v_mov_b32_e32 v183, 0
	s_and_saveexec_b32 s28, s1
	s_cbranch_execz .LBB189_106
; %bb.105:                              ;   in Loop: Header=BB189_3 Depth=1
	v_add_co_u32 v183, vcc_lo, v109, v35
	v_add_co_ci_u32_e64 v184, null, v110, v36, vcc_lo
	v_add_co_u32 v185, vcc_lo, v111, v35
	v_add_co_ci_u32_e64 v186, null, v112, v36, vcc_lo
	global_load_ushort v18, v[183:184], off
	global_load_ushort v183, v[185:186], off
	s_waitcnt vmcnt(1)
	v_lshlrev_b32_e32 v18, 16, v18
	s_waitcnt vmcnt(0)
	v_lshlrev_b32_e32 v183, 16, v183
.LBB189_106:                            ;   in Loop: Header=BB189_3 Depth=1
	s_or_b32 exec_lo, exec_lo, s28
	s_and_saveexec_b32 s28, s1
	s_cbranch_execz .LBB189_108
; %bb.107:                              ;   in Loop: Header=BB189_3 Depth=1
	v_add_co_u32 v184, vcc_lo, v105, v35
	v_add_co_ci_u32_e64 v185, null, v106, v36, vcc_lo
	v_add_co_u32 v186, vcc_lo, v107, v35
	v_add_co_ci_u32_e64 v187, null, v108, v36, vcc_lo
	global_load_ushort v19, v[184:185], off
	global_load_ushort v182, v[186:187], off
	s_waitcnt vmcnt(1)
	v_lshlrev_b32_e32 v19, 16, v19
	s_waitcnt vmcnt(0)
	v_lshlrev_b32_e32 v182, 16, v182
.LBB189_108:                            ;   in Loop: Header=BB189_3 Depth=1
	;; [unrolled: 32-line block ×8, first 2 shown]
	s_or_b32 exec_lo, exec_lo, s28
	v_mov_b32_e32 v197, 0
	v_mov_b32_e32 v198, 0
	s_and_saveexec_b32 s28, s1
	s_cbranch_execnz .LBB189_139
; %bb.133:                              ;   in Loop: Header=BB189_3 Depth=1
	s_or_b32 exec_lo, exec_lo, s28
	s_and_saveexec_b32 s28, s1
	s_cbranch_execnz .LBB189_140
.LBB189_134:                            ;   in Loop: Header=BB189_3 Depth=1
	s_or_b32 exec_lo, exec_lo, s28
	v_mov_b32_e32 v194, 0
	s_and_saveexec_b32 s28, s1
	s_cbranch_execz .LBB189_136
.LBB189_135:                            ;   in Loop: Header=BB189_3 Depth=1
	v_add_co_u32 v199, vcc_lo, v45, v35
	v_add_co_ci_u32_e64 v200, null, v46, v36, vcc_lo
	v_add_co_u32 v201, vcc_lo, v47, v35
	v_add_co_ci_u32_e64 v202, null, v48, v36, vcc_lo
	global_load_ushort v34, v[199:200], off
	global_load_ushort v194, v[201:202], off
	s_waitcnt vmcnt(1)
	v_lshlrev_b32_e32 v34, 16, v34
	s_waitcnt vmcnt(0)
	v_lshlrev_b32_e32 v194, 16, v194
.LBB189_136:                            ;   in Loop: Header=BB189_3 Depth=1
	s_or_b32 exec_lo, exec_lo, s28
	s_waitcnt vmcnt(0)
	ds_bpermute_b32 v199, v2, v37
	ds_bpermute_b32 v200, v2, v37 offset:4
	ds_bpermute_b32 v201, v2, v37 offset:8
	v_mul_f32_e32 v3, v38, v3
	ds_bpermute_b32 v38, v2, v37 offset:12
	v_mul_f32_e32 v4, v169, v4
	ds_bpermute_b32 v169, v2, v37 offset:16
	s_waitcnt lgkmcnt(4)
	v_fmac_f32_e32 v167, v3, v199
	v_mul_f32_e32 v3, v168, v5
	ds_bpermute_b32 v5, v2, v37 offset:20
	s_waitcnt lgkmcnt(4)
	v_fmac_f32_e32 v167, v4, v200
	;; [unrolled: 4-line block ×27, first 2 shown]
	v_mul_f32_e32 v3, v195, v31
	s_waitcnt lgkmcnt(3)
	v_fmac_f32_e32 v167, v4, v7
	v_mul_f32_e32 v4, v198, v32
	s_waitcnt lgkmcnt(2)
	v_fmac_f32_e32 v167, v3, v8
	ds_bpermute_b32 v3, v2, v37 offset:124
	s_waitcnt lgkmcnt(2)
	v_fmac_f32_e32 v167, v4, v9
	v_mul_f32_e32 v4, v197, v33
	s_waitcnt lgkmcnt(1)
	v_fmac_f32_e32 v167, v4, v5
	v_mov_b32_e32 v202, v167
.LBB189_137:                            ;   in Loop: Header=BB189_3 Depth=1
	v_add_co_u32 v41, vcc_lo, v41, s2
	v_add_co_ci_u32_e64 v42, null, s3, v42, vcc_lo
	v_add_co_u32 v43, vcc_lo, v43, s2
	v_add_co_ci_u32_e64 v44, null, s3, v44, vcc_lo
	;; [unrolled: 2-line block ×61, first 2 shown]
	v_add_co_u32 v161, vcc_lo, v161, s2
	s_add_u32 s24, s24, s27
	v_add_co_ci_u32_e64 v162, null, s3, v162, vcc_lo
	v_add_co_u32 v163, vcc_lo, v163, s2
	v_mul_f32_e32 v4, v194, v34
	s_addc_u32 s25, s25, 0
	v_add_co_ci_u32_e64 v164, null, s3, v164, vcc_lo
	v_add_co_u32 v165, vcc_lo, v165, s2
	v_cmp_lt_i64_e64 s28, s[24:25], s[8:9]
	v_add_co_ci_u32_e64 v166, null, s3, v166, vcc_lo
	v_add_co_u32 v39, vcc_lo, v39, s27
	s_waitcnt lgkmcnt(0)
	v_fmac_f32_e32 v202, v4, v3
	v_add_co_ci_u32_e64 v40, null, 0, v40, vcc_lo
	s_add_u32 s22, s22, s27
	s_addc_u32 s23, 0, s23
	s_and_b32 vcc_lo, exec_lo, s28
	s_cbranch_vccz .LBB189_142
; %bb.138:                              ;   in Loop: Header=BB189_3 Depth=1
	v_mov_b32_e32 v167, v202
	s_branch .LBB189_3
.LBB189_139:                            ;   in Loop: Header=BB189_3 Depth=1
	v_add_co_u32 v198, vcc_lo, v53, v35
	v_add_co_ci_u32_e64 v199, null, v54, v36, vcc_lo
	v_add_co_u32 v200, vcc_lo, v55, v35
	v_add_co_ci_u32_e64 v201, null, v56, v36, vcc_lo
	global_load_ushort v32, v[198:199], off
	global_load_ushort v194, v[200:201], off
	s_waitcnt vmcnt(1)
	v_lshlrev_b32_e32 v32, 16, v32
	s_waitcnt vmcnt(0)
	v_lshlrev_b32_e32 v198, 16, v194
	s_or_b32 exec_lo, exec_lo, s28
	s_and_saveexec_b32 s28, s1
	s_cbranch_execz .LBB189_134
.LBB189_140:                            ;   in Loop: Header=BB189_3 Depth=1
	v_add_co_u32 v199, vcc_lo, v49, v35
	v_add_co_ci_u32_e64 v200, null, v50, v36, vcc_lo
	v_add_co_u32 v201, vcc_lo, v51, v35
	v_add_co_ci_u32_e64 v202, null, v52, v36, vcc_lo
	global_load_ushort v33, v[199:200], off
	global_load_ushort v194, v[201:202], off
	s_waitcnt vmcnt(1)
	v_lshlrev_b32_e32 v33, 16, v33
	s_waitcnt vmcnt(0)
	v_lshlrev_b32_e32 v197, 16, v194
	s_or_b32 exec_lo, exec_lo, s28
	v_mov_b32_e32 v194, 0
	s_and_saveexec_b32 s28, s1
	s_cbranch_execnz .LBB189_135
	s_branch .LBB189_136
.LBB189_141:
                                        ; implicit-def: $vgpr202
	s_load_dwordx2 s[2:3], s[4:5], 0x30
	s_branch .LBB189_143
.LBB189_142:
	s_load_dwordx2 s[2:3], s[4:5], 0x30
	s_cbranch_execnz .LBB189_219
.LBB189_143:
	v_mov_b32_e32 v202, 0
	s_andn2_b32 vcc_lo, exec_lo, s26
	s_cbranch_vccnz .LBB189_219
; %bb.144:
	v_lshlrev_b32_e32 v192, 5, v223
	v_lshlrev_b32_e32 v2, 6, v223
	s_add_u32 s20, s4, 64
	s_addc_u32 s21, s5, 0
	s_lshl_b64 s[22:23], s[18:19], 1
	v_add_co_u32 v0, s1, v192, s18
	v_add_co_ci_u32_e64 v1, null, 0, 0, s1
	v_add_co_u32 v4, s1, v2, s22
	v_add_co_ci_u32_e64 v5, null, 0, s23, s1
	v_mul_lo_u32 v6, s11, v0
	v_add_co_u32 v8, vcc_lo, v4, 2
	v_mul_lo_u32 v7, s10, v1
	v_add_co_ci_u32_e64 v9, null, 0, v5, vcc_lo
	v_mad_u64_u32 v[2:3], null, s10, v0, 0
	v_add_co_u32 v10, vcc_lo, v4, 4
	v_add_co_ci_u32_e64 v12, null, 0, v5, vcc_lo
	v_add_co_u32 v13, vcc_lo, v4, 6
	v_add_co_ci_u32_e64 v14, null, 0, v5, vcc_lo
	v_add_co_u32 v16, vcc_lo, v4, 8
	v_add_co_ci_u32_e64 v18, null, 0, v5, vcc_lo
	v_add_co_u32 v19, vcc_lo, v4, 10
	v_add_co_ci_u32_e64 v20, null, 0, v5, vcc_lo
	v_add3_u32 v3, v3, v7, v6
	v_add_co_u32 v6, vcc_lo, v4, 12
	v_mad_u64_u32 v[35:36], null, s10, v8, s[12:13]
	v_mul_lo_u32 v9, s10, v9
	v_mul_lo_u32 v11, s11, v8
	v_mad_u64_u32 v[49:50], null, s10, v8, s[14:15]
	v_add_co_ci_u32_e64 v7, null, 0, v5, vcc_lo
	v_add_co_u32 v23, vcc_lo, v4, 14
	v_mad_u64_u32 v[37:38], null, s10, v10, s[12:13]
	v_mul_lo_u32 v12, s10, v12
	v_mul_lo_u32 v15, s11, v10
	v_mad_u64_u32 v[53:54], null, s10, v10, s[14:15]
	v_add_co_ci_u32_e64 v24, null, 0, v5, vcc_lo
	v_add_co_u32 v26, vcc_lo, v4, 16
	v_add_co_ci_u32_e64 v27, null, 0, v5, vcc_lo
	v_mad_u64_u32 v[45:46], null, s10, v6, s[12:13]
	v_mul_lo_u32 v7, s10, v7
	v_mul_lo_u32 v25, s11, v6
	v_mad_u64_u32 v[63:64], null, s10, v6, s[14:15]
	v_add3_u32 v36, v11, v36, v9
	v_mad_u64_u32 v[47:48], null, s10, v23, s[12:13]
	v_mul_lo_u32 v24, s10, v24
	v_mul_lo_u32 v8, s11, v23
	v_add3_u32 v50, v11, v50, v9
	v_add_co_u32 v9, vcc_lo, v4, 18
	v_mad_u64_u32 v[65:66], null, s10, v23, s[14:15]
	v_add3_u32 v38, v15, v38, v12
	v_mad_u64_u32 v[51:52], null, s10, v26, s[12:13]
	v_add_co_ci_u32_e64 v10, null, 0, v5, vcc_lo
	v_mul_lo_u32 v11, s10, v27
	v_add3_u32 v54, v15, v54, v12
	v_mul_lo_u32 v12, s11, v26
	v_mad_u64_u32 v[67:68], null, s10, v26, s[14:15]
	v_add3_u32 v46, v25, v46, v7
	v_add3_u32 v64, v25, v64, v7
	v_add_co_u32 v7, vcc_lo, v4, 20
	v_mad_u64_u32 v[59:60], null, s10, v9, s[12:13]
	v_mul_lo_u32 v10, s10, v10
	v_mul_lo_u32 v6, s11, v9
	v_mad_u64_u32 v[69:70], null, s10, v9, s[14:15]
	v_add3_u32 v48, v8, v48, v24
	v_add3_u32 v66, v8, v66, v24
	v_add_co_ci_u32_e64 v8, null, 0, v5, vcc_lo
	v_add_co_u32 v9, vcc_lo, v4, 22
	v_add3_u32 v52, v12, v52, v11
	v_add3_u32 v68, v12, v68, v11
	v_add_co_ci_u32_e64 v11, null, 0, v5, vcc_lo
	v_mad_u64_u32 v[71:72], null, s10, v7, s[12:13]
	v_mul_lo_u32 v8, s10, v8
	v_mul_lo_u32 v12, s11, v7
	v_mad_u64_u32 v[73:74], null, s10, v7, s[14:15]
	v_add3_u32 v60, v6, v60, v10
	v_add3_u32 v70, v6, v70, v10
	v_mul_lo_u32 v6, s10, v11
	v_mul_lo_u32 v7, s11, v9
	v_mad_u64_u32 v[75:76], null, s10, v9, s[12:13]
	v_mad_u64_u32 v[77:78], null, s10, v9, s[14:15]
	v_add_co_u32 v9, vcc_lo, v4, 24
	v_add_co_ci_u32_e64 v10, null, 0, v5, vcc_lo
	v_add3_u32 v72, v12, v72, v8
	v_add3_u32 v74, v12, v74, v8
	v_add_co_u32 v8, vcc_lo, v4, 26
	v_add3_u32 v76, v7, v76, v6
	v_add3_u32 v78, v7, v78, v6
	v_mul_lo_u32 v6, s10, v10
	v_add_co_ci_u32_e64 v10, null, 0, v5, vcc_lo
	v_mul_lo_u32 v7, s11, v9
	v_mad_u64_u32 v[79:80], null, s10, v9, s[12:13]
	v_mad_u64_u32 v[81:82], null, s10, v9, s[14:15]
	v_mul_lo_u32 v9, s10, v10
	v_mul_lo_u32 v10, s11, v8
	v_mad_u64_u32 v[83:84], null, s10, v8, s[12:13]
	v_mad_u64_u32 v[85:86], null, s10, v8, s[14:15]
	v_add_co_u32 v8, vcc_lo, v4, 28
	v_add_co_ci_u32_e64 v11, null, 0, v5, vcc_lo
	v_add3_u32 v84, v10, v84, v9
	v_add3_u32 v80, v7, v80, v6
	;; [unrolled: 1-line block ×3, first 2 shown]
	v_add_co_u32 v9, vcc_lo, v4, 30
	v_add_co_ci_u32_e64 v10, null, 0, v5, vcc_lo
	v_add3_u32 v82, v7, v82, v6
	v_mul_lo_u32 v6, s10, v11
	v_mul_lo_u32 v7, s11, v8
	v_mad_u64_u32 v[87:88], null, s10, v8, s[12:13]
	v_mad_u64_u32 v[89:90], null, s10, v8, s[14:15]
	v_mul_lo_u32 v8, s10, v10
	v_mul_lo_u32 v10, s11, v9
	v_mad_u64_u32 v[91:92], null, s10, v9, s[12:13]
	v_mad_u64_u32 v[93:94], null, s10, v9, s[14:15]
	v_add_co_u32 v9, vcc_lo, v4, 32
	v_add_co_ci_u32_e64 v11, null, 0, v5, vcc_lo
	v_add3_u32 v88, v7, v88, v6
	v_add3_u32 v90, v7, v90, v6
	v_mul_lo_u32 v7, s11, v9
	v_mul_lo_u32 v6, s10, v11
	v_mad_u64_u32 v[95:96], null, s10, v9, s[12:13]
	v_mad_u64_u32 v[97:98], null, s10, v9, s[14:15]
	v_add3_u32 v92, v10, v92, v8
	v_add3_u32 v94, v10, v94, v8
	v_mad_u64_u32 v[39:40], null, s10, v13, s[12:13]
	v_add3_u32 v96, v7, v96, v6
	v_mul_lo_u32 v17, s11, v13
	v_add3_u32 v98, v7, v98, v6
	v_add_co_u32 v6, vcc_lo, v4, 34
	v_add_co_ci_u32_e64 v7, null, 0, v5, vcc_lo
	v_mad_u64_u32 v[55:56], null, s10, v13, s[14:15]
	v_mul_lo_u32 v8, s11, v6
	v_mul_lo_u32 v7, s10, v7
	v_mad_u64_u32 v[99:100], null, s10, v6, s[12:13]
	v_mad_u64_u32 v[101:102], null, s10, v6, s[14:15]
	v_add_co_u32 v6, vcc_lo, v4, 36
	v_mul_lo_u32 v14, s10, v14
	v_mad_u64_u32 v[41:42], null, s10, v16, s[12:13]
	v_add3_u32 v100, v8, v100, v7
	v_add3_u32 v102, v8, v102, v7
	v_add_co_ci_u32_e64 v7, null, 0, v5, vcc_lo
	v_mul_lo_u32 v8, s11, v6
	v_mad_u64_u32 v[103:104], null, s10, v6, s[12:13]
	v_mul_lo_u32 v7, s10, v7
	v_mad_u64_u32 v[105:106], null, s10, v6, s[14:15]
	v_add_co_u32 v6, vcc_lo, v4, 38
	v_add3_u32 v40, v17, v40, v14
	v_add3_u32 v56, v17, v56, v14
	v_mul_lo_u32 v21, s11, v16
	v_add3_u32 v104, v8, v104, v7
	v_add3_u32 v106, v8, v106, v7
	v_add_co_ci_u32_e64 v7, null, 0, v5, vcc_lo
	v_mul_lo_u32 v8, s11, v6
	v_mad_u64_u32 v[107:108], null, s10, v6, s[12:13]
	v_mul_lo_u32 v7, s10, v7
	v_mad_u64_u32 v[109:110], null, s10, v6, s[14:15]
	v_add_co_u32 v6, vcc_lo, v4, 40
	v_mad_u64_u32 v[57:58], null, s10, v16, s[14:15]
	v_mul_lo_u32 v18, s10, v18
	v_add3_u32 v108, v8, v108, v7
	v_add3_u32 v110, v8, v110, v7
	v_add_co_ci_u32_e64 v7, null, 0, v5, vcc_lo
	v_mul_lo_u32 v8, s11, v6
	v_mad_u64_u32 v[111:112], null, s10, v6, s[12:13]
	v_mul_lo_u32 v7, s10, v7
	v_mad_u64_u32 v[113:114], null, s10, v6, s[14:15]
	v_add_co_u32 v6, vcc_lo, v4, 42
	v_mad_u64_u32 v[43:44], null, s10, v19, s[12:13]
	v_mul_lo_u32 v22, s11, v19
	v_add3_u32 v112, v8, v112, v7
	v_add3_u32 v114, v8, v114, v7
	v_add_co_ci_u32_e64 v7, null, 0, v5, vcc_lo
	v_mul_lo_u32 v8, s11, v6
	v_mad_u64_u32 v[115:116], null, s10, v6, s[12:13]
	v_mul_lo_u32 v7, s10, v7
	v_mad_u64_u32 v[117:118], null, s10, v6, s[14:15]
	v_add_co_u32 v6, vcc_lo, v4, 44
	v_add3_u32 v42, v21, v42, v18
	v_mad_u64_u32 v[61:62], null, s10, v19, s[14:15]
	v_add3_u32 v116, v8, v116, v7
	v_add3_u32 v118, v8, v118, v7
	v_add_co_ci_u32_e64 v7, null, 0, v5, vcc_lo
	v_mul_lo_u32 v8, s11, v6
	v_mad_u64_u32 v[119:120], null, s10, v6, s[12:13]
	v_mul_lo_u32 v7, s10, v7
	v_mad_u64_u32 v[121:122], null, s10, v6, s[14:15]
	v_add_co_u32 v6, vcc_lo, v4, 46
	v_add3_u32 v58, v21, v58, v18
	v_mul_lo_u32 v20, s10, v20
	s_load_dword s1, s[4:5], 0x44
	v_add3_u32 v120, v8, v120, v7
	v_add3_u32 v122, v8, v122, v7
	v_add_co_ci_u32_e64 v7, null, 0, v5, vcc_lo
	v_mul_lo_u32 v8, s11, v6
	v_mad_u64_u32 v[123:124], null, s10, v6, s[12:13]
	v_mul_lo_u32 v7, s10, v7
	v_mad_u64_u32 v[125:126], null, s10, v6, s[14:15]
	v_add_co_u32 v6, vcc_lo, v4, 48
	v_add3_u32 v44, v22, v44, v20
	v_add3_u32 v62, v22, v62, v20
	v_mov_b32_e32 v203, 0
	v_add3_u32 v124, v8, v124, v7
	v_add3_u32 v126, v8, v126, v7
	v_add_co_ci_u32_e64 v7, null, 0, v5, vcc_lo
	v_mul_lo_u32 v8, s11, v6
	v_mad_u64_u32 v[127:128], null, s10, v6, s[12:13]
	v_mul_lo_u32 v7, s10, v7
	v_mad_u64_u32 v[129:130], null, s10, v6, s[14:15]
	v_add_co_u32 v6, vcc_lo, v4, 50
	s_waitcnt lgkmcnt(0)
	s_lshl_b32 s1, s1, 5
	s_mov_b64 s[22:23], s[18:19]
	v_add3_u32 v128, v8, v128, v7
	v_add3_u32 v130, v8, v130, v7
	v_add_co_ci_u32_e64 v7, null, 0, v5, vcc_lo
	v_mul_lo_u32 v8, s11, v6
	v_mad_u64_u32 v[131:132], null, s10, v6, s[12:13]
	v_mul_lo_u32 v7, s10, v7
	v_mad_u64_u32 v[133:134], null, s10, v6, s[14:15]
	v_add_co_u32 v6, vcc_lo, v4, 52
	v_add3_u32 v132, v8, v132, v7
	v_add3_u32 v134, v8, v134, v7
	v_add_co_ci_u32_e64 v7, null, 0, v5, vcc_lo
	v_mul_lo_u32 v8, s11, v6
	v_mad_u64_u32 v[135:136], null, s10, v6, s[12:13]
	v_mul_lo_u32 v7, s10, v7
	v_mad_u64_u32 v[137:138], null, s10, v6, s[14:15]
	v_add_co_u32 v6, vcc_lo, v4, 54
	;; [unrolled: 8-line block ×5, first 2 shown]
	v_add3_u32 v148, v8, v148, v7
	v_add3_u32 v150, v8, v150, v7
	v_add_co_ci_u32_e64 v7, null, 0, v5, vcc_lo
	v_add_co_u32 v4, vcc_lo, v4, 62
	v_add_co_ci_u32_e64 v5, null, 0, v5, vcc_lo
	v_mul_lo_u32 v8, s11, v6
	v_mad_u64_u32 v[151:152], null, s10, v6, s[12:13]
	v_mad_u64_u32 v[153:154], null, s10, v6, s[14:15]
	v_mul_lo_u32 v5, s10, v5
	v_mul_lo_u32 v6, s11, v4
	v_mad_u64_u32 v[155:156], null, s10, v4, s[12:13]
	v_mad_u64_u32 v[157:158], null, s10, v4, s[14:15]
	v_mul_lo_u32 v7, s10, v7
	v_add_co_u32 v4, vcc_lo, v0, 31
	v_add3_u32 v156, v6, v156, v5
	v_add3_u32 v158, v6, v158, v5
	v_add_co_ci_u32_e64 v5, null, 0, v1, vcc_lo
	v_add3_u32 v152, v8, v152, v7
	v_add3_u32 v154, v8, v154, v7
	v_mul_lo_u32 v7, s11, v4
	v_mul_lo_u32 v6, s10, v5
	v_mad_u64_u32 v[4:5], null, s10, v4, 0
	v_add3_u32 v5, v5, v6, v7
	v_add_co_u32 v6, vcc_lo, v0, 30
	v_add_co_ci_u32_e64 v7, null, 0, v1, vcc_lo
	v_mul_lo_u32 v9, s11, v6
	v_mul_lo_u32 v8, s10, v7
	v_mad_u64_u32 v[6:7], null, s10, v6, 0
	v_add3_u32 v7, v7, v8, v9
	v_add_co_u32 v8, vcc_lo, v0, 29
	v_add_co_ci_u32_e64 v9, null, 0, v1, vcc_lo
	;; [unrolled: 6-line block ×15, first 2 shown]
	v_mul_lo_u32 v162, s11, v34
	v_mul_lo_u32 v161, s10, v159
	v_mad_u64_u32 v[159:160], null, s10, v34, 0
	v_add_co_u32 v34, vcc_lo, v0, 15
	v_mul_lo_u32 v164, s11, v34
	v_add3_u32 v160, v160, v161, v162
	v_add_co_ci_u32_e64 v161, null, 0, v1, vcc_lo
	v_mul_lo_u32 v163, s10, v161
	v_mad_u64_u32 v[161:162], null, s10, v34, 0
	v_add_co_u32 v34, vcc_lo, v0, 14
	v_mad_u64_u32 v[168:169], null, s10, v34, 0
	v_add3_u32 v162, v162, v163, v164
	v_add_co_ci_u32_e64 v163, null, 0, v1, vcc_lo
	v_mul_lo_u32 v164, s11, v34
	v_add_co_u32 v34, vcc_lo, v0, 13
	v_mul_lo_u32 v163, s10, v163
	v_mad_u64_u32 v[170:171], null, s10, v34, 0
	v_add3_u32 v169, v169, v163, v164
	v_add_co_ci_u32_e64 v163, null, 0, v1, vcc_lo
	v_mul_lo_u32 v164, s11, v34
	v_add_co_u32 v34, vcc_lo, v0, 12
	v_mul_lo_u32 v163, s10, v163
	;; [unrolled: 6-line block ×11, first 2 shown]
	v_mad_u64_u32 v[190:191], null, s10, v34, 0
	v_add3_u32 v189, v189, v163, v164
	v_add_co_ci_u32_e64 v163, null, 0, v1, vcc_lo
	v_add_co_u32 v0, vcc_lo, v0, 2
	v_add_co_ci_u32_e64 v1, null, 0, v1, vcc_lo
	v_mul_lo_u32 v164, s11, v34
	v_mul_lo_u32 v34, s11, v0
	v_mad_u64_u32 v[193:194], null, s10, v0, 0
	v_mul_lo_u32 v1, s10, v1
	v_mul_lo_u32 v163, s10, v163
	v_add_co_u32 v197, vcc_lo, v2, s10
	v_add_co_ci_u32_e64 v198, null, s11, v3, vcc_lo
	v_add3_u32 v194, v194, v1, v34
	v_lshlrev_b64 v[0:1], 1, v[2:3]
	v_add3_u32 v191, v191, v163, v164
	v_add_co_u32 v164, vcc_lo, s12, v0
	v_add_co_ci_u32_e64 v165, null, s13, v1, vcc_lo
	v_add_co_u32 v166, vcc_lo, s14, v0
	v_add_co_ci_u32_e64 v167, null, s15, v1, vcc_lo
	v_lshlrev_b64 v[0:1], 1, v[4:5]
	v_mov_b32_e32 v5, v192
	v_add_co_u32 v2, vcc_lo, s12, v0
	buffer_store_dword v2, off, s[36:39], 0 ; 4-byte Folded Spill
	v_add_co_ci_u32_e64 v2, null, s13, v1, vcc_lo
	v_add_co_u32 v0, vcc_lo, s14, v0
	buffer_store_dword v2, off, s[36:39], 0 offset:4 ; 4-byte Folded Spill
	buffer_store_dword v0, off, s[36:39], 0 offset:8 ; 4-byte Folded Spill
	v_add_co_ci_u32_e64 v0, null, s15, v1, vcc_lo
	buffer_store_dword v0, off, s[36:39], 0 offset:12 ; 4-byte Folded Spill
	v_lshlrev_b64 v[0:1], 1, v[6:7]
	v_add_co_u32 v2, vcc_lo, s12, v0
	buffer_store_dword v2, off, s[36:39], 0 offset:16 ; 4-byte Folded Spill
	v_add_co_ci_u32_e64 v2, null, s13, v1, vcc_lo
	v_add_co_u32 v0, vcc_lo, s14, v0
	buffer_store_dword v2, off, s[36:39], 0 offset:20 ; 4-byte Folded Spill
	buffer_store_dword v0, off, s[36:39], 0 offset:24 ; 4-byte Folded Spill
	v_add_co_ci_u32_e64 v0, null, s15, v1, vcc_lo
	buffer_store_dword v0, off, s[36:39], 0 offset:28 ; 4-byte Folded Spill
	v_lshlrev_b64 v[0:1], 1, v[8:9]
	v_add_co_u32 v2, vcc_lo, s12, v0
	buffer_store_dword v2, off, s[36:39], 0 offset:32 ; 4-byte Folded Spill
	;; [unrolled: 9-line block ×13, first 2 shown]
	v_add_co_ci_u32_e64 v2, null, s13, v1, vcc_lo
	v_add_co_u32 v0, vcc_lo, s14, v0
	buffer_store_dword v2, off, s[36:39], 0 offset:212 ; 4-byte Folded Spill
	buffer_store_dword v0, off, s[36:39], 0 offset:216 ; 4-byte Folded Spill
	v_add_co_ci_u32_e64 v0, null, s15, v1, vcc_lo
	buffer_store_dword v0, off, s[36:39], 0 offset:220 ; 4-byte Folded Spill
	v_lshlrev_b64 v[0:1], 1, v[32:33]
	v_add_co_u32 v2, vcc_lo, s12, v0
	v_add_co_ci_u32_e64 v225, null, s13, v1, vcc_lo
	v_add_co_u32 v226, vcc_lo, s14, v0
	v_add_co_ci_u32_e64 v227, null, s15, v1, vcc_lo
	v_lshlrev_b64 v[0:1], 1, v[159:160]
	buffer_store_dword v2, off, s[36:39], 0 offset:224 ; 4-byte Folded Spill
	v_add_co_u32 v228, vcc_lo, s12, v0
	v_add_co_ci_u32_e64 v229, null, s13, v1, vcc_lo
	v_add_co_u32 v230, vcc_lo, s14, v0
	v_add_co_ci_u32_e64 v231, null, s15, v1, vcc_lo
	v_lshlrev_b64 v[0:1], 1, v[161:162]
	v_add_co_u32 v232, vcc_lo, s12, v0
	v_add_co_ci_u32_e64 v233, null, s13, v1, vcc_lo
	v_add_co_u32 v234, vcc_lo, s14, v0
	v_add_co_ci_u32_e64 v235, null, s15, v1, vcc_lo
	v_lshlrev_b64 v[0:1], 1, v[168:169]
	;; [unrolled: 5-line block ×15, first 2 shown]
	v_add_co_u32 v197, vcc_lo, s12, v2
	v_add_co_ci_u32_e64 v198, null, s13, v3, vcc_lo
	v_add_co_u32 v199, vcc_lo, s14, v2
	v_mov_b32_e32 v2, 0
	v_add_co_ci_u32_e64 v200, null, s15, v3, vcc_lo
	v_add_nc_u32_e32 v3, s7, v224
	s_mul_i32 s7, s11, s1
	v_mov_b32_e32 v4, v2
	s_mul_hi_u32 s12, s10, s1
	v_mov_b32_e32 v201, v2
	s_add_i32 s13, s12, s7
	s_mul_i32 s12, s10, s1
	v_lshlrev_b64 v[159:160], 1, v[3:4]
	s_lshl_b64 s[12:13], s[12:13], 1
	s_mov_b64 s[14:15], 31
.LBB189_145:                            ; =>This Inner Loop Header: Depth=1
	s_add_u32 s24, s18, s14
	s_addc_u32 s25, 0, s15
	v_add_co_u32 v161, vcc_lo, s18, v5
	v_cmp_ge_i64_e64 s7, s[24:25], s[8:9]
	v_add_co_ci_u32_e64 v162, null, 0, v201, vcc_lo
	buffer_store_dword v5, off, s[36:39], 0 offset:228 ; 4-byte Folded Spill
                                        ; implicit-def: $vgpr202
	s_and_b32 vcc_lo, exec_lo, s7
	s_mov_b32 s7, -1
	s_cbranch_vccz .LBB189_213
; %bb.146:                              ;   in Loop: Header=BB189_145 Depth=1
	s_load_dword s7, s[20:21], 0xc
	v_mov_b32_e32 v202, 0
	v_mov_b32_e32 v204, 0
	s_waitcnt lgkmcnt(0)
	s_and_b32 s7, s7, 0xffff
	v_mad_u32_u24 v3, v223, s7, v224
	s_mov_b32 s7, exec_lo
	v_and_b32_e32 v3, 31, v3
	v_add_co_u32 v3, vcc_lo, v161, v3
	v_add_co_ci_u32_e64 v4, null, 0, v162, vcc_lo
	v_cmpx_gt_i64_e64 s[8:9], v[3:4]
	s_cbranch_execz .LBB189_148
; %bb.147:                              ;   in Loop: Header=BB189_145 Depth=1
	v_lshlrev_b64 v[3:4], 2, v[3:4]
	v_add_co_u32 v3, vcc_lo, s16, v3
	v_add_co_ci_u32_e64 v4, null, s17, v4, vcc_lo
	global_load_dword v204, v[3:4], off
.LBB189_148:                            ;   in Loop: Header=BB189_145 Depth=1
	s_or_b32 exec_lo, exec_lo, s7
	v_mov_b32_e32 v33, v2
	v_mov_b32_e32 v3, v2
	;; [unrolled: 1-line block ×63, first 2 shown]
	s_mov_b32 s7, exec_lo
	v_cmpx_gt_i64_e64 s[8:9], v[161:162]
	s_cbranch_execz .LBB189_150
; %bb.149:                              ;   in Loop: Header=BB189_145 Depth=1
	v_add_co_u32 v3, vcc_lo, v164, v159
	v_add_co_ci_u32_e64 v4, null, v165, v160, vcc_lo
	v_add_co_u32 v5, vcc_lo, v166, v159
	v_add_co_ci_u32_e64 v6, null, v167, v160, vcc_lo
	global_load_ushort v3, v[3:4], off
	global_load_ushort v202, v[5:6], off
	v_mov_b32_e32 v4, v2
	v_mov_b32_e32 v5, v2
	;; [unrolled: 1-line block ×31, first 2 shown]
	s_waitcnt vmcnt(1)
	v_lshlrev_b32_e32 v3, 16, v3
	s_waitcnt vmcnt(0)
	v_lshlrev_b32_e32 v202, 16, v202
.LBB189_150:                            ;   in Loop: Header=BB189_145 Depth=1
	s_or_b32 exec_lo, exec_lo, s7
	v_add_co_u32 v205, vcc_lo, v161, 1
	v_add_co_ci_u32_e64 v206, null, 0, v162, vcc_lo
	v_cmp_gt_i64_e32 vcc_lo, s[8:9], v[205:206]
	v_mov_b32_e32 v205, 0
	buffer_store_dword v205, off, s[36:39], 0 offset:232 ; 4-byte Folded Spill
	v_mov_b32_e32 v205, 0
	buffer_store_dword v205, off, s[36:39], 0 offset:236 ; 4-byte Folded Spill
	s_and_saveexec_b32 s7, vcc_lo
	s_cbranch_execz .LBB189_152
; %bb.151:                              ;   in Loop: Header=BB189_145 Depth=1
	v_add_co_u32 v205, vcc_lo, v197, v159
	v_add_co_ci_u32_e64 v206, null, v198, v160, vcc_lo
	v_add_co_u32 v207, vcc_lo, v199, v159
	v_add_co_ci_u32_e64 v208, null, v200, v160, vcc_lo
	global_load_ushort v4, v[205:206], off
	global_load_ushort v205, v[207:208], off
	s_waitcnt vmcnt(1)
	v_lshlrev_b32_e32 v4, 16, v4
	s_waitcnt vmcnt(0)
	v_lshlrev_b32_e32 v205, 16, v205
	buffer_store_dword v205, off, s[36:39], 0 offset:236 ; 4-byte Folded Spill
.LBB189_152:                            ;   in Loop: Header=BB189_145 Depth=1
	s_or_b32 exec_lo, exec_lo, s7
	v_add_co_u32 v205, vcc_lo, v161, 2
	v_add_co_ci_u32_e64 v206, null, 0, v162, vcc_lo
	s_mov_b32 s7, exec_lo
	v_cmpx_gt_i64_e64 s[8:9], v[205:206]
	s_cbranch_execz .LBB189_154
; %bb.153:                              ;   in Loop: Header=BB189_145 Depth=1
	v_add_co_u32 v205, vcc_lo, v193, v159
	v_add_co_ci_u32_e64 v206, null, v194, v160, vcc_lo
	v_add_co_u32 v207, vcc_lo, v195, v159
	v_add_co_ci_u32_e64 v208, null, v196, v160, vcc_lo
	global_load_ushort v5, v[205:206], off
	global_load_ushort v205, v[207:208], off
	s_waitcnt vmcnt(1)
	v_lshlrev_b32_e32 v5, 16, v5
	s_waitcnt vmcnt(0)
	v_lshlrev_b32_e32 v205, 16, v205
	buffer_store_dword v205, off, s[36:39], 0 offset:232 ; 4-byte Folded Spill
.LBB189_154:                            ;   in Loop: Header=BB189_145 Depth=1
	s_or_b32 exec_lo, exec_lo, s7
	v_add_co_u32 v205, vcc_lo, v161, 3
	v_add_co_ci_u32_e64 v206, null, 0, v162, vcc_lo
	v_cmp_gt_i64_e32 vcc_lo, s[8:9], v[205:206]
	v_mov_b32_e32 v205, 0
	buffer_store_dword v205, off, s[36:39], 0 offset:240 ; 4-byte Folded Spill
	v_mov_b32_e32 v205, 0
	buffer_store_dword v205, off, s[36:39], 0 offset:244 ; 4-byte Folded Spill
	s_and_saveexec_b32 s7, vcc_lo
	s_cbranch_execz .LBB189_156
; %bb.155:                              ;   in Loop: Header=BB189_145 Depth=1
	v_add_co_u32 v205, vcc_lo, v189, v159
	v_add_co_ci_u32_e64 v206, null, v190, v160, vcc_lo
	v_add_co_u32 v207, vcc_lo, v191, v159
	v_add_co_ci_u32_e64 v208, null, v192, v160, vcc_lo
	global_load_ushort v6, v[205:206], off
	global_load_ushort v205, v[207:208], off
	s_waitcnt vmcnt(1)
	v_lshlrev_b32_e32 v6, 16, v6
	s_waitcnt vmcnt(0)
	v_lshlrev_b32_e32 v205, 16, v205
	buffer_store_dword v205, off, s[36:39], 0 offset:244 ; 4-byte Folded Spill
.LBB189_156:                            ;   in Loop: Header=BB189_145 Depth=1
	s_or_b32 exec_lo, exec_lo, s7
	v_add_co_u32 v205, vcc_lo, v161, 4
	v_add_co_ci_u32_e64 v206, null, 0, v162, vcc_lo
	s_mov_b32 s7, exec_lo
	v_cmpx_gt_i64_e64 s[8:9], v[205:206]
	s_cbranch_execz .LBB189_158
; %bb.157:                              ;   in Loop: Header=BB189_145 Depth=1
	v_add_co_u32 v205, vcc_lo, v185, v159
	v_add_co_ci_u32_e64 v206, null, v186, v160, vcc_lo
	v_add_co_u32 v207, vcc_lo, v187, v159
	v_add_co_ci_u32_e64 v208, null, v188, v160, vcc_lo
	global_load_ushort v7, v[205:206], off
	global_load_ushort v205, v[207:208], off
	s_waitcnt vmcnt(1)
	v_lshlrev_b32_e32 v7, 16, v7
	s_waitcnt vmcnt(0)
	v_lshlrev_b32_e32 v205, 16, v205
	buffer_store_dword v205, off, s[36:39], 0 offset:240 ; 4-byte Folded Spill
.LBB189_158:                            ;   in Loop: Header=BB189_145 Depth=1
	;; [unrolled: 42-line block ×8, first 2 shown]
	s_or_b32 exec_lo, exec_lo, s7
	v_add_co_u32 v205, vcc_lo, v161, 17
	v_add_co_ci_u32_e64 v206, null, 0, v162, vcc_lo
	v_cmp_gt_i64_e32 vcc_lo, s[8:9], v[205:206]
	v_mov_b32_e32 v205, 0
	v_mov_b32_e32 v206, 0
	s_and_saveexec_b32 s7, vcc_lo
	s_cbranch_execz .LBB189_184
; %bb.183:                              ;   in Loop: Header=BB189_145 Depth=1
	buffer_load_dword v20, off, s[36:39], 0 offset:224 ; 4-byte Folded Reload
	s_waitcnt vmcnt(0)
	v_add_co_u32 v206, vcc_lo, v20, v159
	v_add_co_ci_u32_e64 v207, null, v225, v160, vcc_lo
	v_add_co_u32 v208, vcc_lo, v226, v159
	v_add_co_ci_u32_e64 v209, null, v227, v160, vcc_lo
	global_load_ushort v20, v[206:207], off
	global_load_ushort v206, v[208:209], off
	s_waitcnt vmcnt(1)
	v_lshlrev_b32_e32 v20, 16, v20
	s_waitcnt vmcnt(0)
	v_lshlrev_b32_e32 v206, 16, v206
.LBB189_184:                            ;   in Loop: Header=BB189_145 Depth=1
	s_or_b32 exec_lo, exec_lo, s7
	v_add_co_u32 v207, vcc_lo, v161, 18
	v_add_co_ci_u32_e64 v208, null, 0, v162, vcc_lo
	s_mov_b32 s7, exec_lo
	v_cmpx_gt_i64_e64 s[8:9], v[207:208]
	s_cbranch_execz .LBB189_186
; %bb.185:                              ;   in Loop: Header=BB189_145 Depth=1
	buffer_load_dword v21, off, s[36:39], 0 offset:208 ; 4-byte Folded Reload
	s_waitcnt vmcnt(0)
	v_add_co_u32 v207, vcc_lo, v21, v159
	buffer_load_dword v21, off, s[36:39], 0 offset:212 ; 4-byte Folded Reload
	s_waitcnt vmcnt(0)
	v_add_co_ci_u32_e64 v208, null, v21, v160, vcc_lo
	buffer_load_dword v21, off, s[36:39], 0 offset:216 ; 4-byte Folded Reload
	s_waitcnt vmcnt(0)
	v_add_co_u32 v209, vcc_lo, v21, v159
	buffer_load_dword v21, off, s[36:39], 0 offset:220 ; 4-byte Folded Reload
	s_waitcnt vmcnt(0)
	v_add_co_ci_u32_e64 v210, null, v21, v160, vcc_lo
	global_load_ushort v21, v[207:208], off
	global_load_ushort v205, v[209:210], off
	s_waitcnt vmcnt(1)
	v_lshlrev_b32_e32 v21, 16, v21
	s_waitcnt vmcnt(0)
	v_lshlrev_b32_e32 v205, 16, v205
.LBB189_186:                            ;   in Loop: Header=BB189_145 Depth=1
	s_or_b32 exec_lo, exec_lo, s7
	v_add_co_u32 v207, vcc_lo, v161, 19
	v_add_co_ci_u32_e64 v208, null, 0, v162, vcc_lo
	v_cmp_gt_i64_e32 vcc_lo, s[8:9], v[207:208]
	v_mov_b32_e32 v207, 0
	v_mov_b32_e32 v208, 0
	s_and_saveexec_b32 s7, vcc_lo
	s_cbranch_execz .LBB189_188
; %bb.187:                              ;   in Loop: Header=BB189_145 Depth=1
	buffer_load_dword v22, off, s[36:39], 0 offset:192 ; 4-byte Folded Reload
	s_waitcnt vmcnt(0)
	v_add_co_u32 v208, vcc_lo, v22, v159
	buffer_load_dword v22, off, s[36:39], 0 offset:196 ; 4-byte Folded Reload
	s_waitcnt vmcnt(0)
	v_add_co_ci_u32_e64 v209, null, v22, v160, vcc_lo
	buffer_load_dword v22, off, s[36:39], 0 offset:200 ; 4-byte Folded Reload
	s_waitcnt vmcnt(0)
	v_add_co_u32 v210, vcc_lo, v22, v159
	buffer_load_dword v22, off, s[36:39], 0 offset:204 ; 4-byte Folded Reload
	s_waitcnt vmcnt(0)
	v_add_co_ci_u32_e64 v211, null, v22, v160, vcc_lo
	global_load_ushort v22, v[208:209], off
	global_load_ushort v208, v[210:211], off
	s_waitcnt vmcnt(1)
	v_lshlrev_b32_e32 v22, 16, v22
	s_waitcnt vmcnt(0)
	v_lshlrev_b32_e32 v208, 16, v208
.LBB189_188:                            ;   in Loop: Header=BB189_145 Depth=1
	s_or_b32 exec_lo, exec_lo, s7
	v_add_co_u32 v209, vcc_lo, v161, 20
	v_add_co_ci_u32_e64 v210, null, 0, v162, vcc_lo
	s_mov_b32 s7, exec_lo
	v_cmpx_gt_i64_e64 s[8:9], v[209:210]
	s_cbranch_execz .LBB189_190
; %bb.189:                              ;   in Loop: Header=BB189_145 Depth=1
	buffer_load_dword v23, off, s[36:39], 0 offset:176 ; 4-byte Folded Reload
	s_waitcnt vmcnt(0)
	v_add_co_u32 v209, vcc_lo, v23, v159
	buffer_load_dword v23, off, s[36:39], 0 offset:180 ; 4-byte Folded Reload
	s_waitcnt vmcnt(0)
	v_add_co_ci_u32_e64 v210, null, v23, v160, vcc_lo
	buffer_load_dword v23, off, s[36:39], 0 offset:184 ; 4-byte Folded Reload
	s_waitcnt vmcnt(0)
	v_add_co_u32 v211, vcc_lo, v23, v159
	buffer_load_dword v23, off, s[36:39], 0 offset:188 ; 4-byte Folded Reload
	s_waitcnt vmcnt(0)
	v_add_co_ci_u32_e64 v212, null, v23, v160, vcc_lo
	global_load_ushort v23, v[209:210], off
	global_load_ushort v207, v[211:212], off
	s_waitcnt vmcnt(1)
	v_lshlrev_b32_e32 v23, 16, v23
	s_waitcnt vmcnt(0)
	v_lshlrev_b32_e32 v207, 16, v207
.LBB189_190:                            ;   in Loop: Header=BB189_145 Depth=1
	s_or_b32 exec_lo, exec_lo, s7
	v_add_co_u32 v209, vcc_lo, v161, 21
	v_add_co_ci_u32_e64 v210, null, 0, v162, vcc_lo
	v_cmp_gt_i64_e32 vcc_lo, s[8:9], v[209:210]
	v_mov_b32_e32 v209, 0
	v_mov_b32_e32 v210, 0
	s_and_saveexec_b32 s7, vcc_lo
	s_cbranch_execz .LBB189_192
; %bb.191:                              ;   in Loop: Header=BB189_145 Depth=1
	buffer_load_dword v24, off, s[36:39], 0 offset:160 ; 4-byte Folded Reload
	s_waitcnt vmcnt(0)
	v_add_co_u32 v210, vcc_lo, v24, v159
	buffer_load_dword v24, off, s[36:39], 0 offset:164 ; 4-byte Folded Reload
	s_waitcnt vmcnt(0)
	v_add_co_ci_u32_e64 v211, null, v24, v160, vcc_lo
	buffer_load_dword v24, off, s[36:39], 0 offset:168 ; 4-byte Folded Reload
	s_waitcnt vmcnt(0)
	v_add_co_u32 v212, vcc_lo, v24, v159
	buffer_load_dword v24, off, s[36:39], 0 offset:172 ; 4-byte Folded Reload
	s_waitcnt vmcnt(0)
	v_add_co_ci_u32_e64 v213, null, v24, v160, vcc_lo
	global_load_ushort v24, v[210:211], off
	global_load_ushort v210, v[212:213], off
	s_waitcnt vmcnt(1)
	v_lshlrev_b32_e32 v24, 16, v24
	s_waitcnt vmcnt(0)
	v_lshlrev_b32_e32 v210, 16, v210
.LBB189_192:                            ;   in Loop: Header=BB189_145 Depth=1
	s_or_b32 exec_lo, exec_lo, s7
	v_add_co_u32 v211, vcc_lo, v161, 22
	v_add_co_ci_u32_e64 v212, null, 0, v162, vcc_lo
	s_mov_b32 s7, exec_lo
	v_cmpx_gt_i64_e64 s[8:9], v[211:212]
	s_cbranch_execz .LBB189_194
; %bb.193:                              ;   in Loop: Header=BB189_145 Depth=1
	buffer_load_dword v25, off, s[36:39], 0 offset:144 ; 4-byte Folded Reload
	s_waitcnt vmcnt(0)
	v_add_co_u32 v211, vcc_lo, v25, v159
	buffer_load_dword v25, off, s[36:39], 0 offset:148 ; 4-byte Folded Reload
	s_waitcnt vmcnt(0)
	v_add_co_ci_u32_e64 v212, null, v25, v160, vcc_lo
	buffer_load_dword v25, off, s[36:39], 0 offset:152 ; 4-byte Folded Reload
	s_waitcnt vmcnt(0)
	v_add_co_u32 v213, vcc_lo, v25, v159
	buffer_load_dword v25, off, s[36:39], 0 offset:156 ; 4-byte Folded Reload
	s_waitcnt vmcnt(0)
	v_add_co_ci_u32_e64 v214, null, v25, v160, vcc_lo
	global_load_ushort v25, v[211:212], off
	global_load_ushort v209, v[213:214], off
	s_waitcnt vmcnt(1)
	v_lshlrev_b32_e32 v25, 16, v25
	s_waitcnt vmcnt(0)
	v_lshlrev_b32_e32 v209, 16, v209
.LBB189_194:                            ;   in Loop: Header=BB189_145 Depth=1
	s_or_b32 exec_lo, exec_lo, s7
	v_add_co_u32 v211, vcc_lo, v161, 23
	v_add_co_ci_u32_e64 v212, null, 0, v162, vcc_lo
	v_cmp_gt_i64_e32 vcc_lo, s[8:9], v[211:212]
	v_mov_b32_e32 v211, 0
	v_mov_b32_e32 v212, 0
	s_and_saveexec_b32 s7, vcc_lo
	s_cbranch_execz .LBB189_196
; %bb.195:                              ;   in Loop: Header=BB189_145 Depth=1
	buffer_load_dword v26, off, s[36:39], 0 offset:128 ; 4-byte Folded Reload
	s_waitcnt vmcnt(0)
	v_add_co_u32 v212, vcc_lo, v26, v159
	buffer_load_dword v26, off, s[36:39], 0 offset:132 ; 4-byte Folded Reload
	s_waitcnt vmcnt(0)
	v_add_co_ci_u32_e64 v213, null, v26, v160, vcc_lo
	buffer_load_dword v26, off, s[36:39], 0 offset:136 ; 4-byte Folded Reload
	s_waitcnt vmcnt(0)
	v_add_co_u32 v214, vcc_lo, v26, v159
	buffer_load_dword v26, off, s[36:39], 0 offset:140 ; 4-byte Folded Reload
	s_waitcnt vmcnt(0)
	v_add_co_ci_u32_e64 v215, null, v26, v160, vcc_lo
	global_load_ushort v26, v[212:213], off
	global_load_ushort v212, v[214:215], off
	s_waitcnt vmcnt(1)
	v_lshlrev_b32_e32 v26, 16, v26
	s_waitcnt vmcnt(0)
	v_lshlrev_b32_e32 v212, 16, v212
.LBB189_196:                            ;   in Loop: Header=BB189_145 Depth=1
	s_or_b32 exec_lo, exec_lo, s7
	v_add_co_u32 v213, vcc_lo, v161, 24
	v_add_co_ci_u32_e64 v214, null, 0, v162, vcc_lo
	s_mov_b32 s7, exec_lo
	v_cmpx_gt_i64_e64 s[8:9], v[213:214]
	s_cbranch_execz .LBB189_198
; %bb.197:                              ;   in Loop: Header=BB189_145 Depth=1
	buffer_load_dword v27, off, s[36:39], 0 offset:112 ; 4-byte Folded Reload
	s_waitcnt vmcnt(0)
	v_add_co_u32 v213, vcc_lo, v27, v159
	buffer_load_dword v27, off, s[36:39], 0 offset:116 ; 4-byte Folded Reload
	s_waitcnt vmcnt(0)
	v_add_co_ci_u32_e64 v214, null, v27, v160, vcc_lo
	buffer_load_dword v27, off, s[36:39], 0 offset:120 ; 4-byte Folded Reload
	s_waitcnt vmcnt(0)
	v_add_co_u32 v215, vcc_lo, v27, v159
	buffer_load_dword v27, off, s[36:39], 0 offset:124 ; 4-byte Folded Reload
	s_waitcnt vmcnt(0)
	v_add_co_ci_u32_e64 v216, null, v27, v160, vcc_lo
	global_load_ushort v27, v[213:214], off
	global_load_ushort v211, v[215:216], off
	s_waitcnt vmcnt(1)
	v_lshlrev_b32_e32 v27, 16, v27
	s_waitcnt vmcnt(0)
	v_lshlrev_b32_e32 v211, 16, v211
.LBB189_198:                            ;   in Loop: Header=BB189_145 Depth=1
	s_or_b32 exec_lo, exec_lo, s7
	v_add_co_u32 v213, vcc_lo, v161, 25
	v_add_co_ci_u32_e64 v214, null, 0, v162, vcc_lo
	v_cmp_gt_i64_e32 vcc_lo, s[8:9], v[213:214]
	v_mov_b32_e32 v213, 0
	v_mov_b32_e32 v214, 0
	s_and_saveexec_b32 s7, vcc_lo
	s_cbranch_execz .LBB189_200
; %bb.199:                              ;   in Loop: Header=BB189_145 Depth=1
	buffer_load_dword v28, off, s[36:39], 0 offset:96 ; 4-byte Folded Reload
	s_waitcnt vmcnt(0)
	v_add_co_u32 v214, vcc_lo, v28, v159
	buffer_load_dword v28, off, s[36:39], 0 offset:100 ; 4-byte Folded Reload
	s_waitcnt vmcnt(0)
	v_add_co_ci_u32_e64 v215, null, v28, v160, vcc_lo
	buffer_load_dword v28, off, s[36:39], 0 offset:104 ; 4-byte Folded Reload
	s_waitcnt vmcnt(0)
	v_add_co_u32 v216, vcc_lo, v28, v159
	buffer_load_dword v28, off, s[36:39], 0 offset:108 ; 4-byte Folded Reload
	s_waitcnt vmcnt(0)
	v_add_co_ci_u32_e64 v217, null, v28, v160, vcc_lo
	global_load_ushort v28, v[214:215], off
	global_load_ushort v214, v[216:217], off
	s_waitcnt vmcnt(1)
	v_lshlrev_b32_e32 v28, 16, v28
	s_waitcnt vmcnt(0)
	v_lshlrev_b32_e32 v214, 16, v214
.LBB189_200:                            ;   in Loop: Header=BB189_145 Depth=1
	s_or_b32 exec_lo, exec_lo, s7
	v_add_co_u32 v215, vcc_lo, v161, 26
	v_add_co_ci_u32_e64 v216, null, 0, v162, vcc_lo
	s_mov_b32 s7, exec_lo
	v_cmpx_gt_i64_e64 s[8:9], v[215:216]
	s_cbranch_execz .LBB189_202
; %bb.201:                              ;   in Loop: Header=BB189_145 Depth=1
	buffer_load_dword v29, off, s[36:39], 0 offset:80 ; 4-byte Folded Reload
	s_waitcnt vmcnt(0)
	v_add_co_u32 v215, vcc_lo, v29, v159
	buffer_load_dword v29, off, s[36:39], 0 offset:84 ; 4-byte Folded Reload
	s_waitcnt vmcnt(0)
	v_add_co_ci_u32_e64 v216, null, v29, v160, vcc_lo
	buffer_load_dword v29, off, s[36:39], 0 offset:88 ; 4-byte Folded Reload
	s_waitcnt vmcnt(0)
	v_add_co_u32 v217, vcc_lo, v29, v159
	buffer_load_dword v29, off, s[36:39], 0 offset:92 ; 4-byte Folded Reload
	s_waitcnt vmcnt(0)
	v_add_co_ci_u32_e64 v218, null, v29, v160, vcc_lo
	global_load_ushort v29, v[215:216], off
	global_load_ushort v213, v[217:218], off
	s_waitcnt vmcnt(1)
	v_lshlrev_b32_e32 v29, 16, v29
	s_waitcnt vmcnt(0)
	v_lshlrev_b32_e32 v213, 16, v213
.LBB189_202:                            ;   in Loop: Header=BB189_145 Depth=1
	s_or_b32 exec_lo, exec_lo, s7
	v_add_co_u32 v215, vcc_lo, v161, 27
	v_add_co_ci_u32_e64 v216, null, 0, v162, vcc_lo
	v_cmp_gt_i64_e32 vcc_lo, s[8:9], v[215:216]
	v_mov_b32_e32 v215, 0
	v_mov_b32_e32 v216, 0
	s_and_saveexec_b32 s7, vcc_lo
	s_cbranch_execz .LBB189_204
; %bb.203:                              ;   in Loop: Header=BB189_145 Depth=1
	buffer_load_dword v30, off, s[36:39], 0 offset:64 ; 4-byte Folded Reload
	s_waitcnt vmcnt(0)
	v_add_co_u32 v216, vcc_lo, v30, v159
	buffer_load_dword v30, off, s[36:39], 0 offset:68 ; 4-byte Folded Reload
	s_waitcnt vmcnt(0)
	v_add_co_ci_u32_e64 v217, null, v30, v160, vcc_lo
	buffer_load_dword v30, off, s[36:39], 0 offset:72 ; 4-byte Folded Reload
	s_waitcnt vmcnt(0)
	v_add_co_u32 v218, vcc_lo, v30, v159
	buffer_load_dword v30, off, s[36:39], 0 offset:76 ; 4-byte Folded Reload
	s_waitcnt vmcnt(0)
	v_add_co_ci_u32_e64 v219, null, v30, v160, vcc_lo
	global_load_ushort v30, v[216:217], off
	global_load_ushort v216, v[218:219], off
	s_waitcnt vmcnt(1)
	v_lshlrev_b32_e32 v30, 16, v30
	s_waitcnt vmcnt(0)
	v_lshlrev_b32_e32 v216, 16, v216
.LBB189_204:                            ;   in Loop: Header=BB189_145 Depth=1
	s_or_b32 exec_lo, exec_lo, s7
	v_add_co_u32 v217, vcc_lo, v161, 28
	v_add_co_ci_u32_e64 v218, null, 0, v162, vcc_lo
	s_mov_b32 s7, exec_lo
	v_cmpx_gt_i64_e64 s[8:9], v[217:218]
	s_cbranch_execz .LBB189_206
; %bb.205:                              ;   in Loop: Header=BB189_145 Depth=1
	buffer_load_dword v31, off, s[36:39], 0 offset:48 ; 4-byte Folded Reload
	s_waitcnt vmcnt(0)
	v_add_co_u32 v217, vcc_lo, v31, v159
	buffer_load_dword v31, off, s[36:39], 0 offset:52 ; 4-byte Folded Reload
	s_waitcnt vmcnt(0)
	v_add_co_ci_u32_e64 v218, null, v31, v160, vcc_lo
	buffer_load_dword v31, off, s[36:39], 0 offset:56 ; 4-byte Folded Reload
	s_waitcnt vmcnt(0)
	v_add_co_u32 v219, vcc_lo, v31, v159
	buffer_load_dword v31, off, s[36:39], 0 offset:60 ; 4-byte Folded Reload
	s_waitcnt vmcnt(0)
	v_add_co_ci_u32_e64 v220, null, v31, v160, vcc_lo
	global_load_ushort v31, v[217:218], off
	global_load_ushort v215, v[219:220], off
	s_waitcnt vmcnt(1)
	v_lshlrev_b32_e32 v31, 16, v31
	s_waitcnt vmcnt(0)
	v_lshlrev_b32_e32 v215, 16, v215
.LBB189_206:                            ;   in Loop: Header=BB189_145 Depth=1
	s_or_b32 exec_lo, exec_lo, s7
	v_add_co_u32 v217, vcc_lo, v161, 29
	v_add_co_ci_u32_e64 v218, null, 0, v162, vcc_lo
	v_cmp_gt_i64_e32 vcc_lo, s[8:9], v[217:218]
	v_mov_b32_e32 v217, 0
	v_mov_b32_e32 v218, 0
	s_and_saveexec_b32 s7, vcc_lo
	s_cbranch_execz .LBB189_208
; %bb.207:                              ;   in Loop: Header=BB189_145 Depth=1
	buffer_load_dword v32, off, s[36:39], 0 offset:32 ; 4-byte Folded Reload
	s_waitcnt vmcnt(0)
	v_add_co_u32 v218, vcc_lo, v32, v159
	buffer_load_dword v32, off, s[36:39], 0 offset:36 ; 4-byte Folded Reload
	s_waitcnt vmcnt(0)
	v_add_co_ci_u32_e64 v219, null, v32, v160, vcc_lo
	buffer_load_dword v32, off, s[36:39], 0 offset:40 ; 4-byte Folded Reload
	s_waitcnt vmcnt(0)
	v_add_co_u32 v220, vcc_lo, v32, v159
	buffer_load_dword v32, off, s[36:39], 0 offset:44 ; 4-byte Folded Reload
	s_waitcnt vmcnt(0)
	v_add_co_ci_u32_e64 v221, null, v32, v160, vcc_lo
	global_load_ushort v32, v[218:219], off
	global_load_ushort v218, v[220:221], off
	s_waitcnt vmcnt(1)
	v_lshlrev_b32_e32 v32, 16, v32
	s_waitcnt vmcnt(0)
	v_lshlrev_b32_e32 v218, 16, v218
.LBB189_208:                            ;   in Loop: Header=BB189_145 Depth=1
	s_or_b32 exec_lo, exec_lo, s7
	v_add_co_u32 v219, vcc_lo, v161, 30
	v_add_co_ci_u32_e64 v220, null, 0, v162, vcc_lo
	s_mov_b32 s7, exec_lo
	v_cmpx_gt_i64_e64 s[8:9], v[219:220]
	s_cbranch_execz .LBB189_210
; %bb.209:                              ;   in Loop: Header=BB189_145 Depth=1
	buffer_load_dword v33, off, s[36:39], 0 offset:16 ; 4-byte Folded Reload
	s_waitcnt vmcnt(0)
	v_add_co_u32 v219, vcc_lo, v33, v159
	buffer_load_dword v33, off, s[36:39], 0 offset:20 ; 4-byte Folded Reload
	s_waitcnt vmcnt(0)
	v_add_co_ci_u32_e64 v220, null, v33, v160, vcc_lo
	buffer_load_dword v33, off, s[36:39], 0 offset:24 ; 4-byte Folded Reload
	s_waitcnt vmcnt(0)
	v_add_co_u32 v221, vcc_lo, v33, v159
	buffer_load_dword v33, off, s[36:39], 0 offset:28 ; 4-byte Folded Reload
	s_waitcnt vmcnt(0)
	v_add_co_ci_u32_e64 v222, null, v33, v160, vcc_lo
	global_load_ushort v33, v[219:220], off
	global_load_ushort v217, v[221:222], off
	s_waitcnt vmcnt(1)
	v_lshlrev_b32_e32 v33, 16, v33
	s_waitcnt vmcnt(0)
	v_lshlrev_b32_e32 v217, 16, v217
.LBB189_210:                            ;   in Loop: Header=BB189_145 Depth=1
	s_or_b32 exec_lo, exec_lo, s7
	v_add_co_u32 v219, vcc_lo, v161, 31
	v_add_co_ci_u32_e64 v220, null, 0, v162, vcc_lo
	v_cmp_gt_i64_e32 vcc_lo, s[8:9], v[219:220]
	v_mov_b32_e32 v219, 0
	s_and_saveexec_b32 s7, vcc_lo
	s_cbranch_execz .LBB189_212
; %bb.211:                              ;   in Loop: Header=BB189_145 Depth=1
	buffer_load_dword v34, off, s[36:39], 0 ; 4-byte Folded Reload
	s_waitcnt vmcnt(0)
	v_add_co_u32 v219, vcc_lo, v34, v159
	buffer_load_dword v34, off, s[36:39], 0 offset:4 ; 4-byte Folded Reload
	s_waitcnt vmcnt(0)
	v_add_co_ci_u32_e64 v220, null, v34, v160, vcc_lo
	buffer_load_dword v34, off, s[36:39], 0 offset:8 ; 4-byte Folded Reload
	s_waitcnt vmcnt(0)
	v_add_co_u32 v221, vcc_lo, v34, v159
	buffer_load_dword v34, off, s[36:39], 0 offset:12 ; 4-byte Folded Reload
	s_waitcnt vmcnt(0)
	v_add_co_ci_u32_e64 v222, null, v34, v160, vcc_lo
	global_load_ushort v34, v[219:220], off
	global_load_ushort v219, v[221:222], off
	s_waitcnt vmcnt(1)
	v_lshlrev_b32_e32 v34, 16, v34
	s_waitcnt vmcnt(0)
	v_lshlrev_b32_e32 v219, 16, v219
.LBB189_212:                            ;   in Loop: Header=BB189_145 Depth=1
	s_or_b32 exec_lo, exec_lo, s7
	v_mul_f32_e32 v3, v202, v3
	s_waitcnt vmcnt(0)
	ds_bpermute_b32 v202, v2, v204
	s_mov_b32 s7, 0
	s_waitcnt lgkmcnt(0)
	v_fma_f32 v202, v3, v202, v203
	buffer_load_dword v3, off, s[36:39], 0 offset:236 ; 4-byte Folded Reload
	s_waitcnt vmcnt(0)
	v_mul_f32_e32 v3, v3, v4
	ds_bpermute_b32 v4, v2, v204 offset:4
	s_waitcnt lgkmcnt(0)
	v_fmac_f32_e32 v202, v3, v4
	buffer_load_dword v3, off, s[36:39], 0 offset:232 ; 4-byte Folded Reload
	ds_bpermute_b32 v4, v2, v204 offset:8
	s_waitcnt vmcnt(0)
	v_mul_f32_e32 v3, v3, v5
	v_mul_f32_e32 v5, v214, v28
	s_waitcnt lgkmcnt(0)
	v_fmac_f32_e32 v202, v3, v4
	buffer_load_dword v3, off, s[36:39], 0 offset:244 ; 4-byte Folded Reload
	ds_bpermute_b32 v4, v2, v204 offset:12
	s_waitcnt vmcnt(0)
	v_mul_f32_e32 v3, v3, v6
	ds_bpermute_b32 v6, v2, v204 offset:112
	s_waitcnt lgkmcnt(1)
	v_fmac_f32_e32 v202, v3, v4
	buffer_load_dword v3, off, s[36:39], 0 offset:240 ; 4-byte Folded Reload
	ds_bpermute_b32 v4, v2, v204 offset:16
	s_waitcnt vmcnt(0)
	v_mul_f32_e32 v3, v3, v7
	ds_bpermute_b32 v7, v2, v204 offset:120
	s_waitcnt lgkmcnt(1)
	v_fmac_f32_e32 v202, v3, v4
	buffer_load_dword v3, off, s[36:39], 0 offset:252 ; 4-byte Folded Reload
	ds_bpermute_b32 v4, v2, v204 offset:20
	s_waitcnt vmcnt(0)
	v_mul_f32_e32 v3, v3, v8
	v_mul_f32_e32 v8, v215, v31
	s_waitcnt lgkmcnt(0)
	v_fmac_f32_e32 v202, v3, v4
	buffer_load_dword v3, off, s[36:39], 0 offset:248 ; 4-byte Folded Reload
	ds_bpermute_b32 v4, v2, v204 offset:24
	s_waitcnt vmcnt(0)
	v_mul_f32_e32 v3, v3, v9
	s_waitcnt lgkmcnt(0)
	v_fmac_f32_e32 v202, v3, v4
	buffer_load_dword v3, off, s[36:39], 0 offset:260 ; 4-byte Folded Reload
	ds_bpermute_b32 v4, v2, v204 offset:28
	s_waitcnt vmcnt(0)
	;; [unrolled: 6-line block ×11, first 2 shown]
	v_mul_f32_e32 v3, v3, v19
	s_waitcnt lgkmcnt(0)
	v_fmac_f32_e32 v202, v3, v4
	ds_bpermute_b32 v4, v2, v204 offset:68
	v_mul_f32_e32 v3, v206, v20
	s_waitcnt lgkmcnt(0)
	v_fmac_f32_e32 v202, v3, v4
	ds_bpermute_b32 v4, v2, v204 offset:72
	;; [unrolled: 4-line block ×9, first 2 shown]
	ds_bpermute_b32 v4, v2, v204 offset:104
	s_waitcnt lgkmcnt(1)
	v_fmac_f32_e32 v202, v5, v3
	ds_bpermute_b32 v3, v2, v204 offset:108
	v_mul_f32_e32 v5, v213, v29
	s_waitcnt lgkmcnt(1)
	v_fmac_f32_e32 v202, v5, v4
	ds_bpermute_b32 v4, v2, v204 offset:116
	v_mul_f32_e32 v5, v216, v30
	;; [unrolled: 4-line block ×3, first 2 shown]
	v_fmac_f32_e32 v202, v8, v6
	v_mul_f32_e32 v6, v217, v33
	s_waitcnt lgkmcnt(1)
	v_fmac_f32_e32 v202, v5, v4
	v_mul_f32_e32 v4, v219, v34
	v_fmac_f32_e32 v202, v6, v7
	s_waitcnt lgkmcnt(0)
	v_fmac_f32_e32 v202, v4, v3
.LBB189_213:                            ;   in Loop: Header=BB189_145 Depth=1
	s_and_b32 vcc_lo, exec_lo, s7
	s_cbranch_vccz .LBB189_217
; %bb.214:                              ;   in Loop: Header=BB189_145 Depth=1
	s_load_dword s7, s[20:21], 0x0
	v_mov_b32_e32 v5, 0
	s_waitcnt lgkmcnt(0)
	s_cmp_lt_u32 s6, s7
	s_cselect_b32 s7, 12, 18
	s_add_u32 s24, s20, s7
	s_addc_u32 s25, s21, 0
	s_mov_b32 s7, exec_lo
	global_load_ushort v3, v2, s[24:25]
	s_waitcnt vmcnt(0)
	v_mad_u32_u24 v3, v223, v3, v224
	v_and_b32_e32 v3, 31, v3
	v_add_co_u32 v3, vcc_lo, v161, v3
	v_add_co_ci_u32_e64 v4, null, 0, v162, vcc_lo
	v_cmpx_gt_i64_e64 s[8:9], v[3:4]
	s_cbranch_execz .LBB189_216
; %bb.215:                              ;   in Loop: Header=BB189_145 Depth=1
	v_lshlrev_b64 v[3:4], 2, v[3:4]
	v_add_co_u32 v3, vcc_lo, s16, v3
	v_add_co_ci_u32_e64 v4, null, s17, v4, vcc_lo
	global_load_dword v5, v[3:4], off
.LBB189_216:                            ;   in Loop: Header=BB189_145 Depth=1
	s_or_b32 exec_lo, exec_lo, s7
	v_add_co_u32 v3, vcc_lo, v164, v159
	v_add_co_ci_u32_e64 v4, null, v165, v160, vcc_lo
	global_load_ushort v6, v[3:4], off
	v_add_co_u32 v3, vcc_lo, v166, v159
	v_add_co_ci_u32_e64 v4, null, v167, v160, vcc_lo
	global_load_ushort v3, v[3:4], off
	s_waitcnt vmcnt(1)
	v_lshlrev_b32_e32 v4, 16, v6
	s_waitcnt vmcnt(0)
	v_lshlrev_b32_e32 v3, 16, v3
	v_mul_f32_e32 v3, v4, v3
	ds_bpermute_b32 v4, v2, v5
	s_waitcnt lgkmcnt(0)
	v_fmac_f32_e32 v203, v3, v4
	v_add_co_u32 v3, vcc_lo, v35, v159
	v_add_co_ci_u32_e64 v4, null, v36, v160, vcc_lo
	global_load_ushort v6, v[3:4], off
	v_add_co_u32 v3, vcc_lo, v49, v159
	v_add_co_ci_u32_e64 v4, null, v50, v160, vcc_lo
	global_load_ushort v3, v[3:4], off
	s_waitcnt vmcnt(1)
	v_lshlrev_b32_e32 v4, 16, v6
	s_waitcnt vmcnt(0)
	v_lshlrev_b32_e32 v3, 16, v3
	v_mul_f32_e32 v3, v4, v3
	ds_bpermute_b32 v4, v2, v5 offset:4
	s_waitcnt lgkmcnt(0)
	v_fmac_f32_e32 v203, v3, v4
	v_add_co_u32 v3, vcc_lo, v37, v159
	v_add_co_ci_u32_e64 v4, null, v38, v160, vcc_lo
	global_load_ushort v6, v[3:4], off
	v_add_co_u32 v3, vcc_lo, v53, v159
	v_add_co_ci_u32_e64 v4, null, v54, v160, vcc_lo
	global_load_ushort v3, v[3:4], off
	s_waitcnt vmcnt(1)
	v_lshlrev_b32_e32 v4, 16, v6
	s_waitcnt vmcnt(0)
	v_lshlrev_b32_e32 v3, 16, v3
	v_mul_f32_e32 v3, v4, v3
	ds_bpermute_b32 v4, v2, v5 offset:8
	;; [unrolled: 14-line block ×31, first 2 shown]
	s_waitcnt lgkmcnt(0)
	v_fmac_f32_e32 v203, v3, v4
	v_mov_b32_e32 v202, v203
.LBB189_217:                            ;   in Loop: Header=BB189_145 Depth=1
	s_clause 0x1
	buffer_load_dword v5, off, s[36:39], 0 offset:228
	buffer_load_dword v3, off, s[36:39], 0
	v_add_co_u32 v164, vcc_lo, v164, s12
	v_add_co_ci_u32_e64 v165, null, s13, v165, vcc_lo
	v_add_co_u32 v166, vcc_lo, v166, s12
	v_add_co_ci_u32_e64 v167, null, s13, v167, vcc_lo
	v_add_co_u32 v35, vcc_lo, v35, s12
	v_add_co_ci_u32_e64 v36, null, s13, v36, vcc_lo
	v_add_co_u32 v37, vcc_lo, v37, s12
	v_add_co_ci_u32_e64 v38, null, s13, v38, vcc_lo
	v_add_co_u32 v39, vcc_lo, v39, s12
	v_add_co_ci_u32_e64 v40, null, s13, v40, vcc_lo
	v_add_co_u32 v41, vcc_lo, v41, s12
	v_add_co_ci_u32_e64 v42, null, s13, v42, vcc_lo
	v_add_co_u32 v43, vcc_lo, v43, s12
	v_add_co_ci_u32_e64 v44, null, s13, v44, vcc_lo
	v_add_co_u32 v45, vcc_lo, v45, s12
	v_add_co_ci_u32_e64 v46, null, s13, v46, vcc_lo
	v_add_co_u32 v47, vcc_lo, v47, s12
	v_add_co_ci_u32_e64 v48, null, s13, v48, vcc_lo
	v_add_co_u32 v51, vcc_lo, v51, s12
	v_add_co_ci_u32_e64 v52, null, s13, v52, vcc_lo
	v_add_co_u32 v59, vcc_lo, v59, s12
	v_add_co_ci_u32_e64 v60, null, s13, v60, vcc_lo
	v_add_co_u32 v71, vcc_lo, v71, s12
	v_add_co_ci_u32_e64 v72, null, s13, v72, vcc_lo
	v_add_co_u32 v75, vcc_lo, v75, s12
	v_add_co_ci_u32_e64 v76, null, s13, v76, vcc_lo
	v_add_co_u32 v79, vcc_lo, v79, s12
	v_add_co_ci_u32_e64 v80, null, s13, v80, vcc_lo
	v_add_co_u32 v83, vcc_lo, v83, s12
	v_add_co_ci_u32_e64 v84, null, s13, v84, vcc_lo
	v_add_co_u32 v87, vcc_lo, v87, s12
	v_add_co_ci_u32_e64 v88, null, s13, v88, vcc_lo
	v_add_co_u32 v91, vcc_lo, v91, s12
	v_add_co_ci_u32_e64 v92, null, s13, v92, vcc_lo
	v_add_co_u32 v95, vcc_lo, v95, s12
	v_add_co_ci_u32_e64 v96, null, s13, v96, vcc_lo
	v_add_co_u32 v99, vcc_lo, v99, s12
	v_add_co_ci_u32_e64 v100, null, s13, v100, vcc_lo
	v_add_co_u32 v103, vcc_lo, v103, s12
	v_add_co_ci_u32_e64 v104, null, s13, v104, vcc_lo
	v_add_co_u32 v107, vcc_lo, v107, s12
	v_add_co_ci_u32_e64 v108, null, s13, v108, vcc_lo
	v_add_co_u32 v111, vcc_lo, v111, s12
	v_add_co_ci_u32_e64 v112, null, s13, v112, vcc_lo
	v_add_co_u32 v115, vcc_lo, v115, s12
	v_add_co_ci_u32_e64 v116, null, s13, v116, vcc_lo
	v_add_co_u32 v119, vcc_lo, v119, s12
	v_add_co_ci_u32_e64 v120, null, s13, v120, vcc_lo
	v_add_co_u32 v123, vcc_lo, v123, s12
	v_add_co_ci_u32_e64 v124, null, s13, v124, vcc_lo
	v_add_co_u32 v127, vcc_lo, v127, s12
	v_add_co_ci_u32_e64 v128, null, s13, v128, vcc_lo
	v_add_co_u32 v131, vcc_lo, v131, s12
	v_add_co_ci_u32_e64 v132, null, s13, v132, vcc_lo
	v_add_co_u32 v135, vcc_lo, v135, s12
	v_add_co_ci_u32_e64 v136, null, s13, v136, vcc_lo
	v_add_co_u32 v139, vcc_lo, v139, s12
	v_add_co_ci_u32_e64 v140, null, s13, v140, vcc_lo
	v_add_co_u32 v143, vcc_lo, v143, s12
	v_add_co_ci_u32_e64 v144, null, s13, v144, vcc_lo
	v_add_co_u32 v147, vcc_lo, v147, s12
	v_add_co_ci_u32_e64 v148, null, s13, v148, vcc_lo
	v_add_co_u32 v151, vcc_lo, v151, s12
	v_add_co_ci_u32_e64 v152, null, s13, v152, vcc_lo
	v_add_co_u32 v155, vcc_lo, v155, s12
	v_add_co_ci_u32_e64 v156, null, s13, v156, vcc_lo
	v_add_co_u32 v49, vcc_lo, v49, s12
	v_add_co_ci_u32_e64 v50, null, s13, v50, vcc_lo
	v_add_co_u32 v53, vcc_lo, v53, s12
	v_add_co_ci_u32_e64 v54, null, s13, v54, vcc_lo
	v_add_co_u32 v55, vcc_lo, v55, s12
	v_add_co_ci_u32_e64 v56, null, s13, v56, vcc_lo
	v_add_co_u32 v57, vcc_lo, v57, s12
	v_add_co_ci_u32_e64 v58, null, s13, v58, vcc_lo
	v_add_co_u32 v61, vcc_lo, v61, s12
	v_add_co_ci_u32_e64 v62, null, s13, v62, vcc_lo
	v_add_co_u32 v63, vcc_lo, v63, s12
	v_add_co_ci_u32_e64 v64, null, s13, v64, vcc_lo
	v_add_co_u32 v65, vcc_lo, v65, s12
	v_add_co_ci_u32_e64 v66, null, s13, v66, vcc_lo
	v_add_co_u32 v67, vcc_lo, v67, s12
	v_add_co_ci_u32_e64 v68, null, s13, v68, vcc_lo
	v_add_co_u32 v69, vcc_lo, v69, s12
	v_add_co_ci_u32_e64 v70, null, s13, v70, vcc_lo
	v_add_co_u32 v73, vcc_lo, v73, s12
	v_add_co_ci_u32_e64 v74, null, s13, v74, vcc_lo
	v_add_co_u32 v77, vcc_lo, v77, s12
	v_add_co_ci_u32_e64 v78, null, s13, v78, vcc_lo
	v_add_co_u32 v81, vcc_lo, v81, s12
	v_add_co_ci_u32_e64 v82, null, s13, v82, vcc_lo
	v_add_co_u32 v85, vcc_lo, v85, s12
	v_add_co_ci_u32_e64 v86, null, s13, v86, vcc_lo
	v_add_co_u32 v89, vcc_lo, v89, s12
	v_add_co_ci_u32_e64 v90, null, s13, v90, vcc_lo
	v_add_co_u32 v93, vcc_lo, v93, s12
	v_add_co_ci_u32_e64 v94, null, s13, v94, vcc_lo
	v_add_co_u32 v97, vcc_lo, v97, s12
	v_add_co_ci_u32_e64 v98, null, s13, v98, vcc_lo
	v_add_co_u32 v101, vcc_lo, v101, s12
	v_add_co_ci_u32_e64 v102, null, s13, v102, vcc_lo
	v_add_co_u32 v105, vcc_lo, v105, s12
	v_add_co_ci_u32_e64 v106, null, s13, v106, vcc_lo
	v_add_co_u32 v109, vcc_lo, v109, s12
	v_add_co_ci_u32_e64 v110, null, s13, v110, vcc_lo
	v_add_co_u32 v113, vcc_lo, v113, s12
	v_add_co_ci_u32_e64 v114, null, s13, v114, vcc_lo
	v_add_co_u32 v117, vcc_lo, v117, s12
	v_add_co_ci_u32_e64 v118, null, s13, v118, vcc_lo
	v_add_co_u32 v121, vcc_lo, v121, s12
	v_add_co_ci_u32_e64 v122, null, s13, v122, vcc_lo
	v_add_co_u32 v125, vcc_lo, v125, s12
	v_add_co_ci_u32_e64 v126, null, s13, v126, vcc_lo
	v_add_co_u32 v129, vcc_lo, v129, s12
	v_add_co_ci_u32_e64 v130, null, s13, v130, vcc_lo
	v_add_co_u32 v133, vcc_lo, v133, s12
	v_add_co_ci_u32_e64 v134, null, s13, v134, vcc_lo
	v_add_co_u32 v137, vcc_lo, v137, s12
	v_add_co_ci_u32_e64 v138, null, s13, v138, vcc_lo
	v_add_co_u32 v141, vcc_lo, v141, s12
	v_add_co_ci_u32_e64 v142, null, s13, v142, vcc_lo
	v_add_co_u32 v145, vcc_lo, v145, s12
	v_add_co_ci_u32_e64 v146, null, s13, v146, vcc_lo
	v_add_co_u32 v149, vcc_lo, v149, s12
	v_add_co_ci_u32_e64 v150, null, s13, v150, vcc_lo
	v_add_co_u32 v153, vcc_lo, v153, s12
	v_add_co_ci_u32_e64 v154, null, s13, v154, vcc_lo
	v_add_co_u32 v157, vcc_lo, v157, s12
	v_add_co_ci_u32_e64 v158, null, s13, v158, vcc_lo
	s_add_u32 s22, s22, s1
	s_addc_u32 s23, s23, 0
	s_add_u32 s14, s14, s1
	v_cmp_ge_i64_e64 s7, s[22:23], s[8:9]
	s_addc_u32 s15, 0, s15
	s_waitcnt vmcnt(1)
	v_add_co_u32 v5, vcc_lo, v5, s1
	v_add_co_ci_u32_e64 v201, null, 0, v201, vcc_lo
	s_waitcnt vmcnt(0)
	v_add_co_u32 v3, vcc_lo, v3, s12
	buffer_store_dword v3, off, s[36:39], 0 ; 4-byte Folded Spill
	buffer_load_dword v3, off, s[36:39], 0 offset:4 ; 4-byte Folded Reload
	s_waitcnt vmcnt(0)
	v_add_co_ci_u32_e64 v3, null, s13, v3, vcc_lo
	buffer_store_dword v3, off, s[36:39], 0 offset:4 ; 4-byte Folded Spill
	buffer_load_dword v3, off, s[36:39], 0 offset:8 ; 4-byte Folded Reload
	s_waitcnt vmcnt(0)
	v_add_co_u32 v3, vcc_lo, v3, s12
	buffer_store_dword v3, off, s[36:39], 0 offset:8 ; 4-byte Folded Spill
	buffer_load_dword v3, off, s[36:39], 0 offset:12 ; 4-byte Folded Reload
	s_waitcnt vmcnt(0)
	v_add_co_ci_u32_e64 v3, null, s13, v3, vcc_lo
	buffer_store_dword v3, off, s[36:39], 0 offset:12 ; 4-byte Folded Spill
	buffer_load_dword v3, off, s[36:39], 0 offset:16 ; 4-byte Folded Reload
	s_waitcnt vmcnt(0)
	v_add_co_u32 v3, vcc_lo, v3, s12
	buffer_store_dword v3, off, s[36:39], 0 offset:16 ; 4-byte Folded Spill
	;; [unrolled: 8-line block ×27, first 2 shown]
	buffer_load_dword v3, off, s[36:39], 0 offset:220 ; 4-byte Folded Reload
	s_waitcnt vmcnt(0)
	v_add_co_ci_u32_e64 v3, null, s13, v3, vcc_lo
	buffer_store_dword v3, off, s[36:39], 0 offset:220 ; 4-byte Folded Spill
	buffer_load_dword v3, off, s[36:39], 0 offset:224 ; 4-byte Folded Reload
	s_waitcnt vmcnt(0)
	v_add_co_u32 v3, vcc_lo, v3, s12
	v_add_co_ci_u32_e64 v225, null, s13, v225, vcc_lo
	v_add_co_u32 v226, vcc_lo, v226, s12
	v_add_co_ci_u32_e64 v227, null, s13, v227, vcc_lo
	;; [unrolled: 2-line block ×34, first 2 shown]
	s_and_b32 vcc_lo, exec_lo, s7
	buffer_store_dword v3, off, s[36:39], 0 offset:224 ; 4-byte Folded Spill
	s_cbranch_vccnz .LBB189_219
; %bb.218:                              ;   in Loop: Header=BB189_145 Depth=1
	v_mov_b32_e32 v203, v202
	s_branch .LBB189_145
.LBB189_219:
	s_mov_b32 s7, 0
	s_lshl_b64 s[6:7], s[6:7], 6
	s_waitcnt lgkmcnt(0)
	s_cmp_lg_u64 s[2:3], 0
	v_or_b32_e32 v3, s6, v224
	v_mov_b32_e32 v4, s7
	s_cselect_b32 s1, -1, 0
	v_cmp_gt_i64_e32 vcc_lo, s[10:11], v[3:4]
	s_and_b32 s1, vcc_lo, s1
	s_and_saveexec_b32 s6, s1
	s_cbranch_execz .LBB189_221
; %bb.220:
	s_load_dword s1, s[4:5], 0x4c
	v_mov_b32_e32 v224, 0
	v_cmp_o_f32_e32 vcc_lo, v202, v202
	v_mov_b32_e32 v6, 0x7fc0
	s_waitcnt lgkmcnt(0)
	s_lshr_b32 s1, s1, 16
	v_mad_u64_u32 v[0:1], null, s1, s0, v[223:224]
	v_mul_lo_u32 v2, v1, s10
	v_mul_lo_u32 v5, v0, s11
	v_mad_u64_u32 v[0:1], null, v0, s10, 0
	v_add3_u32 v1, v1, v5, v2
	v_bfe_u32 v5, v202, 16, 1
	v_lshlrev_b64 v[2:3], 1, v[3:4]
	v_lshlrev_b64 v[0:1], 1, v[0:1]
	v_add3_u32 v4, v202, v5, 0x7fff
	v_cndmask_b32_sdwa v4, v6, v4, vcc_lo dst_sel:DWORD dst_unused:UNUSED_PAD src0_sel:DWORD src1_sel:WORD_1
	v_add_co_u32 v0, s0, s2, v0
	v_add_co_ci_u32_e64 v1, null, s3, v1, s0
	v_add_co_u32 v0, vcc_lo, v0, v2
	v_add_co_ci_u32_e64 v1, null, v1, v3, vcc_lo
	global_store_short v[0:1], v4, off
.LBB189_221:
	s_endpgm
	.section	.rodata,"a",@progbits
	.p2align	6, 0x0
	.amdhsa_kernel _ZN2at6native12_GLOBAL__N_135GammaBetaBackwardCUDAKernelTemplateIN3c108BFloat16EfLj64ELj1ELj32ELb1ELb0ELb1EEEvllPKT_S7_PKT0_SA_PS5_SB_
		.amdhsa_group_segment_fixed_size 0
		.amdhsa_private_segment_fixed_size 300
		.amdhsa_kernarg_size 320
		.amdhsa_user_sgpr_count 6
		.amdhsa_user_sgpr_private_segment_buffer 1
		.amdhsa_user_sgpr_dispatch_ptr 0
		.amdhsa_user_sgpr_queue_ptr 0
		.amdhsa_user_sgpr_kernarg_segment_ptr 1
		.amdhsa_user_sgpr_dispatch_id 0
		.amdhsa_user_sgpr_flat_scratch_init 0
		.amdhsa_user_sgpr_private_segment_size 0
		.amdhsa_wavefront_size32 1
		.amdhsa_uses_dynamic_stack 0
		.amdhsa_system_sgpr_private_segment_wavefront_offset 1
		.amdhsa_system_sgpr_workgroup_id_x 1
		.amdhsa_system_sgpr_workgroup_id_y 1
		.amdhsa_system_sgpr_workgroup_id_z 0
		.amdhsa_system_sgpr_workgroup_info 0
		.amdhsa_system_vgpr_workitem_id 1
		.amdhsa_next_free_vgpr 256
		.amdhsa_next_free_sgpr 40
		.amdhsa_reserve_vcc 1
		.amdhsa_reserve_flat_scratch 0
		.amdhsa_float_round_mode_32 0
		.amdhsa_float_round_mode_16_64 0
		.amdhsa_float_denorm_mode_32 3
		.amdhsa_float_denorm_mode_16_64 3
		.amdhsa_dx10_clamp 1
		.amdhsa_ieee_mode 1
		.amdhsa_fp16_overflow 0
		.amdhsa_workgroup_processor_mode 1
		.amdhsa_memory_ordered 1
		.amdhsa_forward_progress 1
		.amdhsa_shared_vgpr_count 0
		.amdhsa_exception_fp_ieee_invalid_op 0
		.amdhsa_exception_fp_denorm_src 0
		.amdhsa_exception_fp_ieee_div_zero 0
		.amdhsa_exception_fp_ieee_overflow 0
		.amdhsa_exception_fp_ieee_underflow 0
		.amdhsa_exception_fp_ieee_inexact 0
		.amdhsa_exception_int_div_zero 0
	.end_amdhsa_kernel
	.section	.text._ZN2at6native12_GLOBAL__N_135GammaBetaBackwardCUDAKernelTemplateIN3c108BFloat16EfLj64ELj1ELj32ELb1ELb0ELb1EEEvllPKT_S7_PKT0_SA_PS5_SB_,"axG",@progbits,_ZN2at6native12_GLOBAL__N_135GammaBetaBackwardCUDAKernelTemplateIN3c108BFloat16EfLj64ELj1ELj32ELb1ELb0ELb1EEEvllPKT_S7_PKT0_SA_PS5_SB_,comdat
.Lfunc_end189:
	.size	_ZN2at6native12_GLOBAL__N_135GammaBetaBackwardCUDAKernelTemplateIN3c108BFloat16EfLj64ELj1ELj32ELb1ELb0ELb1EEEvllPKT_S7_PKT0_SA_PS5_SB_, .Lfunc_end189-_ZN2at6native12_GLOBAL__N_135GammaBetaBackwardCUDAKernelTemplateIN3c108BFloat16EfLj64ELj1ELj32ELb1ELb0ELb1EEEvllPKT_S7_PKT0_SA_PS5_SB_
                                        ; -- End function
	.set _ZN2at6native12_GLOBAL__N_135GammaBetaBackwardCUDAKernelTemplateIN3c108BFloat16EfLj64ELj1ELj32ELb1ELb0ELb1EEEvllPKT_S7_PKT0_SA_PS5_SB_.num_vgpr, 256
	.set _ZN2at6native12_GLOBAL__N_135GammaBetaBackwardCUDAKernelTemplateIN3c108BFloat16EfLj64ELj1ELj32ELb1ELb0ELb1EEEvllPKT_S7_PKT0_SA_PS5_SB_.num_agpr, 0
	.set _ZN2at6native12_GLOBAL__N_135GammaBetaBackwardCUDAKernelTemplateIN3c108BFloat16EfLj64ELj1ELj32ELb1ELb0ELb1EEEvllPKT_S7_PKT0_SA_PS5_SB_.numbered_sgpr, 40
	.set _ZN2at6native12_GLOBAL__N_135GammaBetaBackwardCUDAKernelTemplateIN3c108BFloat16EfLj64ELj1ELj32ELb1ELb0ELb1EEEvllPKT_S7_PKT0_SA_PS5_SB_.num_named_barrier, 0
	.set _ZN2at6native12_GLOBAL__N_135GammaBetaBackwardCUDAKernelTemplateIN3c108BFloat16EfLj64ELj1ELj32ELb1ELb0ELb1EEEvllPKT_S7_PKT0_SA_PS5_SB_.private_seg_size, 300
	.set _ZN2at6native12_GLOBAL__N_135GammaBetaBackwardCUDAKernelTemplateIN3c108BFloat16EfLj64ELj1ELj32ELb1ELb0ELb1EEEvllPKT_S7_PKT0_SA_PS5_SB_.uses_vcc, 1
	.set _ZN2at6native12_GLOBAL__N_135GammaBetaBackwardCUDAKernelTemplateIN3c108BFloat16EfLj64ELj1ELj32ELb1ELb0ELb1EEEvllPKT_S7_PKT0_SA_PS5_SB_.uses_flat_scratch, 0
	.set _ZN2at6native12_GLOBAL__N_135GammaBetaBackwardCUDAKernelTemplateIN3c108BFloat16EfLj64ELj1ELj32ELb1ELb0ELb1EEEvllPKT_S7_PKT0_SA_PS5_SB_.has_dyn_sized_stack, 0
	.set _ZN2at6native12_GLOBAL__N_135GammaBetaBackwardCUDAKernelTemplateIN3c108BFloat16EfLj64ELj1ELj32ELb1ELb0ELb1EEEvllPKT_S7_PKT0_SA_PS5_SB_.has_recursion, 0
	.set _ZN2at6native12_GLOBAL__N_135GammaBetaBackwardCUDAKernelTemplateIN3c108BFloat16EfLj64ELj1ELj32ELb1ELb0ELb1EEEvllPKT_S7_PKT0_SA_PS5_SB_.has_indirect_call, 0
	.section	.AMDGPU.csdata,"",@progbits
; Kernel info:
; codeLenInByte = 29484
; TotalNumSgprs: 42
; NumVgprs: 256
; ScratchSize: 300
; MemoryBound: 0
; FloatMode: 240
; IeeeMode: 1
; LDSByteSize: 0 bytes/workgroup (compile time only)
; SGPRBlocks: 0
; VGPRBlocks: 31
; NumSGPRsForWavesPerEU: 42
; NumVGPRsForWavesPerEU: 256
; Occupancy: 4
; WaveLimiterHint : 0
; COMPUTE_PGM_RSRC2:SCRATCH_EN: 1
; COMPUTE_PGM_RSRC2:USER_SGPR: 6
; COMPUTE_PGM_RSRC2:TRAP_HANDLER: 0
; COMPUTE_PGM_RSRC2:TGID_X_EN: 1
; COMPUTE_PGM_RSRC2:TGID_Y_EN: 1
; COMPUTE_PGM_RSRC2:TGID_Z_EN: 0
; COMPUTE_PGM_RSRC2:TIDIG_COMP_CNT: 1
	.section	.text._ZN2at6native12_GLOBAL__N_135GammaBetaBackwardCUDAKernelTemplateIN3c108BFloat16EfLj64ELj1ELj8ELb1ELb1ELb1EEEvllPKT_S7_PKT0_SA_PS5_SB_,"axG",@progbits,_ZN2at6native12_GLOBAL__N_135GammaBetaBackwardCUDAKernelTemplateIN3c108BFloat16EfLj64ELj1ELj8ELb1ELb1ELb1EEEvllPKT_S7_PKT0_SA_PS5_SB_,comdat
	.globl	_ZN2at6native12_GLOBAL__N_135GammaBetaBackwardCUDAKernelTemplateIN3c108BFloat16EfLj64ELj1ELj8ELb1ELb1ELb1EEEvllPKT_S7_PKT0_SA_PS5_SB_ ; -- Begin function _ZN2at6native12_GLOBAL__N_135GammaBetaBackwardCUDAKernelTemplateIN3c108BFloat16EfLj64ELj1ELj8ELb1ELb1ELb1EEEvllPKT_S7_PKT0_SA_PS5_SB_
	.p2align	8
	.type	_ZN2at6native12_GLOBAL__N_135GammaBetaBackwardCUDAKernelTemplateIN3c108BFloat16EfLj64ELj1ELj8ELb1ELb1ELb1EEEvllPKT_S7_PKT0_SA_PS5_SB_,@function
_ZN2at6native12_GLOBAL__N_135GammaBetaBackwardCUDAKernelTemplateIN3c108BFloat16EfLj64ELj1ELj8ELb1ELb1ELb1EEEvllPKT_S7_PKT0_SA_PS5_SB_: ; @_ZN2at6native12_GLOBAL__N_135GammaBetaBackwardCUDAKernelTemplateIN3c108BFloat16EfLj64ELj1ELj8ELb1ELb1ELb1EEEvllPKT_S7_PKT0_SA_PS5_SB_
; %bb.0:
	s_clause 0x1
	s_load_dwordx4 s[8:11], s[4:5], 0x0
	s_load_dwordx2 s[2:3], s[4:5], 0x30
	s_lshl_b32 s16, s7, 3
	s_mov_b32 s17, 0
	v_mov_b32_e32 v12, 0
	s_waitcnt lgkmcnt(0)
	v_cmp_le_i64_e64 s0, s[8:9], s[16:17]
	s_and_b32 vcc_lo, exec_lo, s0
	s_cbranch_vccnz .LBB190_7
; %bb.1:
	s_clause 0x3
	s_load_dword s0, s[4:5], 0x4c
	s_load_dword s1, s[4:5], 0x44
	s_load_dwordx4 s[12:15], s[4:5], 0x10
	s_load_dwordx2 s[20:21], s[4:5], 0x28
	v_lshlrev_b32_e32 v4, 3, v1
	v_mov_b32_e32 v3, 0
	v_lshl_or_b32 v2, s6, 6, v0
	v_mov_b32_e32 v8, 8
	v_mov_b32_e32 v9, 4
	v_add_co_u32 v4, s18, v4, s16
	v_add_co_ci_u32_e64 v5, null, 0, 0, s18
	v_lshlrev_b64 v[16:17], 1, v[2:3]
	v_mul_lo_u32 v12, s11, v4
	v_mov_b32_e32 v10, 12
	v_mul_lo_u32 v18, s10, v5
	v_mov_b32_e32 v11, 16
	v_mov_b32_e32 v13, 20
	;; [unrolled: 1-line block ×3, first 2 shown]
	s_waitcnt lgkmcnt(0)
	s_and_b32 s0, s0, 0xffff
	s_lshl_b32 s18, s1, 3
	v_mad_u32_u24 v6, v1, s0, v0
	s_mul_i32 s1, s11, s18
	s_mul_hi_u32 s22, s10, s18
	v_mov_b32_e32 v15, 28
	s_mov_b32 s19, s17
	v_and_b32_e32 v22, 31, v6
	v_mad_u64_u32 v[6:7], null, s10, v4, 0
	s_add_i32 s23, s22, s1
	s_mul_i32 s22, s10, s18
	v_add_co_u32 v4, vcc_lo, v4, v22
	v_add_co_ci_u32_e64 v5, null, 0, v5, vcc_lo
	v_add3_u32 v7, v7, v18, v12
	v_cmp_gt_u32_e64 s0, 8, v22
	v_mov_b32_e32 v12, 0
	v_lshlrev_b64 v[18:19], 2, v[4:5]
	s_lshl_b64 s[22:23], s[22:23], 1
	v_lshlrev_b64 v[20:21], 1, v[6:7]
	s_lshl_b64 s[24:25], s[10:11], 1
	v_add_co_u32 v6, vcc_lo, s20, v18
	v_add_co_ci_u32_e64 v7, null, s21, v19, vcc_lo
	v_add_co_u32 v2, vcc_lo, v20, v16
	v_add_co_ci_u32_e64 v16, null, v21, v17, vcc_lo
	s_lshl_b64 s[20:21], s[18:19], 2
	s_branch .LBB190_4
.LBB190_2:                              ;   in Loop: Header=BB190_4 Depth=1
	s_or_b32 exec_lo, exec_lo, s19
.LBB190_3:                              ;   in Loop: Header=BB190_4 Depth=1
	s_or_b32 exec_lo, exec_lo, s1
	v_add_co_u32 v18, vcc_lo, s12, v2
	v_add_co_ci_u32_e64 v19, null, s13, v16, vcc_lo
	v_add_co_u32 v20, vcc_lo, s14, v2
	v_add_co_ci_u32_e64 v21, null, s15, v16, vcc_lo
	global_load_ushort v28, v[18:19], off
	v_add_co_u32 v18, vcc_lo, v18, s24
	v_add_co_ci_u32_e64 v19, null, s25, v19, vcc_lo
	v_add_co_u32 v22, vcc_lo, v20, s24
	v_add_co_ci_u32_e64 v23, null, s25, v21, vcc_lo
	;; [unrolled: 2-line block ×4, first 2 shown]
	global_load_ushort v29, v[20:21], off
	global_load_ushort v30, v[18:19], off
	;; [unrolled: 1-line block ×5, first 2 shown]
	v_add_co_u32 v18, vcc_lo, v24, s24
	v_add_co_ci_u32_e64 v19, null, s25, v25, vcc_lo
	v_add_co_u32 v20, vcc_lo, v26, s24
	v_add_co_ci_u32_e64 v21, null, s25, v27, vcc_lo
	global_load_ushort v34, v[18:19], off
	v_add_co_u32 v18, vcc_lo, v18, s24
	v_add_co_ci_u32_e64 v19, null, s25, v19, vcc_lo
	v_add_co_u32 v22, vcc_lo, v20, s24
	v_add_co_ci_u32_e64 v23, null, s25, v21, vcc_lo
	v_add_co_u32 v24, vcc_lo, v18, s24
	v_add_co_ci_u32_e64 v25, null, s25, v19, vcc_lo
	v_add_co_u32 v26, vcc_lo, v22, s24
	v_add_co_ci_u32_e64 v27, null, s25, v23, vcc_lo
	global_load_ushort v35, v[20:21], off
	global_load_ushort v36, v[18:19], off
	;; [unrolled: 1-line block ×5, first 2 shown]
	v_add_co_u32 v18, vcc_lo, v26, s24
	v_add_co_ci_u32_e64 v19, null, s25, v27, vcc_lo
	v_add_co_u32 v20, vcc_lo, v24, s24
	v_add_co_ci_u32_e64 v21, null, s25, v25, vcc_lo
	global_load_ushort v24, v[18:19], off
	v_add_co_u32 v18, vcc_lo, v18, s24
	v_add_co_ci_u32_e64 v19, null, s25, v19, vcc_lo
	v_add_co_u32 v22, vcc_lo, v20, s24
	v_add_co_ci_u32_e64 v23, null, s25, v21, vcc_lo
	global_load_ushort v20, v[20:21], off
	global_load_ushort v18, v[18:19], off
	;; [unrolled: 1-line block ×3, first 2 shown]
	s_waitcnt vmcnt(16)
	ds_bpermute_b32 v21, v3, v17
	ds_bpermute_b32 v22, v9, v17
	;; [unrolled: 1-line block ×3, first 2 shown]
	s_add_u32 s16, s16, s18
	v_add_co_u32 v6, vcc_lo, v6, s20
	s_addc_u32 s17, s17, 0
	v_add_co_ci_u32_e64 v7, null, s21, v7, vcc_lo
	v_add_co_u32 v4, vcc_lo, v4, s18
	v_cmp_lt_i64_e64 s1, s[16:17], s[8:9]
	v_add_co_ci_u32_e64 v5, null, 0, v5, vcc_lo
	v_add_co_u32 v2, vcc_lo, v2, s22
	v_add_co_ci_u32_e64 v16, null, s23, v16, vcc_lo
	s_and_b32 vcc_lo, exec_lo, s1
	s_waitcnt vmcnt(15)
	v_lshlrev_b32_e32 v25, 16, v28
	ds_bpermute_b32 v28, v10, v17
	s_waitcnt vmcnt(14)
	v_lshlrev_b32_e32 v23, 16, v29
	s_waitcnt vmcnt(12)
	v_lshlrev_b32_e32 v27, 16, v31
	;; [unrolled: 2-line block ×3, first 2 shown]
	v_mul_f32_e32 v23, v25, v23
	v_lshlrev_b32_e32 v25, 16, v30
	s_waitcnt lgkmcnt(3)
	v_fmac_f32_e32 v12, v23, v21
	v_mul_f32_e32 v21, v25, v27
	v_lshlrev_b32_e32 v23, 16, v32
	ds_bpermute_b32 v25, v11, v17
	ds_bpermute_b32 v27, v13, v17
	s_waitcnt lgkmcnt(4)
	v_fmac_f32_e32 v12, v21, v22
	v_mul_f32_e32 v21, v23, v29
	s_waitcnt vmcnt(9)
	v_lshlrev_b32_e32 v22, 16, v34
	ds_bpermute_b32 v23, v14, v17
	ds_bpermute_b32 v17, v15, v17
	s_waitcnt lgkmcnt(5)
	v_fmac_f32_e32 v12, v21, v26
	s_waitcnt vmcnt(8)
	v_lshlrev_b32_e32 v30, 16, v35
	s_waitcnt vmcnt(6)
	v_lshlrev_b32_e32 v29, 16, v37
	;; [unrolled: 2-line block ×3, first 2 shown]
	v_mul_f32_e32 v21, v22, v30
	v_lshlrev_b32_e32 v22, 16, v36
	v_lshlrev_b32_e32 v30, 16, v38
	s_waitcnt lgkmcnt(4)
	v_fmac_f32_e32 v12, v21, v28
	v_mul_f32_e32 v21, v22, v29
	s_waitcnt vmcnt(3)
	v_lshlrev_b32_e32 v22, 16, v24
	s_waitcnt lgkmcnt(3)
	v_fmac_f32_e32 v12, v21, v25
	v_mul_f32_e32 v21, v30, v26
	s_waitcnt vmcnt(2)
	v_lshlrev_b32_e32 v20, 16, v20
	s_waitcnt vmcnt(1)
	v_lshlrev_b32_e32 v18, 16, v18
	;; [unrolled: 2-line block ×3, first 2 shown]
	s_waitcnt lgkmcnt(2)
	v_fmac_f32_e32 v12, v21, v27
	v_mul_f32_e32 v20, v20, v22
	v_mul_f32_e32 v18, v19, v18
	s_waitcnt lgkmcnt(1)
	v_fmac_f32_e32 v12, v20, v23
	s_waitcnt lgkmcnt(0)
	v_fmac_f32_e32 v12, v18, v17
	s_cbranch_vccz .LBB190_7
.LBB190_4:                              ; =>This Inner Loop Header: Depth=1
	v_mov_b32_e32 v17, 0
	s_and_saveexec_b32 s1, s0
	s_cbranch_execz .LBB190_3
; %bb.5:                                ;   in Loop: Header=BB190_4 Depth=1
	v_mov_b32_e32 v17, 0
	s_mov_b32 s19, exec_lo
	v_cmpx_gt_i64_e64 s[8:9], v[4:5]
	s_cbranch_execz .LBB190_2
; %bb.6:                                ;   in Loop: Header=BB190_4 Depth=1
	global_load_dword v17, v[6:7], off
	s_branch .LBB190_2
.LBB190_7:
	s_cmp_eq_u64 s[2:3], 0
	s_cbranch_scc1 .LBB190_9
; %bb.8:
	s_load_dword s0, s[4:5], 0x4c
	v_mov_b32_e32 v2, 0
	v_lshlrev_b32_e32 v0, 1, v0
	s_waitcnt lgkmcnt(0)
	s_lshr_b32 s0, s0, 16
	v_mad_u64_u32 v[1:2], null, s0, s7, v[1:2]
	s_mov_b32 s7, 0
	s_lshl_b64 s[0:1], s[6:7], 7
	v_mul_lo_u32 v3, v2, s10
	v_mul_lo_u32 v4, v1, s11
	v_mad_u64_u32 v[1:2], null, v1, s10, 0
	v_add3_u32 v2, v2, v4, v3
	v_bfe_u32 v3, v12, 16, 1
	v_lshlrev_b64 v[1:2], 1, v[1:2]
	v_add3_u32 v3, v12, v3, 0x7fff
	v_lshrrev_b32_e32 v3, 16, v3
	v_add_co_u32 v1, vcc_lo, s2, v1
	v_add_co_ci_u32_e64 v2, null, s3, v2, vcc_lo
	v_add_co_u32 v1, vcc_lo, v1, s0
	v_add_co_ci_u32_e64 v2, null, s1, v2, vcc_lo
	v_cmp_o_f32_e32 vcc_lo, v12, v12
	v_cndmask_b32_e32 v3, 0x7fc0, v3, vcc_lo
	v_add_co_u32 v0, vcc_lo, v1, v0
	v_add_co_ci_u32_e64 v1, null, 0, v2, vcc_lo
	global_store_short v[0:1], v3, off
.LBB190_9:
	s_endpgm
	.section	.rodata,"a",@progbits
	.p2align	6, 0x0
	.amdhsa_kernel _ZN2at6native12_GLOBAL__N_135GammaBetaBackwardCUDAKernelTemplateIN3c108BFloat16EfLj64ELj1ELj8ELb1ELb1ELb1EEEvllPKT_S7_PKT0_SA_PS5_SB_
		.amdhsa_group_segment_fixed_size 0
		.amdhsa_private_segment_fixed_size 0
		.amdhsa_kernarg_size 320
		.amdhsa_user_sgpr_count 6
		.amdhsa_user_sgpr_private_segment_buffer 1
		.amdhsa_user_sgpr_dispatch_ptr 0
		.amdhsa_user_sgpr_queue_ptr 0
		.amdhsa_user_sgpr_kernarg_segment_ptr 1
		.amdhsa_user_sgpr_dispatch_id 0
		.amdhsa_user_sgpr_flat_scratch_init 0
		.amdhsa_user_sgpr_private_segment_size 0
		.amdhsa_wavefront_size32 1
		.amdhsa_uses_dynamic_stack 0
		.amdhsa_system_sgpr_private_segment_wavefront_offset 0
		.amdhsa_system_sgpr_workgroup_id_x 1
		.amdhsa_system_sgpr_workgroup_id_y 1
		.amdhsa_system_sgpr_workgroup_id_z 0
		.amdhsa_system_sgpr_workgroup_info 0
		.amdhsa_system_vgpr_workitem_id 1
		.amdhsa_next_free_vgpr 40
		.amdhsa_next_free_sgpr 26
		.amdhsa_reserve_vcc 1
		.amdhsa_reserve_flat_scratch 0
		.amdhsa_float_round_mode_32 0
		.amdhsa_float_round_mode_16_64 0
		.amdhsa_float_denorm_mode_32 3
		.amdhsa_float_denorm_mode_16_64 3
		.amdhsa_dx10_clamp 1
		.amdhsa_ieee_mode 1
		.amdhsa_fp16_overflow 0
		.amdhsa_workgroup_processor_mode 1
		.amdhsa_memory_ordered 1
		.amdhsa_forward_progress 1
		.amdhsa_shared_vgpr_count 0
		.amdhsa_exception_fp_ieee_invalid_op 0
		.amdhsa_exception_fp_denorm_src 0
		.amdhsa_exception_fp_ieee_div_zero 0
		.amdhsa_exception_fp_ieee_overflow 0
		.amdhsa_exception_fp_ieee_underflow 0
		.amdhsa_exception_fp_ieee_inexact 0
		.amdhsa_exception_int_div_zero 0
	.end_amdhsa_kernel
	.section	.text._ZN2at6native12_GLOBAL__N_135GammaBetaBackwardCUDAKernelTemplateIN3c108BFloat16EfLj64ELj1ELj8ELb1ELb1ELb1EEEvllPKT_S7_PKT0_SA_PS5_SB_,"axG",@progbits,_ZN2at6native12_GLOBAL__N_135GammaBetaBackwardCUDAKernelTemplateIN3c108BFloat16EfLj64ELj1ELj8ELb1ELb1ELb1EEEvllPKT_S7_PKT0_SA_PS5_SB_,comdat
.Lfunc_end190:
	.size	_ZN2at6native12_GLOBAL__N_135GammaBetaBackwardCUDAKernelTemplateIN3c108BFloat16EfLj64ELj1ELj8ELb1ELb1ELb1EEEvllPKT_S7_PKT0_SA_PS5_SB_, .Lfunc_end190-_ZN2at6native12_GLOBAL__N_135GammaBetaBackwardCUDAKernelTemplateIN3c108BFloat16EfLj64ELj1ELj8ELb1ELb1ELb1EEEvllPKT_S7_PKT0_SA_PS5_SB_
                                        ; -- End function
	.set _ZN2at6native12_GLOBAL__N_135GammaBetaBackwardCUDAKernelTemplateIN3c108BFloat16EfLj64ELj1ELj8ELb1ELb1ELb1EEEvllPKT_S7_PKT0_SA_PS5_SB_.num_vgpr, 40
	.set _ZN2at6native12_GLOBAL__N_135GammaBetaBackwardCUDAKernelTemplateIN3c108BFloat16EfLj64ELj1ELj8ELb1ELb1ELb1EEEvllPKT_S7_PKT0_SA_PS5_SB_.num_agpr, 0
	.set _ZN2at6native12_GLOBAL__N_135GammaBetaBackwardCUDAKernelTemplateIN3c108BFloat16EfLj64ELj1ELj8ELb1ELb1ELb1EEEvllPKT_S7_PKT0_SA_PS5_SB_.numbered_sgpr, 26
	.set _ZN2at6native12_GLOBAL__N_135GammaBetaBackwardCUDAKernelTemplateIN3c108BFloat16EfLj64ELj1ELj8ELb1ELb1ELb1EEEvllPKT_S7_PKT0_SA_PS5_SB_.num_named_barrier, 0
	.set _ZN2at6native12_GLOBAL__N_135GammaBetaBackwardCUDAKernelTemplateIN3c108BFloat16EfLj64ELj1ELj8ELb1ELb1ELb1EEEvllPKT_S7_PKT0_SA_PS5_SB_.private_seg_size, 0
	.set _ZN2at6native12_GLOBAL__N_135GammaBetaBackwardCUDAKernelTemplateIN3c108BFloat16EfLj64ELj1ELj8ELb1ELb1ELb1EEEvllPKT_S7_PKT0_SA_PS5_SB_.uses_vcc, 1
	.set _ZN2at6native12_GLOBAL__N_135GammaBetaBackwardCUDAKernelTemplateIN3c108BFloat16EfLj64ELj1ELj8ELb1ELb1ELb1EEEvllPKT_S7_PKT0_SA_PS5_SB_.uses_flat_scratch, 0
	.set _ZN2at6native12_GLOBAL__N_135GammaBetaBackwardCUDAKernelTemplateIN3c108BFloat16EfLj64ELj1ELj8ELb1ELb1ELb1EEEvllPKT_S7_PKT0_SA_PS5_SB_.has_dyn_sized_stack, 0
	.set _ZN2at6native12_GLOBAL__N_135GammaBetaBackwardCUDAKernelTemplateIN3c108BFloat16EfLj64ELj1ELj8ELb1ELb1ELb1EEEvllPKT_S7_PKT0_SA_PS5_SB_.has_recursion, 0
	.set _ZN2at6native12_GLOBAL__N_135GammaBetaBackwardCUDAKernelTemplateIN3c108BFloat16EfLj64ELj1ELj8ELb1ELb1ELb1EEEvllPKT_S7_PKT0_SA_PS5_SB_.has_indirect_call, 0
	.section	.AMDGPU.csdata,"",@progbits
; Kernel info:
; codeLenInByte = 1296
; TotalNumSgprs: 28
; NumVgprs: 40
; ScratchSize: 0
; MemoryBound: 0
; FloatMode: 240
; IeeeMode: 1
; LDSByteSize: 0 bytes/workgroup (compile time only)
; SGPRBlocks: 0
; VGPRBlocks: 4
; NumSGPRsForWavesPerEU: 28
; NumVGPRsForWavesPerEU: 40
; Occupancy: 16
; WaveLimiterHint : 0
; COMPUTE_PGM_RSRC2:SCRATCH_EN: 0
; COMPUTE_PGM_RSRC2:USER_SGPR: 6
; COMPUTE_PGM_RSRC2:TRAP_HANDLER: 0
; COMPUTE_PGM_RSRC2:TGID_X_EN: 1
; COMPUTE_PGM_RSRC2:TGID_Y_EN: 1
; COMPUTE_PGM_RSRC2:TGID_Z_EN: 0
; COMPUTE_PGM_RSRC2:TIDIG_COMP_CNT: 1
	.section	.text._ZN2at6native12_GLOBAL__N_135GammaBetaBackwardCUDAKernelTemplateIN3c108BFloat16EfLj64ELj1ELj8ELb1ELb0ELb1EEEvllPKT_S7_PKT0_SA_PS5_SB_,"axG",@progbits,_ZN2at6native12_GLOBAL__N_135GammaBetaBackwardCUDAKernelTemplateIN3c108BFloat16EfLj64ELj1ELj8ELb1ELb0ELb1EEEvllPKT_S7_PKT0_SA_PS5_SB_,comdat
	.globl	_ZN2at6native12_GLOBAL__N_135GammaBetaBackwardCUDAKernelTemplateIN3c108BFloat16EfLj64ELj1ELj8ELb1ELb0ELb1EEEvllPKT_S7_PKT0_SA_PS5_SB_ ; -- Begin function _ZN2at6native12_GLOBAL__N_135GammaBetaBackwardCUDAKernelTemplateIN3c108BFloat16EfLj64ELj1ELj8ELb1ELb0ELb1EEEvllPKT_S7_PKT0_SA_PS5_SB_
	.p2align	8
	.type	_ZN2at6native12_GLOBAL__N_135GammaBetaBackwardCUDAKernelTemplateIN3c108BFloat16EfLj64ELj1ELj8ELb1ELb0ELb1EEEvllPKT_S7_PKT0_SA_PS5_SB_,@function
_ZN2at6native12_GLOBAL__N_135GammaBetaBackwardCUDAKernelTemplateIN3c108BFloat16EfLj64ELj1ELj8ELb1ELb0ELb1EEEvllPKT_S7_PKT0_SA_PS5_SB_: ; @_ZN2at6native12_GLOBAL__N_135GammaBetaBackwardCUDAKernelTemplateIN3c108BFloat16EfLj64ELj1ELj8ELb1ELb0ELb1EEEvllPKT_S7_PKT0_SA_PS5_SB_
; %bb.0:
	s_clause 0x1
	s_load_dwordx8 s[8:15], s[4:5], 0x0
	s_load_dwordx2 s[16:17], s[4:5], 0x28
	s_mov_b32 s0, s7
	s_lshl_b32 s7, s6, 6
	s_mov_b32 s19, 0
	s_or_b32 s18, s7, 63
	s_waitcnt lgkmcnt(0)
	v_cmp_le_i64_e64 s1, s[10:11], s[18:19]
	s_lshl_b32 s18, s0, 3
	v_cmp_gt_i64_e64 s26, s[8:9], s[18:19]
	s_and_b32 vcc_lo, exec_lo, s1
	v_cndmask_b32_e64 v2, 0, 1, s26
	v_cmp_ne_u32_e64 s1, 1, v2
	s_cbranch_vccz .LBB191_49
; %bb.1:
	v_mov_b32_e32 v86, 0
	s_and_b32 vcc_lo, exec_lo, s1
	s_cbranch_vccnz .LBB191_50
; %bb.2:
	v_lshlrev_b32_e32 v23, 3, v1
	v_mov_b32_e32 v2, 0
	v_add_nc_u32_e32 v3, s7, v0
	s_load_dword s2, s[4:5], 0x44
	s_add_u32 s20, s4, 64
	v_add_co_u32 v11, s1, v23, s18
	v_add_co_ci_u32_e64 v12, null, 0, 0, s1
	v_mov_b32_e32 v4, v2
	v_mul_lo_u32 v7, s11, v11
	v_mad_u64_u32 v[5:6], null, s10, v11, 0
	v_mul_lo_u32 v8, s10, v12
	v_cmp_gt_i64_e64 s1, s[10:11], v[3:4]
	v_lshlrev_b64 v[19:20], 1, v[3:4]
	s_addc_u32 s21, s5, 0
	v_mov_b32_e32 v24, v2
	v_mov_b32_e32 v57, 0
	s_mov_b64 s[24:25], s[18:19]
	v_add3_u32 v6, v6, v8, v7
	v_add_co_u32 v7, vcc_lo, v11, 7
	v_add_co_ci_u32_e64 v8, null, 0, v12, vcc_lo
	v_add_co_u32 v9, vcc_lo, v11, 6
	v_add_co_ci_u32_e64 v10, null, 0, v12, vcc_lo
	v_lshlrev_b64 v[3:4], 1, v[5:6]
	v_mul_lo_u32 v13, s11, v7
	v_mul_lo_u32 v14, s10, v8
	v_mad_u64_u32 v[7:8], null, s10, v7, 0
	v_mul_lo_u32 v15, s11, v9
	v_mul_lo_u32 v16, s10, v10
	v_mad_u64_u32 v[9:10], null, s10, v9, 0
	v_add_co_u32 v25, vcc_lo, s12, v3
	v_add_co_ci_u32_e64 v26, null, s13, v4, vcc_lo
	v_add_co_u32 v27, vcc_lo, s14, v3
	v_add3_u32 v8, v8, v14, v13
	v_add_co_ci_u32_e64 v28, null, s15, v4, vcc_lo
	v_add_co_u32 v13, vcc_lo, v11, 5
	v_add3_u32 v10, v10, v16, v15
	v_add_co_ci_u32_e64 v14, null, 0, v12, vcc_lo
	v_lshlrev_b64 v[3:4], 1, v[7:8]
	v_mul_lo_u32 v15, s11, v13
	v_lshlrev_b64 v[7:8], 1, v[9:10]
	v_mul_lo_u32 v14, s10, v14
	v_mad_u64_u32 v[9:10], null, s10, v13, 0
	v_add_co_u32 v29, vcc_lo, s12, v3
	v_add_co_ci_u32_e64 v30, null, s13, v4, vcc_lo
	v_add_co_u32 v31, vcc_lo, s14, v3
	s_waitcnt lgkmcnt(0)
	s_lshl_b32 s27, s2, 3
	v_add_co_ci_u32_e64 v32, null, s15, v4, vcc_lo
	v_add_co_u32 v33, vcc_lo, s12, v7
	v_add3_u32 v10, v10, v14, v15
	s_mul_i32 s2, s11, s27
	s_mul_hi_u32 s3, s10, s27
	v_add_co_ci_u32_e64 v34, null, s13, v8, vcc_lo
	v_add_co_u32 v13, vcc_lo, v11, 4
	s_add_i32 s23, s3, s2
	v_add_co_u32 v35, s2, s14, v7
	v_add_co_ci_u32_e64 v7, null, 0, v12, vcc_lo
	v_lshlrev_b64 v[3:4], 1, v[9:10]
	v_add_co_u32 v9, vcc_lo, v11, 3
	v_add_co_ci_u32_e64 v10, null, 0, v12, vcc_lo
	v_add_co_ci_u32_e64 v36, null, s15, v8, s2
	v_mul_lo_u32 v14, s11, v13
	v_mul_lo_u32 v15, s10, v7
	v_mad_u64_u32 v[7:8], null, s10, v13, 0
	v_mul_lo_u32 v13, s11, v9
	v_mul_lo_u32 v16, s10, v10
	v_mad_u64_u32 v[9:10], null, s10, v9, 0
	v_add_co_u32 v37, vcc_lo, s12, v3
	v_add_co_ci_u32_e64 v38, null, s13, v4, vcc_lo
	v_add3_u32 v8, v8, v15, v14
	v_add_co_u32 v39, vcc_lo, s14, v3
	v_add_co_ci_u32_e64 v40, null, s15, v4, vcc_lo
	v_add_co_u32 v11, vcc_lo, v11, 2
	v_add3_u32 v10, v10, v16, v13
	v_add_co_ci_u32_e64 v12, null, 0, v12, vcc_lo
	v_lshlrev_b64 v[3:4], 1, v[7:8]
	v_mul_lo_u32 v13, s11, v11
	v_lshlrev_b64 v[7:8], 1, v[9:10]
	v_mul_lo_u32 v12, s10, v12
	v_mad_u64_u32 v[9:10], null, s10, v11, 0
	v_add_co_u32 v41, vcc_lo, s12, v3
	v_add_co_ci_u32_e64 v42, null, s13, v4, vcc_lo
	v_add_co_u32 v43, vcc_lo, s14, v3
	v_add_co_ci_u32_e64 v44, null, s15, v4, vcc_lo
	;; [unrolled: 2-line block ×3, first 2 shown]
	v_add3_u32 v10, v10, v12, v13
	v_add_co_u32 v47, vcc_lo, s14, v7
	v_add_co_ci_u32_e64 v48, null, s15, v8, vcc_lo
	v_add_co_u32 v5, vcc_lo, v5, s10
	v_add_co_ci_u32_e64 v6, null, s11, v6, vcc_lo
	v_lshlrev_b64 v[3:4], 1, v[9:10]
	s_mul_i32 s22, s10, s27
	v_lshlrev_b64 v[5:6], 1, v[5:6]
	s_lshl_b64 s[2:3], s[22:23], 1
	s_mov_b64 s[22:23], 7
	v_add_co_u32 v49, vcc_lo, s12, v3
	v_add_co_ci_u32_e64 v50, null, s13, v4, vcc_lo
	v_add_co_u32 v51, vcc_lo, s14, v3
	v_add_co_ci_u32_e64 v52, null, s15, v4, vcc_lo
	;; [unrolled: 2-line block ×4, first 2 shown]
.LBB191_3:                              ; =>This Inner Loop Header: Depth=1
	s_add_u32 s28, s18, s22
	s_addc_u32 s29, 0, s23
	v_add_co_u32 v21, vcc_lo, s18, v23
	v_cmp_ge_i64_e64 s28, s[28:29], s[8:9]
	v_add_co_ci_u32_e64 v22, null, 0, v24, vcc_lo
                                        ; implicit-def: $vgpr3_vgpr4_vgpr5_vgpr6_vgpr7_vgpr8_vgpr9_vgpr10
                                        ; implicit-def: $vgpr86
                                        ; implicit-def: $vgpr11_vgpr12_vgpr13_vgpr14_vgpr15_vgpr16_vgpr17_vgpr18
                                        ; implicit-def: $vgpr3
	s_and_b32 vcc_lo, exec_lo, s28
	s_mov_b32 s28, -1
	s_cbranch_vccz .LBB191_25
; %bb.4:                                ;   in Loop: Header=BB191_3 Depth=1
	s_load_dword s28, s[20:21], 0xc
	v_mov_b32_e32 v58, 0
	s_waitcnt lgkmcnt(0)
	s_and_b32 s28, s28, 0xffff
	v_mad_u32_u24 v3, v1, s28, v0
	s_mov_b32 s28, exec_lo
	v_and_b32_e32 v3, 31, v3
	v_cmpx_gt_u32_e32 8, v3
	s_cbranch_execz .LBB191_8
; %bb.5:                                ;   in Loop: Header=BB191_3 Depth=1
	v_add_co_u32 v3, vcc_lo, v21, v3
	v_add_co_ci_u32_e64 v4, null, 0, v22, vcc_lo
	v_mov_b32_e32 v58, 0
	s_mov_b32 s29, exec_lo
	v_cmpx_gt_i64_e64 s[8:9], v[3:4]
	s_cbranch_execz .LBB191_7
; %bb.6:                                ;   in Loop: Header=BB191_3 Depth=1
	v_lshlrev_b64 v[3:4], 2, v[3:4]
	v_add_co_u32 v3, vcc_lo, s16, v3
	v_add_co_ci_u32_e64 v4, null, s17, v4, vcc_lo
	global_load_dword v58, v[3:4], off
.LBB191_7:                              ;   in Loop: Header=BB191_3 Depth=1
	s_or_b32 exec_lo, exec_lo, s29
.LBB191_8:                              ;   in Loop: Header=BB191_3 Depth=1
	s_or_b32 exec_lo, exec_lo, s28
	v_mov_b32_e32 v9, v2
	v_mov_b32_e32 v3, v2
	;; [unrolled: 1-line block ×7, first 2 shown]
	v_cmp_gt_i64_e32 vcc_lo, s[8:9], v[21:22]
	v_mov_b32_e32 v18, v9
	v_mov_b32_e32 v15, v6
	;; [unrolled: 1-line block ×16, first 2 shown]
	s_and_b32 s29, s1, vcc_lo
	s_and_saveexec_b32 s28, s29
	s_cbranch_execz .LBB191_10
; %bb.9:                                ;   in Loop: Header=BB191_3 Depth=1
	v_add_co_u32 v3, vcc_lo, v25, v19
	v_add_co_ci_u32_e64 v4, null, v26, v20, vcc_lo
	v_add_co_u32 v5, vcc_lo, v27, v19
	v_add_co_ci_u32_e64 v6, null, v28, v20, vcc_lo
	global_load_ushort v3, v[3:4], off
	global_load_ushort v11, v[5:6], off
	v_mov_b32_e32 v4, v2
	v_mov_b32_e32 v5, v2
	;; [unrolled: 1-line block ×14, first 2 shown]
	s_waitcnt vmcnt(1)
	v_lshlrev_b32_e32 v3, 16, v3
	s_waitcnt vmcnt(0)
	v_lshlrev_b32_e32 v11, 16, v11
.LBB191_10:                             ;   in Loop: Header=BB191_3 Depth=1
	s_or_b32 exec_lo, exec_lo, s28
	v_add_co_u32 v59, vcc_lo, v21, 1
	v_add_co_ci_u32_e64 v60, null, 0, v22, vcc_lo
	v_cmp_gt_i64_e32 vcc_lo, s[8:9], v[59:60]
	s_and_b32 s29, s1, vcc_lo
	s_and_saveexec_b32 s28, s29
	s_cbranch_execz .LBB191_12
; %bb.11:                               ;   in Loop: Header=BB191_3 Depth=1
	v_add_co_u32 v59, vcc_lo, v53, v19
	v_add_co_ci_u32_e64 v60, null, v54, v20, vcc_lo
	v_add_co_u32 v61, vcc_lo, v55, v19
	v_add_co_ci_u32_e64 v62, null, v56, v20, vcc_lo
	global_load_ushort v4, v[59:60], off
	global_load_ushort v12, v[61:62], off
	s_waitcnt vmcnt(1)
	v_lshlrev_b32_e32 v4, 16, v4
	s_waitcnt vmcnt(0)
	v_lshlrev_b32_e32 v12, 16, v12
.LBB191_12:                             ;   in Loop: Header=BB191_3 Depth=1
	s_or_b32 exec_lo, exec_lo, s28
	v_add_co_u32 v59, vcc_lo, v21, 2
	v_add_co_ci_u32_e64 v60, null, 0, v22, vcc_lo
	v_cmp_gt_i64_e32 vcc_lo, s[8:9], v[59:60]
	s_and_b32 s29, s1, vcc_lo
	s_and_saveexec_b32 s28, s29
	s_cbranch_execz .LBB191_14
; %bb.13:                               ;   in Loop: Header=BB191_3 Depth=1
	v_add_co_u32 v59, vcc_lo, v49, v19
	v_add_co_ci_u32_e64 v60, null, v50, v20, vcc_lo
	v_add_co_u32 v61, vcc_lo, v51, v19
	v_add_co_ci_u32_e64 v62, null, v52, v20, vcc_lo
	global_load_ushort v5, v[59:60], off
	global_load_ushort v13, v[61:62], off
	s_waitcnt vmcnt(1)
	v_lshlrev_b32_e32 v5, 16, v5
	s_waitcnt vmcnt(0)
	v_lshlrev_b32_e32 v13, 16, v13
.LBB191_14:                             ;   in Loop: Header=BB191_3 Depth=1
	;; [unrolled: 19-line block ×7, first 2 shown]
	s_or_b32 exec_lo, exec_lo, s28
	s_waitcnt vmcnt(0)
	ds_bpermute_b32 v59, v2, v58
	ds_bpermute_b32 v60, v2, v58 offset:4
	ds_bpermute_b32 v61, v2, v58 offset:8
	v_mul_f32_e32 v3, v11, v3
	ds_bpermute_b32 v11, v2, v58 offset:12
	v_mul_f32_e32 v4, v12, v4
	;; [unrolled: 2-line block ×3, first 2 shown]
	s_mov_b32 s28, 0
	s_waitcnt lgkmcnt(4)
	v_fma_f32 v86, v3, v59, v57
	v_mul_f32_e32 v3, v13, v5
	ds_bpermute_b32 v5, v2, v58 offset:20
	s_waitcnt lgkmcnt(4)
	v_fmac_f32_e32 v86, v4, v60
	v_mul_f32_e32 v4, v14, v6
	ds_bpermute_b32 v6, v2, v58 offset:24
	s_waitcnt lgkmcnt(4)
	v_fmac_f32_e32 v86, v3, v61
	ds_bpermute_b32 v3, v2, v58 offset:28
	s_waitcnt lgkmcnt(4)
	v_fmac_f32_e32 v86, v4, v11
	v_mul_f32_e32 v4, v16, v8
	s_waitcnt lgkmcnt(3)
	v_fmac_f32_e32 v86, v7, v12
	s_waitcnt lgkmcnt(2)
	v_fmac_f32_e32 v86, v4, v5
	v_mul_f32_e32 v4, v17, v9
	s_waitcnt lgkmcnt(1)
	v_fmac_f32_e32 v86, v4, v6
.LBB191_25:                             ;   in Loop: Header=BB191_3 Depth=1
	s_and_b32 vcc_lo, exec_lo, s28
	s_cbranch_vccz .LBB191_40
; %bb.26:                               ;   in Loop: Header=BB191_3 Depth=1
	s_load_dword s28, s[20:21], 0x0
	v_mov_b32_e32 v58, 0
	s_waitcnt lgkmcnt(0)
	s_cmp_lt_u32 s6, s28
	s_cselect_b32 s28, 12, 18
	s_add_u32 s28, s20, s28
	s_addc_u32 s29, s21, 0
	global_load_ushort v3, v2, s[28:29]
	s_mov_b32 s28, exec_lo
	s_waitcnt vmcnt(0)
	v_mad_u32_u24 v3, v1, v3, v0
	v_and_b32_e32 v3, 31, v3
	v_cmpx_gt_u32_e32 8, v3
	s_cbranch_execz .LBB191_30
; %bb.27:                               ;   in Loop: Header=BB191_3 Depth=1
	v_add_co_u32 v3, vcc_lo, v21, v3
	v_add_co_ci_u32_e64 v4, null, 0, v22, vcc_lo
	v_mov_b32_e32 v58, 0
	s_mov_b32 s29, exec_lo
	v_cmpx_gt_i64_e64 s[8:9], v[3:4]
	s_cbranch_execz .LBB191_29
; %bb.28:                               ;   in Loop: Header=BB191_3 Depth=1
	v_lshlrev_b64 v[3:4], 2, v[3:4]
	v_add_co_u32 v3, vcc_lo, s16, v3
	v_add_co_ci_u32_e64 v4, null, s17, v4, vcc_lo
	global_load_dword v58, v[3:4], off
.LBB191_29:                             ;   in Loop: Header=BB191_3 Depth=1
	s_or_b32 exec_lo, exec_lo, s29
.LBB191_30:                             ;   in Loop: Header=BB191_3 Depth=1
	s_or_b32 exec_lo, exec_lo, s28
	v_mov_b32_e32 v9, v2
	v_mov_b32_e32 v3, v2
	;; [unrolled: 1-line block ×23, first 2 shown]
	s_and_saveexec_b32 s28, s1
	s_cbranch_execnz .LBB191_42
; %bb.31:                               ;   in Loop: Header=BB191_3 Depth=1
	s_or_b32 exec_lo, exec_lo, s28
	s_and_saveexec_b32 s28, s1
	s_cbranch_execnz .LBB191_43
.LBB191_32:                             ;   in Loop: Header=BB191_3 Depth=1
	s_or_b32 exec_lo, exec_lo, s28
	s_and_saveexec_b32 s28, s1
	s_cbranch_execnz .LBB191_44
.LBB191_33:                             ;   in Loop: Header=BB191_3 Depth=1
	s_or_b32 exec_lo, exec_lo, s28
	s_and_saveexec_b32 s28, s1
	s_cbranch_execnz .LBB191_45
.LBB191_34:                             ;   in Loop: Header=BB191_3 Depth=1
	s_or_b32 exec_lo, exec_lo, s28
	s_and_saveexec_b32 s28, s1
	s_cbranch_execnz .LBB191_46
.LBB191_35:                             ;   in Loop: Header=BB191_3 Depth=1
	s_or_b32 exec_lo, exec_lo, s28
	s_and_saveexec_b32 s28, s1
	s_cbranch_execnz .LBB191_47
.LBB191_36:                             ;   in Loop: Header=BB191_3 Depth=1
	s_or_b32 exec_lo, exec_lo, s28
	s_and_saveexec_b32 s28, s1
	s_cbranch_execnz .LBB191_48
.LBB191_37:                             ;   in Loop: Header=BB191_3 Depth=1
	s_or_b32 exec_lo, exec_lo, s28
	s_and_saveexec_b32 s28, s1
	s_cbranch_execz .LBB191_39
.LBB191_38:                             ;   in Loop: Header=BB191_3 Depth=1
	v_add_co_u32 v21, vcc_lo, v29, v19
	v_add_co_ci_u32_e64 v22, null, v30, v20, vcc_lo
	v_add_co_u32 v59, vcc_lo, v31, v19
	v_add_co_ci_u32_e64 v60, null, v32, v20, vcc_lo
	global_load_ushort v10, v[21:22], off
	global_load_ushort v18, v[59:60], off
	s_waitcnt vmcnt(1)
	v_lshlrev_b32_e32 v10, 16, v10
	s_waitcnt vmcnt(0)
	v_lshlrev_b32_e32 v18, 16, v18
.LBB191_39:                             ;   in Loop: Header=BB191_3 Depth=1
	s_or_b32 exec_lo, exec_lo, s28
	s_waitcnt vmcnt(0)
	ds_bpermute_b32 v21, v2, v58
	ds_bpermute_b32 v22, v2, v58 offset:4
	ds_bpermute_b32 v59, v2, v58 offset:8
	v_mul_f32_e32 v3, v11, v3
	ds_bpermute_b32 v11, v2, v58 offset:12
	v_mul_f32_e32 v4, v12, v4
	ds_bpermute_b32 v12, v2, v58 offset:16
	s_waitcnt lgkmcnt(4)
	v_fmac_f32_e32 v57, v3, v21
	v_mul_f32_e32 v3, v13, v5
	ds_bpermute_b32 v5, v2, v58 offset:20
	s_waitcnt lgkmcnt(4)
	v_fmac_f32_e32 v57, v4, v22
	;; [unrolled: 4-line block ×3, first 2 shown]
	v_mul_f32_e32 v3, v15, v7
	s_waitcnt lgkmcnt(3)
	v_fmac_f32_e32 v57, v4, v11
	v_mul_f32_e32 v4, v16, v8
	s_waitcnt lgkmcnt(2)
	v_fmac_f32_e32 v57, v3, v12
	ds_bpermute_b32 v3, v2, v58 offset:28
	s_waitcnt lgkmcnt(2)
	v_fmac_f32_e32 v57, v4, v5
	v_mul_f32_e32 v4, v17, v9
	s_waitcnt lgkmcnt(1)
	v_fmac_f32_e32 v57, v4, v6
	v_mov_b32_e32 v86, v57
.LBB191_40:                             ;   in Loop: Header=BB191_3 Depth=1
	v_add_co_u32 v25, vcc_lo, v25, s2
	v_add_co_ci_u32_e64 v26, null, s3, v26, vcc_lo
	v_add_co_u32 v27, vcc_lo, v27, s2
	v_add_co_ci_u32_e64 v28, null, s3, v28, vcc_lo
	;; [unrolled: 2-line block ×13, first 2 shown]
	v_add_co_u32 v51, vcc_lo, v51, s2
	s_add_u32 s24, s24, s27
	v_add_co_ci_u32_e64 v52, null, s3, v52, vcc_lo
	v_add_co_u32 v53, vcc_lo, v53, s2
	v_mul_f32_e32 v4, v10, v18
	s_addc_u32 s25, s25, 0
	v_add_co_ci_u32_e64 v54, null, s3, v54, vcc_lo
	v_add_co_u32 v55, vcc_lo, v55, s2
	v_cmp_lt_i64_e64 s28, s[24:25], s[8:9]
	v_add_co_ci_u32_e64 v56, null, s3, v56, vcc_lo
	v_add_co_u32 v23, vcc_lo, v23, s27
	s_waitcnt lgkmcnt(0)
	v_fmac_f32_e32 v86, v4, v3
	v_add_co_ci_u32_e64 v24, null, 0, v24, vcc_lo
	s_add_u32 s22, s22, s27
	s_addc_u32 s23, 0, s23
	s_and_b32 vcc_lo, exec_lo, s28
	s_cbranch_vccz .LBB191_50
; %bb.41:                               ;   in Loop: Header=BB191_3 Depth=1
	v_mov_b32_e32 v57, v86
	s_branch .LBB191_3
.LBB191_42:                             ;   in Loop: Header=BB191_3 Depth=1
	v_add_co_u32 v3, vcc_lo, v25, v19
	v_add_co_ci_u32_e64 v4, null, v26, v20, vcc_lo
	v_add_co_u32 v5, vcc_lo, v27, v19
	v_add_co_ci_u32_e64 v6, null, v28, v20, vcc_lo
	global_load_ushort v3, v[3:4], off
	global_load_ushort v11, v[5:6], off
	v_mov_b32_e32 v4, v2
	v_mov_b32_e32 v5, v2
	;; [unrolled: 1-line block ×14, first 2 shown]
	s_waitcnt vmcnt(1)
	v_lshlrev_b32_e32 v3, 16, v3
	s_waitcnt vmcnt(0)
	v_lshlrev_b32_e32 v11, 16, v11
	s_or_b32 exec_lo, exec_lo, s28
	s_and_saveexec_b32 s28, s1
	s_cbranch_execz .LBB191_32
.LBB191_43:                             ;   in Loop: Header=BB191_3 Depth=1
	v_add_co_u32 v21, vcc_lo, v53, v19
	v_add_co_ci_u32_e64 v22, null, v54, v20, vcc_lo
	v_add_co_u32 v59, vcc_lo, v55, v19
	v_add_co_ci_u32_e64 v60, null, v56, v20, vcc_lo
	global_load_ushort v4, v[21:22], off
	global_load_ushort v12, v[59:60], off
	s_waitcnt vmcnt(1)
	v_lshlrev_b32_e32 v4, 16, v4
	s_waitcnt vmcnt(0)
	v_lshlrev_b32_e32 v12, 16, v12
	s_or_b32 exec_lo, exec_lo, s28
	s_and_saveexec_b32 s28, s1
	s_cbranch_execz .LBB191_33
.LBB191_44:                             ;   in Loop: Header=BB191_3 Depth=1
	v_add_co_u32 v21, vcc_lo, v49, v19
	v_add_co_ci_u32_e64 v22, null, v50, v20, vcc_lo
	v_add_co_u32 v59, vcc_lo, v51, v19
	v_add_co_ci_u32_e64 v60, null, v52, v20, vcc_lo
	global_load_ushort v5, v[21:22], off
	global_load_ushort v13, v[59:60], off
	s_waitcnt vmcnt(1)
	v_lshlrev_b32_e32 v5, 16, v5
	s_waitcnt vmcnt(0)
	v_lshlrev_b32_e32 v13, 16, v13
	s_or_b32 exec_lo, exec_lo, s28
	s_and_saveexec_b32 s28, s1
	s_cbranch_execz .LBB191_34
.LBB191_45:                             ;   in Loop: Header=BB191_3 Depth=1
	v_add_co_u32 v21, vcc_lo, v45, v19
	v_add_co_ci_u32_e64 v22, null, v46, v20, vcc_lo
	v_add_co_u32 v59, vcc_lo, v47, v19
	v_add_co_ci_u32_e64 v60, null, v48, v20, vcc_lo
	global_load_ushort v6, v[21:22], off
	global_load_ushort v14, v[59:60], off
	s_waitcnt vmcnt(1)
	v_lshlrev_b32_e32 v6, 16, v6
	s_waitcnt vmcnt(0)
	v_lshlrev_b32_e32 v14, 16, v14
	s_or_b32 exec_lo, exec_lo, s28
	s_and_saveexec_b32 s28, s1
	s_cbranch_execz .LBB191_35
.LBB191_46:                             ;   in Loop: Header=BB191_3 Depth=1
	v_add_co_u32 v21, vcc_lo, v41, v19
	v_add_co_ci_u32_e64 v22, null, v42, v20, vcc_lo
	v_add_co_u32 v59, vcc_lo, v43, v19
	v_add_co_ci_u32_e64 v60, null, v44, v20, vcc_lo
	global_load_ushort v7, v[21:22], off
	global_load_ushort v15, v[59:60], off
	s_waitcnt vmcnt(1)
	v_lshlrev_b32_e32 v7, 16, v7
	s_waitcnt vmcnt(0)
	v_lshlrev_b32_e32 v15, 16, v15
	s_or_b32 exec_lo, exec_lo, s28
	s_and_saveexec_b32 s28, s1
	s_cbranch_execz .LBB191_36
.LBB191_47:                             ;   in Loop: Header=BB191_3 Depth=1
	v_add_co_u32 v21, vcc_lo, v37, v19
	v_add_co_ci_u32_e64 v22, null, v38, v20, vcc_lo
	v_add_co_u32 v59, vcc_lo, v39, v19
	v_add_co_ci_u32_e64 v60, null, v40, v20, vcc_lo
	global_load_ushort v8, v[21:22], off
	global_load_ushort v16, v[59:60], off
	s_waitcnt vmcnt(1)
	v_lshlrev_b32_e32 v8, 16, v8
	s_waitcnt vmcnt(0)
	v_lshlrev_b32_e32 v16, 16, v16
	s_or_b32 exec_lo, exec_lo, s28
	s_and_saveexec_b32 s28, s1
	s_cbranch_execz .LBB191_37
.LBB191_48:                             ;   in Loop: Header=BB191_3 Depth=1
	v_add_co_u32 v21, vcc_lo, v33, v19
	v_add_co_ci_u32_e64 v22, null, v34, v20, vcc_lo
	v_add_co_u32 v59, vcc_lo, v35, v19
	v_add_co_ci_u32_e64 v60, null, v36, v20, vcc_lo
	global_load_ushort v9, v[21:22], off
	global_load_ushort v17, v[59:60], off
	s_waitcnt vmcnt(1)
	v_lshlrev_b32_e32 v9, 16, v9
	s_waitcnt vmcnt(0)
	v_lshlrev_b32_e32 v17, 16, v17
	s_or_b32 exec_lo, exec_lo, s28
	s_and_saveexec_b32 s28, s1
	s_cbranch_execnz .LBB191_38
	s_branch .LBB191_39
.LBB191_49:
                                        ; implicit-def: $vgpr86
	s_load_dwordx2 s[2:3], s[4:5], 0x30
	s_branch .LBB191_51
.LBB191_50:
	s_load_dwordx2 s[2:3], s[4:5], 0x30
	s_cbranch_execnz .LBB191_83
.LBB191_51:
	v_mov_b32_e32 v86, 0
	s_andn2_b32 vcc_lo, exec_lo, s26
	s_cbranch_vccnz .LBB191_83
; %bb.52:
	v_lshlrev_b32_e32 v51, 3, v1
	v_lshlrev_b32_e32 v4, 4, v1
	s_add_u32 s20, s4, 64
	s_addc_u32 s21, s5, 0
	s_lshl_b64 s[22:23], s[18:19], 1
	v_add_co_u32 v10, s1, v51, s18
	v_add_co_ci_u32_e64 v11, null, 0, 0, s1
	v_add_co_u32 v7, s1, v4, s22
	v_mul_lo_u32 v5, s11, v10
	v_mul_lo_u32 v6, s10, v11
	v_mad_u64_u32 v[2:3], null, s10, v10, 0
	v_add_co_ci_u32_e64 v8, null, 0, s23, s1
	v_mov_b32_e32 v85, 0
	s_mov_b64 s[22:23], s[18:19]
	v_add3_u32 v3, v3, v6, v5
	v_add_co_u32 v6, vcc_lo, v7, 2
	v_add_co_ci_u32_e64 v9, null, 0, v8, vcc_lo
	v_lshlrev_b64 v[4:5], 1, v[2:3]
	v_mad_u64_u32 v[19:20], null, s10, v6, s[12:13]
	v_mul_lo_u32 v9, s10, v9
	v_mul_lo_u32 v12, s11, v6
	v_mad_u64_u32 v[33:34], null, s10, v6, s[14:15]
	v_add_co_u32 v52, vcc_lo, s12, v4
	v_add_co_ci_u32_e64 v53, null, s13, v5, vcc_lo
	v_add_co_u32 v54, vcc_lo, s14, v4
	v_add_co_ci_u32_e64 v55, null, s15, v5, vcc_lo
	;; [unrolled: 2-line block ×4, first 2 shown]
	v_add_co_u32 v16, vcc_lo, v7, 8
	v_mad_u64_u32 v[21:22], null, s10, v4, s[12:13]
	v_mul_lo_u32 v5, s10, v5
	v_mul_lo_u32 v15, s11, v4
	v_add_co_ci_u32_e64 v18, null, 0, v8, vcc_lo
	v_add_co_u32 v41, vcc_lo, v7, 10
	v_mad_u64_u32 v[35:36], null, s10, v4, s[14:15]
	v_add_co_ci_u32_e64 v29, null, 0, v8, vcc_lo
	v_add_co_u32 v44, vcc_lo, v7, 12
	v_add_co_ci_u32_e64 v31, null, 0, v8, vcc_lo
	v_add_co_u32 v7, vcc_lo, v7, 14
	;; [unrolled: 2-line block ×3, first 2 shown]
	v_add3_u32 v22, v15, v22, v5
	v_add3_u32 v36, v15, v36, v5
	v_add_co_ci_u32_e64 v5, null, 0, v11, vcc_lo
	v_add3_u32 v20, v12, v20, v9
	v_add3_u32 v34, v12, v34, v9
	v_mul_lo_u32 v6, s11, v4
	v_mul_lo_u32 v9, s10, v5
	v_mad_u64_u32 v[4:5], null, s10, v4, 0
	v_mul_lo_u32 v49, s10, v31
	v_mad_u64_u32 v[31:32], null, s10, v7, s[12:13]
	v_mul_lo_u32 v8, s10, v8
	v_mul_lo_u32 v56, s11, v7
	v_mad_u64_u32 v[45:46], null, s10, v7, s[14:15]
	v_add3_u32 v5, v5, v9, v6
	v_add_co_u32 v6, vcc_lo, v10, 6
	v_add_co_ci_u32_e64 v7, null, 0, v11, vcc_lo
	v_mad_u64_u32 v[23:24], null, s10, v13, s[12:13]
	v_mul_lo_u32 v14, s10, v14
	v_mul_lo_u32 v17, s11, v13
	v_add3_u32 v32, v56, v32, v8
	v_mad_u64_u32 v[37:38], null, s10, v13, s[14:15]
	v_add3_u32 v46, v56, v46, v8
	v_mul_lo_u32 v8, s11, v6
	v_mul_lo_u32 v9, s10, v7
	v_mad_u64_u32 v[6:7], null, s10, v6, 0
	v_lshlrev_b64 v[4:5], 1, v[4:5]
	v_add_co_u32 v12, vcc_lo, v10, 5
	v_add_co_ci_u32_e64 v13, null, 0, v11, vcc_lo
	v_add3_u32 v24, v17, v24, v14
	v_add_co_u32 v56, vcc_lo, s12, v4
	v_add3_u32 v38, v17, v38, v14
	v_add3_u32 v7, v7, v9, v8
	v_mul_lo_u32 v14, s11, v12
	v_mul_lo_u32 v13, s10, v13
	v_mad_u64_u32 v[8:9], null, s10, v12, 0
	v_add_co_ci_u32_e64 v57, null, s13, v5, vcc_lo
	v_add_co_u32 v12, vcc_lo, v10, 4
	v_add_co_ci_u32_e64 v15, null, 0, v11, vcc_lo
	v_add_co_u32 v58, vcc_lo, s14, v4
	v_add_co_ci_u32_e64 v59, null, s15, v5, vcc_lo
	v_lshlrev_b64 v[4:5], 1, v[6:7]
	v_add3_u32 v9, v9, v13, v14
	v_mul_lo_u32 v13, s11, v12
	v_mul_lo_u32 v14, s10, v15
	v_mad_u64_u32 v[6:7], null, s10, v12, 0
	v_lshlrev_b64 v[8:9], 1, v[8:9]
	v_add_co_u32 v60, vcc_lo, s12, v4
	v_add_co_ci_u32_e64 v61, null, s13, v5, vcc_lo
	v_add_co_u32 v62, vcc_lo, s14, v4
	v_add3_u32 v7, v7, v14, v13
	v_add_co_ci_u32_e64 v63, null, s15, v5, vcc_lo
	v_add_co_u32 v64, vcc_lo, s12, v8
	v_add_co_ci_u32_e64 v65, null, s13, v9, vcc_lo
	v_lshlrev_b64 v[4:5], 1, v[6:7]
	v_add_co_u32 v6, vcc_lo, v10, 3
	v_add_co_ci_u32_e64 v7, null, 0, v11, vcc_lo
	v_add_co_u32 v66, s1, s14, v8
	v_add_co_u32 v8, vcc_lo, v10, 2
	v_add_co_ci_u32_e64 v67, null, s15, v9, s1
	v_mul_lo_u32 v12, s11, v6
	v_add_co_ci_u32_e64 v9, null, 0, v11, vcc_lo
	v_mul_lo_u32 v10, s10, v7
	v_mad_u64_u32 v[6:7], null, s10, v6, 0
	v_mul_lo_u32 v11, s11, v8
	v_mul_lo_u32 v13, s10, v9
	v_mad_u64_u32 v[8:9], null, s10, v8, 0
	v_add_co_u32 v68, vcc_lo, s12, v4
	v_add3_u32 v7, v7, v10, v12
	s_load_dword s1, s[4:5], 0x44
	v_add_co_ci_u32_e64 v69, null, s13, v5, vcc_lo
	v_add_co_u32 v70, vcc_lo, s14, v4
	v_add_co_ci_u32_e64 v71, null, s15, v5, vcc_lo
	v_lshlrev_b64 v[4:5], 1, v[6:7]
	v_add3_u32 v9, v9, v13, v11
	v_add_co_u32 v2, vcc_lo, v2, s10
	v_mad_u64_u32 v[25:26], null, s10, v16, s[12:13]
	v_mul_lo_u32 v18, s10, v18
	v_mul_lo_u32 v43, s11, v16
	v_mad_u64_u32 v[39:40], null, s10, v16, s[14:15]
	v_add_co_ci_u32_e64 v3, null, s11, v3, vcc_lo
	v_lshlrev_b64 v[6:7], 1, v[8:9]
	v_add_co_u32 v72, vcc_lo, s12, v4
	v_add_co_ci_u32_e64 v73, null, s13, v5, vcc_lo
	v_add_co_u32 v74, vcc_lo, s14, v4
	v_lshlrev_b64 v[3:4], 1, v[2:3]
	v_mov_b32_e32 v2, 0
	v_mad_u64_u32 v[27:28], null, s10, v41, s[12:13]
	v_mul_lo_u32 v47, s10, v29
	v_mul_lo_u32 v48, s11, v41
	v_mad_u64_u32 v[41:42], null, s10, v41, s[14:15]
	v_mad_u64_u32 v[29:30], null, s10, v44, s[12:13]
	v_mul_lo_u32 v50, s11, v44
	v_add3_u32 v26, v43, v26, v18
	v_add3_u32 v40, v43, v40, v18
	v_mad_u64_u32 v[43:44], null, s10, v44, s[14:15]
	v_add_co_ci_u32_e64 v75, null, s15, v5, vcc_lo
	v_add_co_u32 v76, vcc_lo, s12, v6
	v_add_co_ci_u32_e64 v77, null, s13, v7, vcc_lo
	v_add_co_u32 v78, vcc_lo, s14, v6
	v_add_nc_u32_e32 v5, s7, v0
	v_mov_b32_e32 v6, v2
	v_add_co_ci_u32_e64 v79, null, s15, v7, vcc_lo
	v_add_co_u32 v80, vcc_lo, s12, v3
	s_waitcnt lgkmcnt(0)
	s_lshl_b32 s1, s1, 3
	v_add_co_ci_u32_e64 v81, null, s13, v4, vcc_lo
	v_add_co_u32 v82, vcc_lo, s14, v3
	v_add3_u32 v28, v48, v28, v47
	v_add3_u32 v42, v48, v42, v47
	s_mul_i32 s7, s11, s1
	s_mul_hi_u32 s12, s10, s1
	v_lshlrev_b64 v[47:48], 1, v[5:6]
	v_add3_u32 v30, v50, v30, v49
	v_add3_u32 v44, v50, v44, v49
	v_add_co_ci_u32_e64 v83, null, s15, v4, vcc_lo
	v_mov_b32_e32 v84, v2
	s_add_i32 s13, s12, s7
	s_mul_i32 s12, s10, s1
	s_mov_b64 s[14:15], 7
	s_lshl_b64 s[12:13], s[12:13], 1
.LBB191_53:                             ; =>This Inner Loop Header: Depth=1
	s_add_u32 s24, s18, s14
	s_addc_u32 s25, 0, s15
	v_add_co_u32 v49, vcc_lo, s18, v51
	v_cmp_ge_i64_e64 s7, s[24:25], s[8:9]
	v_add_co_ci_u32_e64 v50, null, 0, v84, vcc_lo
                                        ; implicit-def: $vgpr86
	s_and_b32 vcc_lo, exec_lo, s7
	s_mov_b32 s7, -1
	s_cbranch_vccz .LBB191_75
; %bb.54:                               ;   in Loop: Header=BB191_53 Depth=1
	s_load_dword s7, s[20:21], 0xc
	v_mov_b32_e32 v87, 0
	s_waitcnt lgkmcnt(0)
	s_and_b32 s7, s7, 0xffff
	v_mad_u32_u24 v3, v1, s7, v0
	s_mov_b32 s7, exec_lo
	v_and_b32_e32 v3, 31, v3
	v_cmpx_gt_u32_e32 8, v3
	s_cbranch_execz .LBB191_58
; %bb.55:                               ;   in Loop: Header=BB191_53 Depth=1
	v_add_co_u32 v3, vcc_lo, v49, v3
	v_add_co_ci_u32_e64 v4, null, 0, v50, vcc_lo
	v_mov_b32_e32 v87, 0
	s_mov_b32 s19, exec_lo
	v_cmpx_gt_i64_e64 s[8:9], v[3:4]
	s_cbranch_execz .LBB191_57
; %bb.56:                               ;   in Loop: Header=BB191_53 Depth=1
	v_lshlrev_b64 v[3:4], 2, v[3:4]
	v_add_co_u32 v3, vcc_lo, s16, v3
	v_add_co_ci_u32_e64 v4, null, s17, v4, vcc_lo
	global_load_dword v87, v[3:4], off
.LBB191_57:                             ;   in Loop: Header=BB191_53 Depth=1
	s_or_b32 exec_lo, exec_lo, s19
.LBB191_58:                             ;   in Loop: Header=BB191_53 Depth=1
	s_or_b32 exec_lo, exec_lo, s7
	v_mov_b32_e32 v9, v2
	v_mov_b32_e32 v3, v2
	;; [unrolled: 1-line block ×23, first 2 shown]
	s_mov_b32 s7, exec_lo
	v_cmpx_gt_i64_e64 s[8:9], v[49:50]
	s_cbranch_execz .LBB191_60
; %bb.59:                               ;   in Loop: Header=BB191_53 Depth=1
	v_add_co_u32 v3, vcc_lo, v52, v47
	v_add_co_ci_u32_e64 v4, null, v53, v48, vcc_lo
	v_add_co_u32 v5, vcc_lo, v54, v47
	v_add_co_ci_u32_e64 v6, null, v55, v48, vcc_lo
	global_load_ushort v3, v[3:4], off
	global_load_ushort v11, v[5:6], off
	v_mov_b32_e32 v4, v2
	v_mov_b32_e32 v5, v2
	;; [unrolled: 1-line block ×14, first 2 shown]
	s_waitcnt vmcnt(1)
	v_lshlrev_b32_e32 v3, 16, v3
	s_waitcnt vmcnt(0)
	v_lshlrev_b32_e32 v11, 16, v11
.LBB191_60:                             ;   in Loop: Header=BB191_53 Depth=1
	s_or_b32 exec_lo, exec_lo, s7
	v_add_co_u32 v88, vcc_lo, v49, 1
	v_add_co_ci_u32_e64 v89, null, 0, v50, vcc_lo
	s_mov_b32 s7, exec_lo
	v_cmpx_gt_i64_e64 s[8:9], v[88:89]
	s_cbranch_execz .LBB191_62
; %bb.61:                               ;   in Loop: Header=BB191_53 Depth=1
	v_add_co_u32 v88, vcc_lo, v80, v47
	v_add_co_ci_u32_e64 v89, null, v81, v48, vcc_lo
	v_add_co_u32 v90, vcc_lo, v82, v47
	v_add_co_ci_u32_e64 v91, null, v83, v48, vcc_lo
	global_load_ushort v4, v[88:89], off
	global_load_ushort v12, v[90:91], off
	s_waitcnt vmcnt(1)
	v_lshlrev_b32_e32 v4, 16, v4
	s_waitcnt vmcnt(0)
	v_lshlrev_b32_e32 v12, 16, v12
.LBB191_62:                             ;   in Loop: Header=BB191_53 Depth=1
	s_or_b32 exec_lo, exec_lo, s7
	v_add_co_u32 v88, vcc_lo, v49, 2
	v_add_co_ci_u32_e64 v89, null, 0, v50, vcc_lo
	s_mov_b32 s7, exec_lo
	v_cmpx_gt_i64_e64 s[8:9], v[88:89]
	s_cbranch_execz .LBB191_64
; %bb.63:                               ;   in Loop: Header=BB191_53 Depth=1
	v_add_co_u32 v88, vcc_lo, v76, v47
	v_add_co_ci_u32_e64 v89, null, v77, v48, vcc_lo
	v_add_co_u32 v90, vcc_lo, v78, v47
	v_add_co_ci_u32_e64 v91, null, v79, v48, vcc_lo
	global_load_ushort v5, v[88:89], off
	global_load_ushort v13, v[90:91], off
	s_waitcnt vmcnt(1)
	v_lshlrev_b32_e32 v5, 16, v5
	s_waitcnt vmcnt(0)
	v_lshlrev_b32_e32 v13, 16, v13
.LBB191_64:                             ;   in Loop: Header=BB191_53 Depth=1
	;; [unrolled: 18-line block ×7, first 2 shown]
	s_or_b32 exec_lo, exec_lo, s7
	s_waitcnt vmcnt(0)
	ds_bpermute_b32 v86, v2, v87
	ds_bpermute_b32 v88, v2, v87 offset:4
	ds_bpermute_b32 v89, v2, v87 offset:8
	v_mul_f32_e32 v3, v11, v3
	ds_bpermute_b32 v11, v2, v87 offset:12
	v_mul_f32_e32 v4, v12, v4
	ds_bpermute_b32 v12, v2, v87 offset:16
	s_mov_b32 s7, 0
	s_waitcnt lgkmcnt(4)
	v_fma_f32 v86, v3, v86, v85
	v_mul_f32_e32 v3, v13, v5
	ds_bpermute_b32 v5, v2, v87 offset:20
	s_waitcnt lgkmcnt(4)
	v_fmac_f32_e32 v86, v4, v88
	v_mul_f32_e32 v4, v14, v6
	ds_bpermute_b32 v6, v2, v87 offset:24
	s_waitcnt lgkmcnt(4)
	v_fmac_f32_e32 v86, v3, v89
	v_mul_f32_e32 v3, v15, v7
	v_mul_f32_e32 v7, v16, v8
	s_waitcnt lgkmcnt(3)
	v_fmac_f32_e32 v86, v4, v11
	ds_bpermute_b32 v4, v2, v87 offset:28
	s_waitcnt lgkmcnt(3)
	v_fmac_f32_e32 v86, v3, v12
	v_mul_f32_e32 v3, v17, v9
	s_waitcnt lgkmcnt(2)
	v_fmac_f32_e32 v86, v7, v5
	s_waitcnt lgkmcnt(1)
	v_fmac_f32_e32 v86, v3, v6
	v_mul_f32_e32 v3, v18, v10
	s_waitcnt lgkmcnt(0)
	v_fmac_f32_e32 v86, v3, v4
.LBB191_75:                             ;   in Loop: Header=BB191_53 Depth=1
	s_and_b32 vcc_lo, exec_lo, s7
	s_cbranch_vccz .LBB191_81
; %bb.76:                               ;   in Loop: Header=BB191_53 Depth=1
	s_load_dword s7, s[20:21], 0x0
	v_mov_b32_e32 v5, 0
	s_waitcnt lgkmcnt(0)
	s_cmp_lt_u32 s6, s7
	s_cselect_b32 s7, 12, 18
	s_add_u32 s24, s20, s7
	s_addc_u32 s25, s21, 0
	s_mov_b32 s7, exec_lo
	global_load_ushort v3, v2, s[24:25]
	s_waitcnt vmcnt(0)
	v_mad_u32_u24 v3, v1, v3, v0
	v_and_b32_e32 v3, 31, v3
	v_cmpx_gt_u32_e32 8, v3
	s_cbranch_execz .LBB191_80
; %bb.77:                               ;   in Loop: Header=BB191_53 Depth=1
	v_add_co_u32 v3, vcc_lo, v49, v3
	v_add_co_ci_u32_e64 v4, null, 0, v50, vcc_lo
	v_mov_b32_e32 v5, 0
	s_mov_b32 s19, exec_lo
	v_cmpx_gt_i64_e64 s[8:9], v[3:4]
	s_cbranch_execz .LBB191_79
; %bb.78:                               ;   in Loop: Header=BB191_53 Depth=1
	v_lshlrev_b64 v[3:4], 2, v[3:4]
	v_add_co_u32 v3, vcc_lo, s16, v3
	v_add_co_ci_u32_e64 v4, null, s17, v4, vcc_lo
	global_load_dword v5, v[3:4], off
.LBB191_79:                             ;   in Loop: Header=BB191_53 Depth=1
	s_or_b32 exec_lo, exec_lo, s19
.LBB191_80:                             ;   in Loop: Header=BB191_53 Depth=1
	s_or_b32 exec_lo, exec_lo, s7
	v_add_co_u32 v3, vcc_lo, v52, v47
	v_add_co_ci_u32_e64 v4, null, v53, v48, vcc_lo
	v_add_co_u32 v6, vcc_lo, v54, v47
	v_add_co_ci_u32_e64 v7, null, v55, v48, vcc_lo
	;; [unrolled: 2-line block ×4, first 2 shown]
	global_load_ushort v14, v[3:4], off
	global_load_ushort v15, v[6:7], off
	;; [unrolled: 1-line block ×4, first 2 shown]
	v_add_co_u32 v3, vcc_lo, v21, v47
	v_add_co_ci_u32_e64 v4, null, v22, v48, vcc_lo
	v_add_co_u32 v6, vcc_lo, v35, v47
	v_add_co_ci_u32_e64 v7, null, v36, v48, vcc_lo
	global_load_ushort v18, v[3:4], off
	v_add_co_u32 v3, vcc_lo, v23, v47
	v_add_co_ci_u32_e64 v4, null, v24, v48, vcc_lo
	v_add_co_u32 v8, vcc_lo, v37, v47
	v_add_co_ci_u32_e64 v9, null, v38, v48, vcc_lo
	;; [unrolled: 2-line block ×4, first 2 shown]
	global_load_ushort v49, v[6:7], off
	global_load_ushort v50, v[3:4], off
	;; [unrolled: 1-line block ×5, first 2 shown]
	v_add_co_u32 v3, vcc_lo, v27, v47
	v_add_co_ci_u32_e64 v4, null, v28, v48, vcc_lo
	v_add_co_u32 v6, vcc_lo, v41, v47
	v_add_co_ci_u32_e64 v7, null, v42, v48, vcc_lo
	v_add_co_u32 v8, vcc_lo, v29, v47
	v_add_co_ci_u32_e64 v9, null, v30, v48, vcc_lo
	v_add_co_u32 v10, vcc_lo, v43, v47
	v_add_co_ci_u32_e64 v11, null, v44, v48, vcc_lo
	global_load_ushort v13, v[3:4], off
	global_load_ushort v88, v[6:7], off
	global_load_ushort v8, v[8:9], off
	global_load_ushort v9, v[10:11], off
	v_add_co_u32 v3, vcc_lo, v45, v47
	v_add_co_ci_u32_e64 v4, null, v46, v48, vcc_lo
	v_add_co_u32 v6, vcc_lo, v31, v47
	v_add_co_ci_u32_e64 v7, null, v32, v48, vcc_lo
	global_load_ushort v3, v[3:4], off
	global_load_ushort v4, v[6:7], off
	s_waitcnt vmcnt(16)
	ds_bpermute_b32 v6, v2, v5
	ds_bpermute_b32 v7, v2, v5 offset:4
	ds_bpermute_b32 v10, v2, v5 offset:8
	s_waitcnt vmcnt(15)
	v_lshlrev_b32_e32 v14, 16, v14
	s_waitcnt vmcnt(14)
	v_lshlrev_b32_e32 v11, 16, v15
	ds_bpermute_b32 v15, v2, v5 offset:12
	s_waitcnt vmcnt(12)
	v_lshlrev_b32_e32 v17, 16, v17
	v_lshlrev_b32_e32 v16, 16, v16
	v_mul_f32_e32 v11, v14, v11
	ds_bpermute_b32 v14, v2, v5 offset:16
	v_mul_f32_e32 v16, v16, v17
	s_waitcnt lgkmcnt(4)
	v_fmac_f32_e32 v85, v11, v6
	s_waitcnt vmcnt(11)
	v_lshlrev_b32_e32 v18, 16, v18
	ds_bpermute_b32 v6, v2, v5 offset:20
	s_waitcnt lgkmcnt(4)
	v_fmac_f32_e32 v85, v16, v7
	ds_bpermute_b32 v7, v2, v5 offset:24
	ds_bpermute_b32 v5, v2, v5 offset:28
	s_waitcnt vmcnt(10)
	v_lshlrev_b32_e32 v49, 16, v49
	s_waitcnt vmcnt(9)
	v_lshlrev_b32_e32 v17, 16, v50
	;; [unrolled: 2-line block ×5, first 2 shown]
	v_mul_f32_e32 v18, v18, v49
	v_mul_f32_e32 v11, v17, v11
	;; [unrolled: 1-line block ×3, first 2 shown]
	s_waitcnt lgkmcnt(5)
	v_fmac_f32_e32 v85, v18, v10
	s_waitcnt lgkmcnt(4)
	v_fmac_f32_e32 v85, v11, v15
	s_waitcnt vmcnt(5)
	v_lshlrev_b32_e32 v13, 16, v13
	s_waitcnt vmcnt(4)
	v_lshlrev_b32_e32 v10, 16, v88
	;; [unrolled: 2-line block ×4, first 2 shown]
	s_waitcnt lgkmcnt(3)
	v_fmac_f32_e32 v85, v12, v14
	v_mul_f32_e32 v10, v13, v10
	v_mul_f32_e32 v8, v8, v9
	s_waitcnt lgkmcnt(2)
	v_fmac_f32_e32 v85, v10, v6
	s_waitcnt vmcnt(1)
	v_lshlrev_b32_e32 v3, 16, v3
	s_waitcnt vmcnt(0)
	v_lshlrev_b32_e32 v4, 16, v4
	s_waitcnt lgkmcnt(1)
	v_fmac_f32_e32 v85, v8, v7
	v_mul_f32_e32 v3, v4, v3
	s_waitcnt lgkmcnt(0)
	v_fmac_f32_e32 v85, v3, v5
	v_mov_b32_e32 v86, v85
.LBB191_81:                             ;   in Loop: Header=BB191_53 Depth=1
	v_add_co_u32 v52, vcc_lo, v52, s12
	v_add_co_ci_u32_e64 v53, null, s13, v53, vcc_lo
	v_add_co_u32 v54, vcc_lo, v54, s12
	v_add_co_ci_u32_e64 v55, null, s13, v55, vcc_lo
	;; [unrolled: 2-line block ×27, first 2 shown]
	v_add_co_u32 v76, vcc_lo, v76, s12
	s_add_u32 s22, s22, s1
	v_add_co_ci_u32_e64 v77, null, s13, v77, vcc_lo
	v_add_co_u32 v78, vcc_lo, v78, s12
	s_addc_u32 s23, s23, 0
	v_add_co_ci_u32_e64 v79, null, s13, v79, vcc_lo
	v_add_co_u32 v80, vcc_lo, v80, s12
	v_cmp_ge_i64_e64 s7, s[22:23], s[8:9]
	v_add_co_ci_u32_e64 v81, null, s13, v81, vcc_lo
	v_add_co_u32 v82, vcc_lo, v82, s12
	v_add_co_ci_u32_e64 v83, null, s13, v83, vcc_lo
	s_add_u32 s14, s14, s1
	s_addc_u32 s15, 0, s15
	s_and_b32 vcc_lo, exec_lo, s7
	s_cbranch_vccnz .LBB191_83
; %bb.82:                               ;   in Loop: Header=BB191_53 Depth=1
	v_mov_b32_e32 v85, v86
	s_branch .LBB191_53
.LBB191_83:
	s_mov_b32 s7, 0
	s_lshl_b64 s[6:7], s[6:7], 6
	s_waitcnt lgkmcnt(0)
	s_cmp_lg_u64 s[2:3], 0
	v_or_b32_e32 v3, s6, v0
	v_mov_b32_e32 v4, s7
	s_cselect_b32 s1, -1, 0
	v_cmp_gt_i64_e32 vcc_lo, s[10:11], v[3:4]
	s_and_b32 s1, vcc_lo, s1
	s_and_saveexec_b32 s6, s1
	s_cbranch_execz .LBB191_85
; %bb.84:
	s_load_dword s1, s[4:5], 0x4c
	v_mov_b32_e32 v2, 0
	v_cmp_o_f32_e32 vcc_lo, v86, v86
	v_mov_b32_e32 v6, 0x7fc0
	s_waitcnt lgkmcnt(0)
	s_lshr_b32 s1, s1, 16
	v_mad_u64_u32 v[0:1], null, s1, s0, v[1:2]
	v_mul_lo_u32 v2, v1, s10
	v_mul_lo_u32 v5, v0, s11
	v_mad_u64_u32 v[0:1], null, v0, s10, 0
	v_add3_u32 v1, v1, v5, v2
	v_bfe_u32 v5, v86, 16, 1
	v_lshlrev_b64 v[2:3], 1, v[3:4]
	v_lshlrev_b64 v[0:1], 1, v[0:1]
	v_add3_u32 v4, v86, v5, 0x7fff
	v_cndmask_b32_sdwa v4, v6, v4, vcc_lo dst_sel:DWORD dst_unused:UNUSED_PAD src0_sel:DWORD src1_sel:WORD_1
	v_add_co_u32 v0, s0, s2, v0
	v_add_co_ci_u32_e64 v1, null, s3, v1, s0
	v_add_co_u32 v0, vcc_lo, v0, v2
	v_add_co_ci_u32_e64 v1, null, v1, v3, vcc_lo
	global_store_short v[0:1], v4, off
.LBB191_85:
	s_endpgm
	.section	.rodata,"a",@progbits
	.p2align	6, 0x0
	.amdhsa_kernel _ZN2at6native12_GLOBAL__N_135GammaBetaBackwardCUDAKernelTemplateIN3c108BFloat16EfLj64ELj1ELj8ELb1ELb0ELb1EEEvllPKT_S7_PKT0_SA_PS5_SB_
		.amdhsa_group_segment_fixed_size 0
		.amdhsa_private_segment_fixed_size 0
		.amdhsa_kernarg_size 320
		.amdhsa_user_sgpr_count 6
		.amdhsa_user_sgpr_private_segment_buffer 1
		.amdhsa_user_sgpr_dispatch_ptr 0
		.amdhsa_user_sgpr_queue_ptr 0
		.amdhsa_user_sgpr_kernarg_segment_ptr 1
		.amdhsa_user_sgpr_dispatch_id 0
		.amdhsa_user_sgpr_flat_scratch_init 0
		.amdhsa_user_sgpr_private_segment_size 0
		.amdhsa_wavefront_size32 1
		.amdhsa_uses_dynamic_stack 0
		.amdhsa_system_sgpr_private_segment_wavefront_offset 0
		.amdhsa_system_sgpr_workgroup_id_x 1
		.amdhsa_system_sgpr_workgroup_id_y 1
		.amdhsa_system_sgpr_workgroup_id_z 0
		.amdhsa_system_sgpr_workgroup_info 0
		.amdhsa_system_vgpr_workitem_id 1
		.amdhsa_next_free_vgpr 92
		.amdhsa_next_free_sgpr 30
		.amdhsa_reserve_vcc 1
		.amdhsa_reserve_flat_scratch 0
		.amdhsa_float_round_mode_32 0
		.amdhsa_float_round_mode_16_64 0
		.amdhsa_float_denorm_mode_32 3
		.amdhsa_float_denorm_mode_16_64 3
		.amdhsa_dx10_clamp 1
		.amdhsa_ieee_mode 1
		.amdhsa_fp16_overflow 0
		.amdhsa_workgroup_processor_mode 1
		.amdhsa_memory_ordered 1
		.amdhsa_forward_progress 1
		.amdhsa_shared_vgpr_count 0
		.amdhsa_exception_fp_ieee_invalid_op 0
		.amdhsa_exception_fp_denorm_src 0
		.amdhsa_exception_fp_ieee_div_zero 0
		.amdhsa_exception_fp_ieee_overflow 0
		.amdhsa_exception_fp_ieee_underflow 0
		.amdhsa_exception_fp_ieee_inexact 0
		.amdhsa_exception_int_div_zero 0
	.end_amdhsa_kernel
	.section	.text._ZN2at6native12_GLOBAL__N_135GammaBetaBackwardCUDAKernelTemplateIN3c108BFloat16EfLj64ELj1ELj8ELb1ELb0ELb1EEEvllPKT_S7_PKT0_SA_PS5_SB_,"axG",@progbits,_ZN2at6native12_GLOBAL__N_135GammaBetaBackwardCUDAKernelTemplateIN3c108BFloat16EfLj64ELj1ELj8ELb1ELb0ELb1EEEvllPKT_S7_PKT0_SA_PS5_SB_,comdat
.Lfunc_end191:
	.size	_ZN2at6native12_GLOBAL__N_135GammaBetaBackwardCUDAKernelTemplateIN3c108BFloat16EfLj64ELj1ELj8ELb1ELb0ELb1EEEvllPKT_S7_PKT0_SA_PS5_SB_, .Lfunc_end191-_ZN2at6native12_GLOBAL__N_135GammaBetaBackwardCUDAKernelTemplateIN3c108BFloat16EfLj64ELj1ELj8ELb1ELb0ELb1EEEvllPKT_S7_PKT0_SA_PS5_SB_
                                        ; -- End function
	.set _ZN2at6native12_GLOBAL__N_135GammaBetaBackwardCUDAKernelTemplateIN3c108BFloat16EfLj64ELj1ELj8ELb1ELb0ELb1EEEvllPKT_S7_PKT0_SA_PS5_SB_.num_vgpr, 92
	.set _ZN2at6native12_GLOBAL__N_135GammaBetaBackwardCUDAKernelTemplateIN3c108BFloat16EfLj64ELj1ELj8ELb1ELb0ELb1EEEvllPKT_S7_PKT0_SA_PS5_SB_.num_agpr, 0
	.set _ZN2at6native12_GLOBAL__N_135GammaBetaBackwardCUDAKernelTemplateIN3c108BFloat16EfLj64ELj1ELj8ELb1ELb0ELb1EEEvllPKT_S7_PKT0_SA_PS5_SB_.numbered_sgpr, 30
	.set _ZN2at6native12_GLOBAL__N_135GammaBetaBackwardCUDAKernelTemplateIN3c108BFloat16EfLj64ELj1ELj8ELb1ELb0ELb1EEEvllPKT_S7_PKT0_SA_PS5_SB_.num_named_barrier, 0
	.set _ZN2at6native12_GLOBAL__N_135GammaBetaBackwardCUDAKernelTemplateIN3c108BFloat16EfLj64ELj1ELj8ELb1ELb0ELb1EEEvllPKT_S7_PKT0_SA_PS5_SB_.private_seg_size, 0
	.set _ZN2at6native12_GLOBAL__N_135GammaBetaBackwardCUDAKernelTemplateIN3c108BFloat16EfLj64ELj1ELj8ELb1ELb0ELb1EEEvllPKT_S7_PKT0_SA_PS5_SB_.uses_vcc, 1
	.set _ZN2at6native12_GLOBAL__N_135GammaBetaBackwardCUDAKernelTemplateIN3c108BFloat16EfLj64ELj1ELj8ELb1ELb0ELb1EEEvllPKT_S7_PKT0_SA_PS5_SB_.uses_flat_scratch, 0
	.set _ZN2at6native12_GLOBAL__N_135GammaBetaBackwardCUDAKernelTemplateIN3c108BFloat16EfLj64ELj1ELj8ELb1ELb0ELb1EEEvllPKT_S7_PKT0_SA_PS5_SB_.has_dyn_sized_stack, 0
	.set _ZN2at6native12_GLOBAL__N_135GammaBetaBackwardCUDAKernelTemplateIN3c108BFloat16EfLj64ELj1ELj8ELb1ELb0ELb1EEEvllPKT_S7_PKT0_SA_PS5_SB_.has_recursion, 0
	.set _ZN2at6native12_GLOBAL__N_135GammaBetaBackwardCUDAKernelTemplateIN3c108BFloat16EfLj64ELj1ELj8ELb1ELb0ELb1EEEvllPKT_S7_PKT0_SA_PS5_SB_.has_indirect_call, 0
	.section	.AMDGPU.csdata,"",@progbits
; Kernel info:
; codeLenInByte = 7700
; TotalNumSgprs: 32
; NumVgprs: 92
; ScratchSize: 0
; MemoryBound: 0
; FloatMode: 240
; IeeeMode: 1
; LDSByteSize: 0 bytes/workgroup (compile time only)
; SGPRBlocks: 0
; VGPRBlocks: 11
; NumSGPRsForWavesPerEU: 32
; NumVGPRsForWavesPerEU: 92
; Occupancy: 10
; WaveLimiterHint : 0
; COMPUTE_PGM_RSRC2:SCRATCH_EN: 0
; COMPUTE_PGM_RSRC2:USER_SGPR: 6
; COMPUTE_PGM_RSRC2:TRAP_HANDLER: 0
; COMPUTE_PGM_RSRC2:TGID_X_EN: 1
; COMPUTE_PGM_RSRC2:TGID_Y_EN: 1
; COMPUTE_PGM_RSRC2:TGID_Z_EN: 0
; COMPUTE_PGM_RSRC2:TIDIG_COMP_CNT: 1
	.section	.text._ZN2at6native12_GLOBAL__N_135GammaBetaBackwardCUDAKernelTemplateIN3c108BFloat16EfLj64ELj8ELj64ELb0ELb1ELb1EEEvllPKT_S7_PKT0_SA_PS5_SB_,"axG",@progbits,_ZN2at6native12_GLOBAL__N_135GammaBetaBackwardCUDAKernelTemplateIN3c108BFloat16EfLj64ELj8ELj64ELb0ELb1ELb1EEEvllPKT_S7_PKT0_SA_PS5_SB_,comdat
	.globl	_ZN2at6native12_GLOBAL__N_135GammaBetaBackwardCUDAKernelTemplateIN3c108BFloat16EfLj64ELj8ELj64ELb0ELb1ELb1EEEvllPKT_S7_PKT0_SA_PS5_SB_ ; -- Begin function _ZN2at6native12_GLOBAL__N_135GammaBetaBackwardCUDAKernelTemplateIN3c108BFloat16EfLj64ELj8ELj64ELb0ELb1ELb1EEEvllPKT_S7_PKT0_SA_PS5_SB_
	.p2align	8
	.type	_ZN2at6native12_GLOBAL__N_135GammaBetaBackwardCUDAKernelTemplateIN3c108BFloat16EfLj64ELj8ELj64ELb0ELb1ELb1EEEvllPKT_S7_PKT0_SA_PS5_SB_,@function
_ZN2at6native12_GLOBAL__N_135GammaBetaBackwardCUDAKernelTemplateIN3c108BFloat16EfLj64ELj8ELj64ELb0ELb1ELb1EEEvllPKT_S7_PKT0_SA_PS5_SB_: ; @_ZN2at6native12_GLOBAL__N_135GammaBetaBackwardCUDAKernelTemplateIN3c108BFloat16EfLj64ELj8ELj64ELb0ELb1ELb1EEEvllPKT_S7_PKT0_SA_PS5_SB_
; %bb.0:
	s_load_dwordx4 s[8:11], s[4:5], 0x0
	s_lshl_b32 s16, s7, 6
	s_mov_b32 s17, 0
	s_waitcnt lgkmcnt(0)
	v_cmp_gt_i64_e64 s0, s[8:9], s[16:17]
	s_and_b32 vcc_lo, exec_lo, s0
	s_cbranch_vccnz .LBB192_2
; %bb.1:
	s_mov_b32 s0, s17
	s_load_dwordx2 s[2:3], s[4:5], 0x30
	v_mov_b32_e32 v2, 0
	s_andn2_b32 vcc_lo, exec_lo, s0
	s_cbranch_vccz .LBB192_3
	s_branch .LBB192_9
.LBB192_2:
	s_load_dwordx2 s[2:3], s[4:5], 0x30
	v_mov_b32_e32 v2, 0
.LBB192_3:
	s_clause 0x3
	s_load_dword s0, s[4:5], 0x4c
	s_load_dword s1, s[4:5], 0x44
	s_load_dwordx4 s[12:15], s[4:5], 0x10
	s_load_dwordx2 s[18:19], s[4:5], 0x28
	v_lshlrev_b32_e32 v4, 3, v1
	v_mov_b32_e32 v3, 0
	v_lshl_add_u32 v2, s6, 6, v0
	v_mov_b32_e32 v8, 8
	v_mov_b32_e32 v9, 4
	v_add_co_u32 v4, s4, v4, s16
	v_add_co_ci_u32_e64 v5, null, 0, 0, s4
	v_lshlrev_b64 v[15:16], 1, v[2:3]
	v_mul_lo_u32 v17, s11, v4
	v_mov_b32_e32 v10, 12
	v_mul_lo_u32 v18, s10, v5
	v_mov_b32_e32 v11, 16
	v_mov_b32_e32 v12, 20
	;; [unrolled: 1-line block ×3, first 2 shown]
	s_waitcnt lgkmcnt(0)
	s_and_b32 s0, s0, 0xffff
	s_lshl_b32 s4, s1, 6
	v_mad_u32_u24 v6, v1, s0, v0
	s_mul_i32 s1, s11, s4
	s_mul_hi_u32 s7, s10, s4
	v_mov_b32_e32 v14, 28
	v_mov_b32_e32 v2, 0
	v_and_b32_e32 v21, 31, v6
	v_mad_u64_u32 v[6:7], null, s10, v4, 0
	s_mov_b32 s5, 0
	s_add_i32 s21, s7, s1
	v_add_co_u32 v4, vcc_lo, v4, v21
	v_add_co_ci_u32_e64 v5, null, 0, v5, vcc_lo
	v_add3_u32 v7, v7, v18, v17
	v_cmp_gt_u32_e64 s0, 8, v21
	s_mul_i32 s20, s10, s4
	v_lshlrev_b64 v[17:18], 2, v[4:5]
	s_lshl_b64 s[20:21], s[20:21], 1
	v_lshlrev_b64 v[19:20], 1, v[6:7]
	s_lshl_b64 s[10:11], s[10:11], 1
	v_add_co_u32 v6, vcc_lo, s18, v17
	v_add_co_ci_u32_e64 v7, null, s19, v18, vcc_lo
	v_add_co_u32 v15, vcc_lo, v19, v15
	v_add_co_ci_u32_e64 v16, null, v20, v16, vcc_lo
	s_lshl_b64 s[18:19], s[4:5], 2
	s_branch .LBB192_6
.LBB192_4:                              ;   in Loop: Header=BB192_6 Depth=1
	s_or_b32 exec_lo, exec_lo, s5
.LBB192_5:                              ;   in Loop: Header=BB192_6 Depth=1
	s_or_b32 exec_lo, exec_lo, s1
	v_add_co_u32 v18, vcc_lo, s12, v15
	v_add_co_ci_u32_e64 v19, null, s13, v16, vcc_lo
	v_add_co_u32 v20, vcc_lo, s14, v15
	v_add_co_ci_u32_e64 v21, null, s15, v16, vcc_lo
	global_load_ushort v28, v[18:19], off
	v_add_co_u32 v18, vcc_lo, v18, s10
	v_add_co_ci_u32_e64 v19, null, s11, v19, vcc_lo
	v_add_co_u32 v22, vcc_lo, v20, s10
	v_add_co_ci_u32_e64 v23, null, s11, v21, vcc_lo
	;; [unrolled: 2-line block ×4, first 2 shown]
	global_load_ushort v29, v[20:21], off
	global_load_ushort v30, v[18:19], off
	;; [unrolled: 1-line block ×5, first 2 shown]
	v_add_co_u32 v18, vcc_lo, v24, s10
	v_add_co_ci_u32_e64 v19, null, s11, v25, vcc_lo
	v_add_co_u32 v20, vcc_lo, v26, s10
	v_add_co_ci_u32_e64 v21, null, s11, v27, vcc_lo
	global_load_ushort v34, v[18:19], off
	v_add_co_u32 v18, vcc_lo, v18, s10
	v_add_co_ci_u32_e64 v19, null, s11, v19, vcc_lo
	v_add_co_u32 v22, vcc_lo, v20, s10
	v_add_co_ci_u32_e64 v23, null, s11, v21, vcc_lo
	;; [unrolled: 2-line block ×4, first 2 shown]
	global_load_ushort v35, v[20:21], off
	global_load_ushort v36, v[18:19], off
	;; [unrolled: 1-line block ×5, first 2 shown]
	v_add_co_u32 v18, vcc_lo, v26, s10
	v_add_co_ci_u32_e64 v19, null, s11, v27, vcc_lo
	v_add_co_u32 v20, vcc_lo, v24, s10
	v_add_co_ci_u32_e64 v21, null, s11, v25, vcc_lo
	global_load_ushort v24, v[18:19], off
	v_add_co_u32 v18, vcc_lo, v18, s10
	v_add_co_ci_u32_e64 v19, null, s11, v19, vcc_lo
	v_add_co_u32 v22, vcc_lo, v20, s10
	v_add_co_ci_u32_e64 v23, null, s11, v21, vcc_lo
	global_load_ushort v20, v[20:21], off
	global_load_ushort v18, v[18:19], off
	;; [unrolled: 1-line block ×3, first 2 shown]
	s_waitcnt vmcnt(16)
	ds_bpermute_b32 v21, v3, v17
	ds_bpermute_b32 v22, v9, v17
	ds_bpermute_b32 v26, v8, v17
	s_add_u32 s16, s16, s4
	v_add_co_u32 v6, vcc_lo, v6, s18
	s_addc_u32 s17, s17, 0
	v_add_co_ci_u32_e64 v7, null, s19, v7, vcc_lo
	v_add_co_u32 v4, vcc_lo, v4, s4
	v_cmp_lt_i64_e64 s1, s[16:17], s[8:9]
	v_add_co_ci_u32_e64 v5, null, 0, v5, vcc_lo
	v_add_co_u32 v15, vcc_lo, v15, s20
	v_add_co_ci_u32_e64 v16, null, s21, v16, vcc_lo
	s_and_b32 vcc_lo, exec_lo, s1
	s_waitcnt vmcnt(15)
	v_lshlrev_b32_e32 v25, 16, v28
	ds_bpermute_b32 v28, v10, v17
	s_waitcnt vmcnt(14)
	v_lshlrev_b32_e32 v23, 16, v29
	s_waitcnt vmcnt(12)
	v_lshlrev_b32_e32 v27, 16, v31
	;; [unrolled: 2-line block ×3, first 2 shown]
	v_mul_f32_e32 v23, v25, v23
	v_lshlrev_b32_e32 v25, 16, v30
	s_waitcnt lgkmcnt(3)
	v_fmac_f32_e32 v2, v23, v21
	v_mul_f32_e32 v21, v25, v27
	v_lshlrev_b32_e32 v23, 16, v32
	ds_bpermute_b32 v25, v11, v17
	ds_bpermute_b32 v27, v12, v17
	s_waitcnt lgkmcnt(4)
	v_fmac_f32_e32 v2, v21, v22
	v_mul_f32_e32 v21, v23, v29
	s_waitcnt vmcnt(9)
	v_lshlrev_b32_e32 v22, 16, v34
	ds_bpermute_b32 v23, v13, v17
	ds_bpermute_b32 v17, v14, v17
	s_waitcnt lgkmcnt(5)
	v_fmac_f32_e32 v2, v21, v26
	s_waitcnt vmcnt(8)
	v_lshlrev_b32_e32 v30, 16, v35
	s_waitcnt vmcnt(6)
	v_lshlrev_b32_e32 v29, 16, v37
	;; [unrolled: 2-line block ×3, first 2 shown]
	v_mul_f32_e32 v21, v22, v30
	v_lshlrev_b32_e32 v22, 16, v36
	v_lshlrev_b32_e32 v30, 16, v38
	s_waitcnt lgkmcnt(4)
	v_fmac_f32_e32 v2, v21, v28
	v_mul_f32_e32 v21, v22, v29
	s_waitcnt vmcnt(3)
	v_lshlrev_b32_e32 v22, 16, v24
	s_waitcnt lgkmcnt(3)
	v_fmac_f32_e32 v2, v21, v25
	v_mul_f32_e32 v21, v30, v26
	s_waitcnt vmcnt(2)
	v_lshlrev_b32_e32 v20, 16, v20
	s_waitcnt vmcnt(1)
	v_lshlrev_b32_e32 v18, 16, v18
	;; [unrolled: 2-line block ×3, first 2 shown]
	s_waitcnt lgkmcnt(2)
	v_fmac_f32_e32 v2, v21, v27
	v_mul_f32_e32 v20, v20, v22
	v_mul_f32_e32 v18, v19, v18
	s_waitcnt lgkmcnt(1)
	v_fmac_f32_e32 v2, v20, v23
	s_waitcnt lgkmcnt(0)
	v_fmac_f32_e32 v2, v18, v17
	s_cbranch_vccz .LBB192_9
.LBB192_6:                              ; =>This Inner Loop Header: Depth=1
	v_mov_b32_e32 v17, 0
	s_and_saveexec_b32 s1, s0
	s_cbranch_execz .LBB192_5
; %bb.7:                                ;   in Loop: Header=BB192_6 Depth=1
	v_mov_b32_e32 v17, 0
	s_mov_b32 s5, exec_lo
	v_cmpx_gt_i64_e64 s[8:9], v[4:5]
	s_cbranch_execz .LBB192_4
; %bb.8:                                ;   in Loop: Header=BB192_6 Depth=1
	global_load_dword v17, v[6:7], off
	s_branch .LBB192_4
.LBB192_9:
	v_mad_u32_u24 v3, 0x41, v1, v0
	s_mov_b32 s0, exec_lo
	v_lshl_add_u32 v4, v3, 2, 0
	v_sub_nc_u32_e32 v3, v3, v1
	v_mov_b32_e32 v1, 0
	ds_write_b32 v4, v2
	ds_write_b32 v4, v1 offset:2080
	s_waitcnt lgkmcnt(0)
	s_barrier
	buffer_gl0_inv
	v_cmpx_gt_u32_e32 0x800, v3
	s_cbranch_execz .LBB192_29
; %bb.10:
	v_and_b32_e32 v2, 31, v0
	v_lshrrev_b32_e32 v1, 5, v3
                                        ; implicit-def: $vgpr6
	v_cmp_gt_u32_e64 s0, 8, v2
	v_mul_u32_u24_e32 v2, 0x41, v2
	s_and_saveexec_b32 s1, s0
	s_cbranch_execz .LBB192_12
; %bb.11:
	v_lshlrev_b32_e32 v4, 2, v1
	v_lshlrev_b32_e32 v5, 2, v2
	v_add3_u32 v4, 0, v4, v5
	ds_read_b32 v6, v4
.LBB192_12:
	s_or_b32 exec_lo, exec_lo, s1
	v_mbcnt_lo_u32_b32 v7, -1, 0
	s_cmp_lg_u64 s[2:3], 0
	s_mov_b32 s7, 0
	s_cselect_b32 s1, -1, 0
	s_lshl_b64 s[4:5], s[6:7], 7
	v_xor_b32_e32 v4, 4, v7
	v_xor_b32_e32 v5, 2, v7
	;; [unrolled: 1-line block ×3, first 2 shown]
	v_cmp_gt_i32_e32 vcc_lo, 32, v4
	v_cndmask_b32_e32 v4, v7, v4, vcc_lo
	v_cmp_gt_i32_e32 vcc_lo, 32, v5
	v_lshlrev_b32_e32 v4, 2, v4
	v_cndmask_b32_e32 v5, v7, v5, vcc_lo
	v_cmp_gt_i32_e32 vcc_lo, 32, v9
	s_waitcnt lgkmcnt(0)
	ds_bpermute_b32 v8, v4, v6
	v_lshlrev_b32_e32 v5, 2, v5
	v_cndmask_b32_e32 v7, v7, v9, vcc_lo
	v_cmp_eq_u32_e32 vcc_lo, 0, v0
	s_and_b32 s1, vcc_lo, s1
	s_add_u32 s2, s2, s4
	s_addc_u32 s3, s3, s5
	s_waitcnt lgkmcnt(0)
	v_add_f32_e32 v6, v6, v8
	ds_bpermute_b32 v8, v5, v6
	s_waitcnt lgkmcnt(0)
	v_add_f32_e32 v8, v6, v8
	v_lshlrev_b32_e32 v6, 2, v7
	ds_bpermute_b32 v7, v6, v8
	s_waitcnt lgkmcnt(0)
	v_add_f32_e32 v0, v8, v7
	s_and_saveexec_b32 s4, s1
	s_cbranch_execz .LBB192_14
; %bb.13:
	v_bfe_u32 v7, v0, 16, 1
	v_cmp_o_f32_e32 vcc_lo, v0, v0
	v_mov_b32_e32 v8, 0x7fc0
	v_add3_u32 v7, v0, v7, 0x7fff
	v_cndmask_b32_sdwa v7, v8, v7, vcc_lo dst_sel:DWORD dst_unused:UNUSED_PAD src0_sel:DWORD src1_sel:WORD_1
	v_lshlrev_b32_e32 v8, 1, v1
	global_store_short v8, v7, s[2:3]
.LBB192_14:
	s_or_b32 exec_lo, exec_lo, s4
	v_cmp_gt_u32_e32 vcc_lo, 0x600, v3
	s_and_b32 exec_lo, exec_lo, vcc_lo
	s_cbranch_execz .LBB192_29
; %bb.15:
	s_and_saveexec_b32 s4, s0
	s_cbranch_execz .LBB192_17
; %bb.16:
	v_lshlrev_b32_e32 v0, 2, v1
	v_lshlrev_b32_e32 v7, 2, v2
	v_add3_u32 v0, 0, v0, v7
	ds_read_b32 v0, v0 offset:64
.LBB192_17:
	s_or_b32 exec_lo, exec_lo, s4
	s_waitcnt lgkmcnt(0)
	ds_bpermute_b32 v7, v4, v0
	s_waitcnt lgkmcnt(0)
	v_add_f32_e32 v0, v0, v7
	ds_bpermute_b32 v7, v5, v0
	s_waitcnt lgkmcnt(0)
	v_add_f32_e32 v0, v0, v7
	;; [unrolled: 3-line block ×3, first 2 shown]
	s_and_saveexec_b32 s4, s1
	s_cbranch_execz .LBB192_19
; %bb.18:
	v_bfe_u32 v7, v0, 16, 1
	v_cmp_o_f32_e32 vcc_lo, v0, v0
	v_mov_b32_e32 v8, 0x7fc0
	v_add3_u32 v7, v0, v7, 0x7fff
	v_cndmask_b32_sdwa v7, v8, v7, vcc_lo dst_sel:DWORD dst_unused:UNUSED_PAD src0_sel:DWORD src1_sel:WORD_1
	v_lshlrev_b32_e32 v8, 1, v1
	global_store_short v8, v7, s[2:3] offset:32
.LBB192_19:
	s_or_b32 exec_lo, exec_lo, s4
	v_cmp_gt_u32_e32 vcc_lo, 0x400, v3
	s_and_b32 exec_lo, exec_lo, vcc_lo
	s_cbranch_execz .LBB192_29
; %bb.20:
	s_and_saveexec_b32 s4, s0
	s_cbranch_execz .LBB192_22
; %bb.21:
	v_lshlrev_b32_e32 v0, 2, v1
	v_lshlrev_b32_e32 v7, 2, v2
	v_add3_u32 v0, 0, v0, v7
	ds_read_b32 v0, v0 offset:128
.LBB192_22:
	s_or_b32 exec_lo, exec_lo, s4
	s_waitcnt lgkmcnt(0)
	ds_bpermute_b32 v7, v4, v0
	s_waitcnt lgkmcnt(0)
	v_add_f32_e32 v0, v0, v7
	ds_bpermute_b32 v7, v5, v0
	s_waitcnt lgkmcnt(0)
	v_add_f32_e32 v0, v0, v7
	;; [unrolled: 3-line block ×3, first 2 shown]
	s_and_saveexec_b32 s4, s1
	s_cbranch_execz .LBB192_24
; %bb.23:
	v_bfe_u32 v7, v0, 16, 1
	v_cmp_o_f32_e32 vcc_lo, v0, v0
	v_mov_b32_e32 v8, 0x7fc0
	v_add3_u32 v7, v0, v7, 0x7fff
	v_cndmask_b32_sdwa v7, v8, v7, vcc_lo dst_sel:DWORD dst_unused:UNUSED_PAD src0_sel:DWORD src1_sel:WORD_1
	v_lshlrev_b32_e32 v8, 1, v1
	global_store_short v8, v7, s[2:3] offset:64
.LBB192_24:
	s_or_b32 exec_lo, exec_lo, s4
	v_cmp_gt_u32_e32 vcc_lo, 0x200, v3
	s_and_b32 exec_lo, exec_lo, vcc_lo
	s_cbranch_execz .LBB192_29
; %bb.25:
	s_and_saveexec_b32 s4, s0
	s_cbranch_execz .LBB192_27
; %bb.26:
	v_lshlrev_b32_e32 v0, 2, v1
	v_lshlrev_b32_e32 v2, 2, v2
	v_add3_u32 v0, 0, v0, v2
	ds_read_b32 v0, v0 offset:192
.LBB192_27:
	s_or_b32 exec_lo, exec_lo, s4
	s_waitcnt lgkmcnt(0)
	ds_bpermute_b32 v2, v4, v0
	s_waitcnt lgkmcnt(0)
	v_add_f32_e32 v0, v0, v2
	ds_bpermute_b32 v2, v5, v0
	s_waitcnt lgkmcnt(0)
	v_add_f32_e32 v0, v0, v2
	ds_bpermute_b32 v2, v6, v0
	s_and_saveexec_b32 s0, s1
	s_xor_b32 s0, exec_lo, s0
	s_cbranch_execz .LBB192_29
; %bb.28:
	s_waitcnt lgkmcnt(0)
	v_add_f32_e32 v0, v0, v2
	v_mov_b32_e32 v3, 0x7fc0
	v_lshlrev_b32_e32 v1, 1, v1
	v_bfe_u32 v2, v0, 16, 1
	v_cmp_o_f32_e32 vcc_lo, v0, v0
	v_add3_u32 v0, v0, v2, 0x7fff
	v_cndmask_b32_sdwa v0, v3, v0, vcc_lo dst_sel:DWORD dst_unused:UNUSED_PAD src0_sel:DWORD src1_sel:WORD_1
	global_store_short v1, v0, s[2:3] offset:96
.LBB192_29:
	s_endpgm
	.section	.rodata,"a",@progbits
	.p2align	6, 0x0
	.amdhsa_kernel _ZN2at6native12_GLOBAL__N_135GammaBetaBackwardCUDAKernelTemplateIN3c108BFloat16EfLj64ELj8ELj64ELb0ELb1ELb1EEEvllPKT_S7_PKT0_SA_PS5_SB_
		.amdhsa_group_segment_fixed_size 0
		.amdhsa_private_segment_fixed_size 0
		.amdhsa_kernarg_size 320
		.amdhsa_user_sgpr_count 6
		.amdhsa_user_sgpr_private_segment_buffer 1
		.amdhsa_user_sgpr_dispatch_ptr 0
		.amdhsa_user_sgpr_queue_ptr 0
		.amdhsa_user_sgpr_kernarg_segment_ptr 1
		.amdhsa_user_sgpr_dispatch_id 0
		.amdhsa_user_sgpr_flat_scratch_init 0
		.amdhsa_user_sgpr_private_segment_size 0
		.amdhsa_wavefront_size32 1
		.amdhsa_uses_dynamic_stack 0
		.amdhsa_system_sgpr_private_segment_wavefront_offset 0
		.amdhsa_system_sgpr_workgroup_id_x 1
		.amdhsa_system_sgpr_workgroup_id_y 1
		.amdhsa_system_sgpr_workgroup_id_z 0
		.amdhsa_system_sgpr_workgroup_info 0
		.amdhsa_system_vgpr_workitem_id 1
		.amdhsa_next_free_vgpr 40
		.amdhsa_next_free_sgpr 22
		.amdhsa_reserve_vcc 1
		.amdhsa_reserve_flat_scratch 0
		.amdhsa_float_round_mode_32 0
		.amdhsa_float_round_mode_16_64 0
		.amdhsa_float_denorm_mode_32 3
		.amdhsa_float_denorm_mode_16_64 3
		.amdhsa_dx10_clamp 1
		.amdhsa_ieee_mode 1
		.amdhsa_fp16_overflow 0
		.amdhsa_workgroup_processor_mode 1
		.amdhsa_memory_ordered 1
		.amdhsa_forward_progress 1
		.amdhsa_shared_vgpr_count 0
		.amdhsa_exception_fp_ieee_invalid_op 0
		.amdhsa_exception_fp_denorm_src 0
		.amdhsa_exception_fp_ieee_div_zero 0
		.amdhsa_exception_fp_ieee_overflow 0
		.amdhsa_exception_fp_ieee_underflow 0
		.amdhsa_exception_fp_ieee_inexact 0
		.amdhsa_exception_int_div_zero 0
	.end_amdhsa_kernel
	.section	.text._ZN2at6native12_GLOBAL__N_135GammaBetaBackwardCUDAKernelTemplateIN3c108BFloat16EfLj64ELj8ELj64ELb0ELb1ELb1EEEvllPKT_S7_PKT0_SA_PS5_SB_,"axG",@progbits,_ZN2at6native12_GLOBAL__N_135GammaBetaBackwardCUDAKernelTemplateIN3c108BFloat16EfLj64ELj8ELj64ELb0ELb1ELb1EEEvllPKT_S7_PKT0_SA_PS5_SB_,comdat
.Lfunc_end192:
	.size	_ZN2at6native12_GLOBAL__N_135GammaBetaBackwardCUDAKernelTemplateIN3c108BFloat16EfLj64ELj8ELj64ELb0ELb1ELb1EEEvllPKT_S7_PKT0_SA_PS5_SB_, .Lfunc_end192-_ZN2at6native12_GLOBAL__N_135GammaBetaBackwardCUDAKernelTemplateIN3c108BFloat16EfLj64ELj8ELj64ELb0ELb1ELb1EEEvllPKT_S7_PKT0_SA_PS5_SB_
                                        ; -- End function
	.set _ZN2at6native12_GLOBAL__N_135GammaBetaBackwardCUDAKernelTemplateIN3c108BFloat16EfLj64ELj8ELj64ELb0ELb1ELb1EEEvllPKT_S7_PKT0_SA_PS5_SB_.num_vgpr, 40
	.set _ZN2at6native12_GLOBAL__N_135GammaBetaBackwardCUDAKernelTemplateIN3c108BFloat16EfLj64ELj8ELj64ELb0ELb1ELb1EEEvllPKT_S7_PKT0_SA_PS5_SB_.num_agpr, 0
	.set _ZN2at6native12_GLOBAL__N_135GammaBetaBackwardCUDAKernelTemplateIN3c108BFloat16EfLj64ELj8ELj64ELb0ELb1ELb1EEEvllPKT_S7_PKT0_SA_PS5_SB_.numbered_sgpr, 22
	.set _ZN2at6native12_GLOBAL__N_135GammaBetaBackwardCUDAKernelTemplateIN3c108BFloat16EfLj64ELj8ELj64ELb0ELb1ELb1EEEvllPKT_S7_PKT0_SA_PS5_SB_.num_named_barrier, 0
	.set _ZN2at6native12_GLOBAL__N_135GammaBetaBackwardCUDAKernelTemplateIN3c108BFloat16EfLj64ELj8ELj64ELb0ELb1ELb1EEEvllPKT_S7_PKT0_SA_PS5_SB_.private_seg_size, 0
	.set _ZN2at6native12_GLOBAL__N_135GammaBetaBackwardCUDAKernelTemplateIN3c108BFloat16EfLj64ELj8ELj64ELb0ELb1ELb1EEEvllPKT_S7_PKT0_SA_PS5_SB_.uses_vcc, 1
	.set _ZN2at6native12_GLOBAL__N_135GammaBetaBackwardCUDAKernelTemplateIN3c108BFloat16EfLj64ELj8ELj64ELb0ELb1ELb1EEEvllPKT_S7_PKT0_SA_PS5_SB_.uses_flat_scratch, 0
	.set _ZN2at6native12_GLOBAL__N_135GammaBetaBackwardCUDAKernelTemplateIN3c108BFloat16EfLj64ELj8ELj64ELb0ELb1ELb1EEEvllPKT_S7_PKT0_SA_PS5_SB_.has_dyn_sized_stack, 0
	.set _ZN2at6native12_GLOBAL__N_135GammaBetaBackwardCUDAKernelTemplateIN3c108BFloat16EfLj64ELj8ELj64ELb0ELb1ELb1EEEvllPKT_S7_PKT0_SA_PS5_SB_.has_recursion, 0
	.set _ZN2at6native12_GLOBAL__N_135GammaBetaBackwardCUDAKernelTemplateIN3c108BFloat16EfLj64ELj8ELj64ELb0ELb1ELb1EEEvllPKT_S7_PKT0_SA_PS5_SB_.has_indirect_call, 0
	.section	.AMDGPU.csdata,"",@progbits
; Kernel info:
; codeLenInByte = 1984
; TotalNumSgprs: 24
; NumVgprs: 40
; ScratchSize: 0
; MemoryBound: 0
; FloatMode: 240
; IeeeMode: 1
; LDSByteSize: 0 bytes/workgroup (compile time only)
; SGPRBlocks: 0
; VGPRBlocks: 4
; NumSGPRsForWavesPerEU: 24
; NumVGPRsForWavesPerEU: 40
; Occupancy: 16
; WaveLimiterHint : 0
; COMPUTE_PGM_RSRC2:SCRATCH_EN: 0
; COMPUTE_PGM_RSRC2:USER_SGPR: 6
; COMPUTE_PGM_RSRC2:TRAP_HANDLER: 0
; COMPUTE_PGM_RSRC2:TGID_X_EN: 1
; COMPUTE_PGM_RSRC2:TGID_Y_EN: 1
; COMPUTE_PGM_RSRC2:TGID_Z_EN: 0
; COMPUTE_PGM_RSRC2:TIDIG_COMP_CNT: 1
	.section	.text._ZN2at6native12_GLOBAL__N_135GammaBetaBackwardCUDAKernelTemplateIN3c108BFloat16EfLj64ELj8ELj64ELb0ELb0ELb1EEEvllPKT_S7_PKT0_SA_PS5_SB_,"axG",@progbits,_ZN2at6native12_GLOBAL__N_135GammaBetaBackwardCUDAKernelTemplateIN3c108BFloat16EfLj64ELj8ELj64ELb0ELb0ELb1EEEvllPKT_S7_PKT0_SA_PS5_SB_,comdat
	.globl	_ZN2at6native12_GLOBAL__N_135GammaBetaBackwardCUDAKernelTemplateIN3c108BFloat16EfLj64ELj8ELj64ELb0ELb0ELb1EEEvllPKT_S7_PKT0_SA_PS5_SB_ ; -- Begin function _ZN2at6native12_GLOBAL__N_135GammaBetaBackwardCUDAKernelTemplateIN3c108BFloat16EfLj64ELj8ELj64ELb0ELb0ELb1EEEvllPKT_S7_PKT0_SA_PS5_SB_
	.p2align	8
	.type	_ZN2at6native12_GLOBAL__N_135GammaBetaBackwardCUDAKernelTemplateIN3c108BFloat16EfLj64ELj8ELj64ELb0ELb0ELb1EEEvllPKT_S7_PKT0_SA_PS5_SB_,@function
_ZN2at6native12_GLOBAL__N_135GammaBetaBackwardCUDAKernelTemplateIN3c108BFloat16EfLj64ELj8ELj64ELb0ELb0ELb1EEEvllPKT_S7_PKT0_SA_PS5_SB_: ; @_ZN2at6native12_GLOBAL__N_135GammaBetaBackwardCUDAKernelTemplateIN3c108BFloat16EfLj64ELj8ELj64ELb0ELb0ELb1EEEvllPKT_S7_PKT0_SA_PS5_SB_
; %bb.0:
	s_clause 0x1
	s_load_dwordx8 s[8:15], s[4:5], 0x0
	s_load_dwordx2 s[2:3], s[4:5], 0x28
	s_lshl_b32 s26, s6, 6
	s_mov_b32 s17, 0
	s_or_b32 s16, s26, 63
	s_waitcnt lgkmcnt(0)
	v_cmp_le_i64_e64 s0, s[10:11], s[16:17]
	s_lshl_b32 s16, s7, 6
	v_cmp_gt_i64_e64 s7, s[8:9], s[16:17]
	s_and_b32 vcc_lo, exec_lo, s0
	v_cndmask_b32_e64 v2, 0, 1, s7
	v_cmp_ne_u32_e64 s0, 1, v2
	s_cbranch_vccz .LBB193_49
; %bb.1:
	v_mov_b32_e32 v85, 0
	s_and_b32 vcc_lo, exec_lo, s0
	s_cbranch_vccnz .LBB193_50
; %bb.2:
	v_lshlrev_b32_e32 v21, 3, v1
	v_mov_b32_e32 v2, 0
	v_add_nc_u32_e32 v5, s26, v0
	s_load_dword s1, s[4:5], 0x44
	s_add_u32 s18, s4, 64
	v_add_co_u32 v11, s0, v21, s16
	v_add_co_ci_u32_e64 v12, null, 0, 0, s0
	v_mov_b32_e32 v6, v2
	v_mul_lo_u32 v7, s11, v11
	v_mad_u64_u32 v[3:4], null, s10, v11, 0
	v_mul_lo_u32 v8, s10, v12
	v_cmp_gt_i64_e64 s0, s[10:11], v[5:6]
	v_lshlrev_b64 v[19:20], 1, v[5:6]
	s_addc_u32 s19, s5, 0
	v_mov_b32_e32 v54, 0
	s_mov_b64 s[24:25], s[16:17]
	v_add3_u32 v4, v4, v8, v7
	v_add_co_u32 v7, vcc_lo, v11, 7
	v_add_co_ci_u32_e64 v8, null, 0, v12, vcc_lo
	v_lshlrev_b64 v[5:6], 1, v[3:4]
	v_mul_lo_u32 v13, s11, v7
	s_waitcnt lgkmcnt(0)
	s_lshl_b32 s27, s1, 6
	v_mul_lo_u32 v14, s10, v8
	v_mad_u64_u32 v[7:8], null, s10, v7, 0
	v_add_co_u32 v22, vcc_lo, s12, v5
	v_add_co_ci_u32_e64 v23, null, s13, v6, vcc_lo
	v_add_co_u32 v9, vcc_lo, v11, 6
	v_add_co_ci_u32_e64 v10, null, 0, v12, vcc_lo
	v_add_co_u32 v24, vcc_lo, s14, v5
	v_mul_lo_u32 v15, s11, v9
	v_mul_lo_u32 v16, s10, v10
	v_mad_u64_u32 v[9:10], null, s10, v9, 0
	v_add3_u32 v8, v8, v14, v13
	v_add_co_ci_u32_e64 v25, null, s15, v6, vcc_lo
	v_add_co_u32 v13, vcc_lo, v11, 5
	v_add_co_ci_u32_e64 v14, null, 0, v12, vcc_lo
	v_add3_u32 v10, v10, v16, v15
	v_lshlrev_b64 v[5:6], 1, v[7:8]
	v_mul_lo_u32 v15, s11, v13
	v_mul_lo_u32 v14, s10, v14
	s_mul_i32 s1, s11, s27
	v_lshlrev_b64 v[7:8], 1, v[9:10]
	v_mad_u64_u32 v[9:10], null, s10, v13, 0
	v_add_co_u32 v26, vcc_lo, s12, v5
	v_add_co_ci_u32_e64 v27, null, s13, v6, vcc_lo
	v_add_co_u32 v28, vcc_lo, s14, v5
	v_add_co_ci_u32_e64 v29, null, s15, v6, vcc_lo
	v_add_co_u32 v30, vcc_lo, s12, v7
	v_add3_u32 v10, v10, v14, v15
	s_mul_hi_u32 s20, s10, s27
	v_add_co_ci_u32_e64 v31, null, s13, v8, vcc_lo
	v_add_co_u32 v13, vcc_lo, v11, 4
	s_add_i32 s21, s20, s1
	v_add_co_u32 v32, s1, s14, v7
	v_add_co_ci_u32_e64 v7, null, 0, v12, vcc_lo
	v_lshlrev_b64 v[5:6], 1, v[9:10]
	v_add_co_u32 v9, vcc_lo, v11, 3
	v_add_co_ci_u32_e64 v10, null, 0, v12, vcc_lo
	v_add_co_ci_u32_e64 v33, null, s15, v8, s1
	v_mul_lo_u32 v14, s11, v13
	v_mul_lo_u32 v15, s10, v7
	v_mad_u64_u32 v[7:8], null, s10, v13, 0
	v_mul_lo_u32 v13, s11, v9
	v_mul_lo_u32 v16, s10, v10
	v_mad_u64_u32 v[9:10], null, s10, v9, 0
	v_add_co_u32 v34, vcc_lo, s12, v5
	v_add_co_ci_u32_e64 v35, null, s13, v6, vcc_lo
	v_add3_u32 v8, v8, v15, v14
	v_add_co_u32 v36, vcc_lo, s14, v5
	v_add_co_ci_u32_e64 v37, null, s15, v6, vcc_lo
	v_add_co_u32 v11, vcc_lo, v11, 2
	v_add3_u32 v10, v10, v16, v13
	v_add_co_ci_u32_e64 v12, null, 0, v12, vcc_lo
	v_lshlrev_b64 v[5:6], 1, v[7:8]
	v_mul_lo_u32 v13, s11, v11
	v_lshlrev_b64 v[7:8], 1, v[9:10]
	v_mul_lo_u32 v12, s10, v12
	v_mad_u64_u32 v[9:10], null, s10, v11, 0
	v_add_co_u32 v38, vcc_lo, s12, v5
	v_add_co_ci_u32_e64 v39, null, s13, v6, vcc_lo
	v_add_co_u32 v40, vcc_lo, s14, v5
	v_add_co_ci_u32_e64 v41, null, s15, v6, vcc_lo
	;; [unrolled: 2-line block ×3, first 2 shown]
	v_add3_u32 v10, v10, v12, v13
	v_add_co_u32 v44, vcc_lo, s14, v7
	v_add_co_ci_u32_e64 v45, null, s15, v8, vcc_lo
	v_add_co_u32 v3, vcc_lo, v3, s10
	v_add_co_ci_u32_e64 v4, null, s11, v4, vcc_lo
	v_lshlrev_b64 v[5:6], 1, v[9:10]
	s_mul_i32 s20, s10, s27
	v_lshlrev_b64 v[3:4], 1, v[3:4]
	s_lshl_b64 s[20:21], s[20:21], 1
	s_add_u32 s22, s16, 63
	v_add_co_u32 v46, vcc_lo, s12, v5
	v_add_co_ci_u32_e64 v47, null, s13, v6, vcc_lo
	v_add_co_u32 v48, vcc_lo, s14, v5
	v_add_co_ci_u32_e64 v49, null, s15, v6, vcc_lo
	;; [unrolled: 2-line block ×4, first 2 shown]
	s_addc_u32 s23, 0, 0
.LBB193_3:                              ; =>This Inner Loop Header: Depth=1
	v_cmp_ge_i64_e64 s1, s[22:23], s[8:9]
	v_add_co_u32 v55, s28, v21, s22
	v_add_co_ci_u32_e64 v56, null, 0, s23, s28
                                        ; implicit-def: $vgpr3_vgpr4_vgpr5_vgpr6_vgpr7_vgpr8_vgpr9_vgpr10
                                        ; implicit-def: $vgpr85
                                        ; implicit-def: $vgpr11_vgpr12_vgpr13_vgpr14_vgpr15_vgpr16_vgpr17_vgpr18
                                        ; implicit-def: $vgpr3
	s_and_b32 vcc_lo, exec_lo, s1
	s_mov_b32 s1, -1
	s_cbranch_vccz .LBB193_25
; %bb.4:                                ;   in Loop: Header=BB193_3 Depth=1
	s_load_dword s1, s[18:19], 0xc
	v_mov_b32_e32 v57, 0
	s_waitcnt lgkmcnt(0)
	s_and_b32 s1, s1, 0xffff
	v_mad_u32_u24 v3, v1, s1, v0
	s_mov_b32 s1, exec_lo
	v_and_b32_e32 v3, 31, v3
	v_cmpx_gt_u32_e32 8, v3
	s_cbranch_execz .LBB193_8
; %bb.5:                                ;   in Loop: Header=BB193_3 Depth=1
	v_add_co_u32 v3, vcc_lo, v55, v3
	v_add_co_ci_u32_e64 v4, null, 0, v56, vcc_lo
	v_mov_b32_e32 v57, 0
	v_add_co_u32 v3, vcc_lo, 0xffffffc1, v3
	v_add_co_ci_u32_e64 v4, null, -1, v4, vcc_lo
	s_mov_b32 s28, exec_lo
	v_cmpx_gt_i64_e64 s[8:9], v[3:4]
	s_cbranch_execz .LBB193_7
; %bb.6:                                ;   in Loop: Header=BB193_3 Depth=1
	v_lshlrev_b64 v[3:4], 2, v[3:4]
	v_add_co_u32 v3, vcc_lo, s2, v3
	v_add_co_ci_u32_e64 v4, null, s3, v4, vcc_lo
	global_load_dword v57, v[3:4], off
.LBB193_7:                              ;   in Loop: Header=BB193_3 Depth=1
	s_or_b32 exec_lo, exec_lo, s28
.LBB193_8:                              ;   in Loop: Header=BB193_3 Depth=1
	s_or_b32 exec_lo, exec_lo, s1
	v_add_co_u32 v10, vcc_lo, 0xffffffc1, v55
	v_add_co_ci_u32_e64 v11, null, -1, v56, vcc_lo
	v_mov_b32_e32 v9, v2
	v_mov_b32_e32 v3, v2
	;; [unrolled: 1-line block ×7, first 2 shown]
	v_cmp_gt_i64_e32 vcc_lo, s[8:9], v[10:11]
	v_mov_b32_e32 v18, v9
	v_mov_b32_e32 v15, v6
	;; [unrolled: 1-line block ×16, first 2 shown]
	s_and_b32 s28, s0, vcc_lo
	s_and_saveexec_b32 s1, s28
	s_cbranch_execz .LBB193_10
; %bb.9:                                ;   in Loop: Header=BB193_3 Depth=1
	v_add_co_u32 v3, vcc_lo, v22, v19
	v_add_co_ci_u32_e64 v4, null, v23, v20, vcc_lo
	v_add_co_u32 v5, vcc_lo, v24, v19
	v_add_co_ci_u32_e64 v6, null, v25, v20, vcc_lo
	global_load_ushort v3, v[3:4], off
	global_load_ushort v11, v[5:6], off
	v_mov_b32_e32 v4, v2
	v_mov_b32_e32 v5, v2
	;; [unrolled: 1-line block ×14, first 2 shown]
	s_waitcnt vmcnt(1)
	v_lshlrev_b32_e32 v3, 16, v3
	s_waitcnt vmcnt(0)
	v_lshlrev_b32_e32 v11, 16, v11
.LBB193_10:                             ;   in Loop: Header=BB193_3 Depth=1
	s_or_b32 exec_lo, exec_lo, s1
	v_add_co_u32 v58, vcc_lo, 0xffffffc2, v55
	v_add_co_ci_u32_e64 v59, null, -1, v56, vcc_lo
	v_cmp_gt_i64_e32 vcc_lo, s[8:9], v[58:59]
	s_and_b32 s28, s0, vcc_lo
	s_and_saveexec_b32 s1, s28
	s_cbranch_execz .LBB193_12
; %bb.11:                               ;   in Loop: Header=BB193_3 Depth=1
	v_add_co_u32 v58, vcc_lo, v50, v19
	v_add_co_ci_u32_e64 v59, null, v51, v20, vcc_lo
	v_add_co_u32 v60, vcc_lo, v52, v19
	v_add_co_ci_u32_e64 v61, null, v53, v20, vcc_lo
	global_load_ushort v4, v[58:59], off
	global_load_ushort v12, v[60:61], off
	s_waitcnt vmcnt(1)
	v_lshlrev_b32_e32 v4, 16, v4
	s_waitcnt vmcnt(0)
	v_lshlrev_b32_e32 v12, 16, v12
.LBB193_12:                             ;   in Loop: Header=BB193_3 Depth=1
	s_or_b32 exec_lo, exec_lo, s1
	v_add_co_u32 v58, vcc_lo, 0xffffffc3, v55
	v_add_co_ci_u32_e64 v59, null, -1, v56, vcc_lo
	v_cmp_gt_i64_e32 vcc_lo, s[8:9], v[58:59]
	s_and_b32 s28, s0, vcc_lo
	s_and_saveexec_b32 s1, s28
	s_cbranch_execz .LBB193_14
; %bb.13:                               ;   in Loop: Header=BB193_3 Depth=1
	v_add_co_u32 v58, vcc_lo, v46, v19
	v_add_co_ci_u32_e64 v59, null, v47, v20, vcc_lo
	v_add_co_u32 v60, vcc_lo, v48, v19
	v_add_co_ci_u32_e64 v61, null, v49, v20, vcc_lo
	global_load_ushort v5, v[58:59], off
	global_load_ushort v13, v[60:61], off
	s_waitcnt vmcnt(1)
	v_lshlrev_b32_e32 v5, 16, v5
	s_waitcnt vmcnt(0)
	v_lshlrev_b32_e32 v13, 16, v13
.LBB193_14:                             ;   in Loop: Header=BB193_3 Depth=1
	;; [unrolled: 19-line block ×7, first 2 shown]
	s_or_b32 exec_lo, exec_lo, s1
	s_waitcnt vmcnt(0)
	ds_bpermute_b32 v58, v2, v57
	ds_bpermute_b32 v59, v2, v57 offset:4
	ds_bpermute_b32 v60, v2, v57 offset:8
	v_mul_f32_e32 v3, v11, v3
	ds_bpermute_b32 v11, v2, v57 offset:12
	v_mul_f32_e32 v4, v12, v4
	;; [unrolled: 2-line block ×3, first 2 shown]
	s_mov_b32 s1, 0
	s_waitcnt lgkmcnt(4)
	v_fma_f32 v85, v3, v58, v54
	v_mul_f32_e32 v3, v13, v5
	ds_bpermute_b32 v5, v2, v57 offset:20
	s_waitcnt lgkmcnt(4)
	v_fmac_f32_e32 v85, v4, v59
	v_mul_f32_e32 v4, v14, v6
	ds_bpermute_b32 v6, v2, v57 offset:24
	s_waitcnt lgkmcnt(4)
	v_fmac_f32_e32 v85, v3, v60
	ds_bpermute_b32 v3, v2, v57 offset:28
	s_waitcnt lgkmcnt(4)
	v_fmac_f32_e32 v85, v4, v11
	v_mul_f32_e32 v4, v16, v8
	s_waitcnt lgkmcnt(3)
	v_fmac_f32_e32 v85, v7, v12
	s_waitcnt lgkmcnt(2)
	v_fmac_f32_e32 v85, v4, v5
	v_mul_f32_e32 v4, v17, v9
	s_waitcnt lgkmcnt(1)
	v_fmac_f32_e32 v85, v4, v6
.LBB193_25:                             ;   in Loop: Header=BB193_3 Depth=1
	s_and_b32 vcc_lo, exec_lo, s1
	s_cbranch_vccz .LBB193_40
; %bb.26:                               ;   in Loop: Header=BB193_3 Depth=1
	s_load_dword s1, s[18:19], 0x0
	v_mov_b32_e32 v57, 0
	s_waitcnt lgkmcnt(0)
	s_cmp_lt_u32 s6, s1
	s_cselect_b32 s1, 12, 18
	s_add_u32 s28, s18, s1
	s_addc_u32 s29, s19, 0
	s_mov_b32 s1, exec_lo
	global_load_ushort v3, v2, s[28:29]
	s_waitcnt vmcnt(0)
	v_mad_u32_u24 v3, v1, v3, v0
	v_and_b32_e32 v3, 31, v3
	v_cmpx_gt_u32_e32 8, v3
	s_cbranch_execz .LBB193_30
; %bb.27:                               ;   in Loop: Header=BB193_3 Depth=1
	v_add_co_u32 v3, vcc_lo, v55, v3
	v_add_co_ci_u32_e64 v4, null, 0, v56, vcc_lo
	v_mov_b32_e32 v57, 0
	v_add_co_u32 v3, vcc_lo, 0xffffffc1, v3
	v_add_co_ci_u32_e64 v4, null, -1, v4, vcc_lo
	s_mov_b32 s28, exec_lo
	v_cmpx_gt_i64_e64 s[8:9], v[3:4]
	s_cbranch_execz .LBB193_29
; %bb.28:                               ;   in Loop: Header=BB193_3 Depth=1
	v_lshlrev_b64 v[3:4], 2, v[3:4]
	v_add_co_u32 v3, vcc_lo, s2, v3
	v_add_co_ci_u32_e64 v4, null, s3, v4, vcc_lo
	global_load_dword v57, v[3:4], off
.LBB193_29:                             ;   in Loop: Header=BB193_3 Depth=1
	s_or_b32 exec_lo, exec_lo, s28
.LBB193_30:                             ;   in Loop: Header=BB193_3 Depth=1
	s_or_b32 exec_lo, exec_lo, s1
	v_mov_b32_e32 v9, v2
	v_mov_b32_e32 v3, v2
	;; [unrolled: 1-line block ×23, first 2 shown]
	s_and_saveexec_b32 s1, s0
	s_cbranch_execnz .LBB193_42
; %bb.31:                               ;   in Loop: Header=BB193_3 Depth=1
	s_or_b32 exec_lo, exec_lo, s1
	s_and_saveexec_b32 s1, s0
	s_cbranch_execnz .LBB193_43
.LBB193_32:                             ;   in Loop: Header=BB193_3 Depth=1
	s_or_b32 exec_lo, exec_lo, s1
	s_and_saveexec_b32 s1, s0
	s_cbranch_execnz .LBB193_44
.LBB193_33:                             ;   in Loop: Header=BB193_3 Depth=1
	s_or_b32 exec_lo, exec_lo, s1
	s_and_saveexec_b32 s1, s0
	s_cbranch_execnz .LBB193_45
.LBB193_34:                             ;   in Loop: Header=BB193_3 Depth=1
	s_or_b32 exec_lo, exec_lo, s1
	s_and_saveexec_b32 s1, s0
	s_cbranch_execnz .LBB193_46
.LBB193_35:                             ;   in Loop: Header=BB193_3 Depth=1
	s_or_b32 exec_lo, exec_lo, s1
	s_and_saveexec_b32 s1, s0
	s_cbranch_execnz .LBB193_47
.LBB193_36:                             ;   in Loop: Header=BB193_3 Depth=1
	s_or_b32 exec_lo, exec_lo, s1
	s_and_saveexec_b32 s1, s0
	s_cbranch_execnz .LBB193_48
.LBB193_37:                             ;   in Loop: Header=BB193_3 Depth=1
	s_or_b32 exec_lo, exec_lo, s1
	s_and_saveexec_b32 s1, s0
	s_cbranch_execz .LBB193_39
.LBB193_38:                             ;   in Loop: Header=BB193_3 Depth=1
	v_add_co_u32 v55, vcc_lo, v26, v19
	v_add_co_ci_u32_e64 v56, null, v27, v20, vcc_lo
	v_add_co_u32 v58, vcc_lo, v28, v19
	v_add_co_ci_u32_e64 v59, null, v29, v20, vcc_lo
	global_load_ushort v10, v[55:56], off
	global_load_ushort v18, v[58:59], off
	s_waitcnt vmcnt(1)
	v_lshlrev_b32_e32 v10, 16, v10
	s_waitcnt vmcnt(0)
	v_lshlrev_b32_e32 v18, 16, v18
.LBB193_39:                             ;   in Loop: Header=BB193_3 Depth=1
	s_or_b32 exec_lo, exec_lo, s1
	s_waitcnt vmcnt(0)
	ds_bpermute_b32 v55, v2, v57
	ds_bpermute_b32 v56, v2, v57 offset:4
	ds_bpermute_b32 v58, v2, v57 offset:8
	v_mul_f32_e32 v3, v11, v3
	ds_bpermute_b32 v11, v2, v57 offset:12
	v_mul_f32_e32 v4, v12, v4
	ds_bpermute_b32 v12, v2, v57 offset:16
	s_waitcnt lgkmcnt(4)
	v_fmac_f32_e32 v54, v3, v55
	v_mul_f32_e32 v3, v13, v5
	ds_bpermute_b32 v5, v2, v57 offset:20
	s_waitcnt lgkmcnt(4)
	v_fmac_f32_e32 v54, v4, v56
	;; [unrolled: 4-line block ×3, first 2 shown]
	v_mul_f32_e32 v3, v15, v7
	s_waitcnt lgkmcnt(3)
	v_fmac_f32_e32 v54, v4, v11
	v_mul_f32_e32 v4, v16, v8
	s_waitcnt lgkmcnt(2)
	v_fmac_f32_e32 v54, v3, v12
	ds_bpermute_b32 v3, v2, v57 offset:28
	s_waitcnt lgkmcnt(2)
	v_fmac_f32_e32 v54, v4, v5
	v_mul_f32_e32 v4, v17, v9
	s_waitcnt lgkmcnt(1)
	v_fmac_f32_e32 v54, v4, v6
	v_mov_b32_e32 v85, v54
.LBB193_40:                             ;   in Loop: Header=BB193_3 Depth=1
	v_add_co_u32 v22, vcc_lo, v22, s20
	v_add_co_ci_u32_e64 v23, null, s21, v23, vcc_lo
	v_add_co_u32 v24, vcc_lo, v24, s20
	v_add_co_ci_u32_e64 v25, null, s21, v25, vcc_lo
	;; [unrolled: 2-line block ×12, first 2 shown]
	v_add_co_u32 v46, vcc_lo, v46, s20
	s_add_u32 s24, s24, s27
	v_add_co_ci_u32_e64 v47, null, s21, v47, vcc_lo
	v_add_co_u32 v48, vcc_lo, v48, s20
	v_mul_f32_e32 v4, v10, v18
	s_addc_u32 s25, s25, 0
	v_add_co_ci_u32_e64 v49, null, s21, v49, vcc_lo
	v_add_co_u32 v50, vcc_lo, v50, s20
	v_cmp_lt_i64_e64 s1, s[24:25], s[8:9]
	v_add_co_ci_u32_e64 v51, null, s21, v51, vcc_lo
	v_add_co_u32 v52, vcc_lo, v52, s20
	s_waitcnt lgkmcnt(0)
	v_fmac_f32_e32 v85, v4, v3
	v_add_co_ci_u32_e64 v53, null, s21, v53, vcc_lo
	s_add_u32 s22, s22, s27
	s_addc_u32 s23, s23, 0
	s_and_b32 vcc_lo, exec_lo, s1
	s_cbranch_vccz .LBB193_50
; %bb.41:                               ;   in Loop: Header=BB193_3 Depth=1
	v_mov_b32_e32 v54, v85
	s_branch .LBB193_3
.LBB193_42:                             ;   in Loop: Header=BB193_3 Depth=1
	v_add_co_u32 v3, vcc_lo, v22, v19
	v_add_co_ci_u32_e64 v4, null, v23, v20, vcc_lo
	v_add_co_u32 v5, vcc_lo, v24, v19
	v_add_co_ci_u32_e64 v6, null, v25, v20, vcc_lo
	global_load_ushort v3, v[3:4], off
	global_load_ushort v11, v[5:6], off
	v_mov_b32_e32 v4, v2
	v_mov_b32_e32 v5, v2
	;; [unrolled: 1-line block ×14, first 2 shown]
	s_waitcnt vmcnt(1)
	v_lshlrev_b32_e32 v3, 16, v3
	s_waitcnt vmcnt(0)
	v_lshlrev_b32_e32 v11, 16, v11
	s_or_b32 exec_lo, exec_lo, s1
	s_and_saveexec_b32 s1, s0
	s_cbranch_execz .LBB193_32
.LBB193_43:                             ;   in Loop: Header=BB193_3 Depth=1
	v_add_co_u32 v55, vcc_lo, v50, v19
	v_add_co_ci_u32_e64 v56, null, v51, v20, vcc_lo
	v_add_co_u32 v58, vcc_lo, v52, v19
	v_add_co_ci_u32_e64 v59, null, v53, v20, vcc_lo
	global_load_ushort v4, v[55:56], off
	global_load_ushort v12, v[58:59], off
	s_waitcnt vmcnt(1)
	v_lshlrev_b32_e32 v4, 16, v4
	s_waitcnt vmcnt(0)
	v_lshlrev_b32_e32 v12, 16, v12
	s_or_b32 exec_lo, exec_lo, s1
	s_and_saveexec_b32 s1, s0
	s_cbranch_execz .LBB193_33
.LBB193_44:                             ;   in Loop: Header=BB193_3 Depth=1
	v_add_co_u32 v55, vcc_lo, v46, v19
	v_add_co_ci_u32_e64 v56, null, v47, v20, vcc_lo
	v_add_co_u32 v58, vcc_lo, v48, v19
	v_add_co_ci_u32_e64 v59, null, v49, v20, vcc_lo
	global_load_ushort v5, v[55:56], off
	global_load_ushort v13, v[58:59], off
	s_waitcnt vmcnt(1)
	v_lshlrev_b32_e32 v5, 16, v5
	s_waitcnt vmcnt(0)
	v_lshlrev_b32_e32 v13, 16, v13
	s_or_b32 exec_lo, exec_lo, s1
	s_and_saveexec_b32 s1, s0
	s_cbranch_execz .LBB193_34
.LBB193_45:                             ;   in Loop: Header=BB193_3 Depth=1
	v_add_co_u32 v55, vcc_lo, v42, v19
	v_add_co_ci_u32_e64 v56, null, v43, v20, vcc_lo
	v_add_co_u32 v58, vcc_lo, v44, v19
	v_add_co_ci_u32_e64 v59, null, v45, v20, vcc_lo
	global_load_ushort v6, v[55:56], off
	global_load_ushort v14, v[58:59], off
	s_waitcnt vmcnt(1)
	v_lshlrev_b32_e32 v6, 16, v6
	s_waitcnt vmcnt(0)
	v_lshlrev_b32_e32 v14, 16, v14
	s_or_b32 exec_lo, exec_lo, s1
	s_and_saveexec_b32 s1, s0
	s_cbranch_execz .LBB193_35
.LBB193_46:                             ;   in Loop: Header=BB193_3 Depth=1
	v_add_co_u32 v55, vcc_lo, v38, v19
	v_add_co_ci_u32_e64 v56, null, v39, v20, vcc_lo
	v_add_co_u32 v58, vcc_lo, v40, v19
	v_add_co_ci_u32_e64 v59, null, v41, v20, vcc_lo
	global_load_ushort v7, v[55:56], off
	global_load_ushort v15, v[58:59], off
	s_waitcnt vmcnt(1)
	v_lshlrev_b32_e32 v7, 16, v7
	s_waitcnt vmcnt(0)
	v_lshlrev_b32_e32 v15, 16, v15
	s_or_b32 exec_lo, exec_lo, s1
	s_and_saveexec_b32 s1, s0
	s_cbranch_execz .LBB193_36
.LBB193_47:                             ;   in Loop: Header=BB193_3 Depth=1
	v_add_co_u32 v55, vcc_lo, v34, v19
	v_add_co_ci_u32_e64 v56, null, v35, v20, vcc_lo
	v_add_co_u32 v58, vcc_lo, v36, v19
	v_add_co_ci_u32_e64 v59, null, v37, v20, vcc_lo
	global_load_ushort v8, v[55:56], off
	global_load_ushort v16, v[58:59], off
	s_waitcnt vmcnt(1)
	v_lshlrev_b32_e32 v8, 16, v8
	s_waitcnt vmcnt(0)
	v_lshlrev_b32_e32 v16, 16, v16
	s_or_b32 exec_lo, exec_lo, s1
	s_and_saveexec_b32 s1, s0
	s_cbranch_execz .LBB193_37
.LBB193_48:                             ;   in Loop: Header=BB193_3 Depth=1
	v_add_co_u32 v55, vcc_lo, v30, v19
	v_add_co_ci_u32_e64 v56, null, v31, v20, vcc_lo
	v_add_co_u32 v58, vcc_lo, v32, v19
	v_add_co_ci_u32_e64 v59, null, v33, v20, vcc_lo
	global_load_ushort v9, v[55:56], off
	global_load_ushort v17, v[58:59], off
	s_waitcnt vmcnt(1)
	v_lshlrev_b32_e32 v9, 16, v9
	s_waitcnt vmcnt(0)
	v_lshlrev_b32_e32 v17, 16, v17
	s_or_b32 exec_lo, exec_lo, s1
	s_and_saveexec_b32 s1, s0
	s_cbranch_execnz .LBB193_38
	s_branch .LBB193_39
.LBB193_49:
                                        ; implicit-def: $vgpr85
	s_branch .LBB193_51
.LBB193_50:
	s_cbranch_execnz .LBB193_83
.LBB193_51:
	v_mov_b32_e32 v85, 0
	s_andn2_b32 vcc_lo, exec_lo, s7
	s_cbranch_vccnz .LBB193_83
; %bb.52:
	s_load_dword s7, s[4:5], 0x44
	v_lshlrev_b32_e32 v49, 3, v1
	v_lshlrev_b32_e32 v6, 4, v1
	v_mov_b32_e32 v82, 0
	v_add_co_u32 v10, s0, v49, s16
	v_add_co_ci_u32_e64 v11, null, 0, 0, s0
	s_add_u32 s0, s4, 64
	v_mul_lo_u32 v4, s11, v10
	v_mad_u64_u32 v[2:3], null, s10, v10, 0
	v_mul_lo_u32 v5, s10, v11
	s_addc_u32 s1, s5, 0
	s_waitcnt lgkmcnt(0)
	s_lshl_b32 s7, s7, 6
	v_add3_u32 v3, v3, v5, v4
	s_mul_i32 s19, s11, s7
	s_mul_hi_u32 s20, s10, s7
	s_mul_i32 s18, s10, s7
	s_add_i32 s19, s20, s19
	v_lshlrev_b64 v[4:5], 1, v[2:3]
	s_lshl_b64 s[18:19], s[18:19], 1
	s_add_u32 s20, s16, 63
	s_addc_u32 s21, 0, 0
	s_lshl_b64 s[22:23], s[16:17], 1
	v_add_co_u32 v6, s22, v6, s22
	v_add_co_ci_u32_e64 v7, null, 0, s23, s22
	v_add_co_u32 v8, vcc_lo, v6, 2
	v_add_co_ci_u32_e64 v9, null, 0, v7, vcc_lo
	v_add_co_u32 v50, vcc_lo, s12, v4
	v_add_co_ci_u32_e64 v51, null, s13, v5, vcc_lo
	;; [unrolled: 2-line block ×6, first 2 shown]
	v_add_co_u32 v41, vcc_lo, v6, 10
	v_mad_u64_u32 v[21:22], null, s10, v4, s[12:13]
	v_mul_lo_u32 v5, s10, v5
	v_mul_lo_u32 v15, s11, v4
	v_mad_u64_u32 v[35:36], null, s10, v4, s[14:15]
	v_add_co_ci_u32_e64 v29, null, 0, v7, vcc_lo
	v_add_co_u32 v43, vcc_lo, v6, 12
	v_add_co_ci_u32_e64 v31, null, 0, v7, vcc_lo
	v_add_co_u32 v6, vcc_lo, v6, 14
	v_mad_u64_u32 v[19:20], null, s10, v8, s[12:13]
	v_mul_lo_u32 v9, s10, v9
	v_mul_lo_u32 v12, s11, v8
	v_mad_u64_u32 v[33:34], null, s10, v8, s[14:15]
	v_add_co_ci_u32_e64 v7, null, 0, v7, vcc_lo
	v_add_co_u32 v4, vcc_lo, v10, 7
	v_add3_u32 v22, v15, v22, v5
	v_add3_u32 v36, v15, v36, v5
	v_add_co_ci_u32_e64 v5, null, 0, v11, vcc_lo
	v_mul_lo_u32 v57, s10, v7
	v_add_co_u32 v7, vcc_lo, v10, 6
	v_add3_u32 v20, v12, v20, v9
	v_add3_u32 v34, v12, v34, v9
	v_add_co_ci_u32_e64 v12, null, 0, v11, vcc_lo
	v_mul_lo_u32 v8, s11, v4
	v_mul_lo_u32 v9, s10, v5
	v_mad_u64_u32 v[4:5], null, s10, v4, 0
	v_mad_u64_u32 v[23:24], null, s10, v13, s[12:13]
	v_mul_lo_u32 v17, s11, v13
	v_mul_lo_u32 v55, s10, v31
	v_mad_u64_u32 v[31:32], null, s10, v6, s[12:13]
	v_mul_lo_u32 v58, s11, v6
	v_mad_u64_u32 v[37:38], null, s10, v13, s[14:15]
	v_mad_u64_u32 v[45:46], null, s10, v6, s[14:15]
	v_mul_lo_u32 v13, s11, v7
	v_mul_lo_u32 v12, s10, v12
	v_mad_u64_u32 v[6:7], null, s10, v7, 0
	v_add3_u32 v5, v5, v9, v8
	v_add_co_u32 v8, vcc_lo, v10, 5
	v_mad_u64_u32 v[27:28], null, s10, v41, s[12:13]
	v_mul_lo_u32 v48, s10, v29
	v_mul_lo_u32 v54, s11, v41
	v_mad_u64_u32 v[41:42], null, s10, v41, s[14:15]
	v_add3_u32 v7, v7, v12, v13
	v_add_co_ci_u32_e64 v9, null, 0, v11, vcc_lo
	v_mad_u64_u32 v[29:30], null, s10, v43, s[12:13]
	v_mul_lo_u32 v56, s11, v43
	v_mad_u64_u32 v[43:44], null, s10, v43, s[14:15]
	v_lshlrev_b64 v[4:5], 1, v[4:5]
	v_lshlrev_b64 v[6:7], 1, v[6:7]
	v_mul_lo_u32 v12, s11, v8
	v_mul_lo_u32 v13, s10, v9
	v_mad_u64_u32 v[8:9], null, s10, v8, 0
	v_add3_u32 v28, v54, v28, v48
	v_add3_u32 v42, v54, v42, v48
	v_add_co_u32 v54, vcc_lo, s12, v4
	v_add3_u32 v30, v56, v30, v55
	v_add3_u32 v44, v56, v44, v55
	v_add_co_ci_u32_e64 v55, null, s13, v5, vcc_lo
	v_add_co_u32 v56, vcc_lo, s14, v4
	v_add3_u32 v32, v58, v32, v57
	v_add3_u32 v46, v58, v46, v57
	v_add_co_ci_u32_e64 v57, null, s15, v5, vcc_lo
	v_add_co_u32 v58, vcc_lo, s12, v6
	v_add_co_ci_u32_e64 v59, null, s13, v7, vcc_lo
	v_add3_u32 v9, v9, v13, v12
	v_add_co_u32 v12, vcc_lo, v10, 4
	v_add_co_ci_u32_e64 v13, null, 0, v11, vcc_lo
	v_add_co_u32 v60, vcc_lo, s14, v6
	v_add_co_ci_u32_e64 v61, null, s15, v7, vcc_lo
	v_lshlrev_b64 v[4:5], 1, v[8:9]
	v_mul_lo_u32 v8, s11, v12
	v_mul_lo_u32 v9, s10, v13
	v_mad_u64_u32 v[6:7], null, s10, v12, 0
	v_mul_lo_u32 v14, s10, v14
	v_add_co_u32 v12, vcc_lo, v10, 3
	v_add_co_ci_u32_e64 v13, null, 0, v11, vcc_lo
	v_add_co_u32 v62, vcc_lo, s12, v4
	v_add_co_ci_u32_e64 v63, null, s13, v5, vcc_lo
	v_add3_u32 v7, v7, v9, v8
	v_add_co_u32 v10, vcc_lo, v10, 2
	v_add3_u32 v24, v17, v24, v14
	v_add3_u32 v38, v17, v38, v14
	v_mul_lo_u32 v14, s11, v12
	v_mul_lo_u32 v13, s10, v13
	v_mad_u64_u32 v[8:9], null, s10, v12, 0
	v_add_co_ci_u32_e64 v11, null, 0, v11, vcc_lo
	v_add_co_u32 v64, vcc_lo, s14, v4
	v_add_co_ci_u32_e64 v65, null, s15, v5, vcc_lo
	v_lshlrev_b64 v[4:5], 1, v[6:7]
	v_mul_lo_u32 v12, s11, v10
	v_mul_lo_u32 v11, s10, v11
	v_mad_u64_u32 v[6:7], null, s10, v10, 0
	v_add3_u32 v9, v9, v13, v14
	v_add_co_u32 v66, vcc_lo, s12, v4
	v_add_co_ci_u32_e64 v67, null, s13, v5, vcc_lo
	v_add_co_u32 v68, vcc_lo, s14, v4
	v_add_co_ci_u32_e64 v69, null, s15, v5, vcc_lo
	v_lshlrev_b64 v[4:5], 1, v[8:9]
	v_add3_u32 v7, v7, v11, v12
	v_add_co_u32 v2, vcc_lo, v2, s10
	v_add_co_ci_u32_e64 v3, null, s11, v3, vcc_lo
	v_lshlrev_b64 v[6:7], 1, v[6:7]
	v_add_co_u32 v70, vcc_lo, s12, v4
	v_add_co_ci_u32_e64 v71, null, s13, v5, vcc_lo
	v_add_co_u32 v72, vcc_lo, s14, v4
	v_lshlrev_b64 v[3:4], 1, v[2:3]
	v_mov_b32_e32 v2, 0
	v_mad_u64_u32 v[25:26], null, s10, v16, s[12:13]
	v_mul_lo_u32 v18, s10, v18
	v_mul_lo_u32 v47, s11, v16
	v_mad_u64_u32 v[39:40], null, s10, v16, s[14:15]
	v_add_co_ci_u32_e64 v73, null, s15, v5, vcc_lo
	v_add_co_u32 v74, vcc_lo, s12, v6
	v_add_co_ci_u32_e64 v75, null, s13, v7, vcc_lo
	v_add_co_u32 v76, vcc_lo, s14, v6
	v_add_nc_u32_e32 v5, s26, v0
	v_mov_b32_e32 v6, v2
	v_add_co_ci_u32_e64 v77, null, s15, v7, vcc_lo
	v_add_co_u32 v78, vcc_lo, s12, v3
	v_add_co_ci_u32_e64 v79, null, s13, v4, vcc_lo
	v_add_co_u32 v80, vcc_lo, s14, v3
	v_add3_u32 v26, v47, v26, v18
	v_add3_u32 v40, v47, v40, v18
	v_lshlrev_b64 v[47:48], 1, v[5:6]
	v_add_co_ci_u32_e64 v81, null, s15, v4, vcc_lo
.LBB193_53:                             ; =>This Inner Loop Header: Depth=1
	v_cmp_ge_i64_e64 s12, s[20:21], s[8:9]
	v_add_co_u32 v83, s13, v49, s20
	v_add_co_ci_u32_e64 v84, null, 0, s21, s13
                                        ; implicit-def: $vgpr85
	s_and_b32 vcc_lo, exec_lo, s12
	s_mov_b32 s12, -1
	s_cbranch_vccz .LBB193_75
; %bb.54:                               ;   in Loop: Header=BB193_53 Depth=1
	s_load_dword s12, s[0:1], 0xc
	v_mov_b32_e32 v86, 0
	s_waitcnt lgkmcnt(0)
	s_and_b32 s12, s12, 0xffff
	v_mad_u32_u24 v3, v1, s12, v0
	s_mov_b32 s12, exec_lo
	v_and_b32_e32 v3, 31, v3
	v_cmpx_gt_u32_e32 8, v3
	s_cbranch_execz .LBB193_58
; %bb.55:                               ;   in Loop: Header=BB193_53 Depth=1
	v_add_co_u32 v3, vcc_lo, v83, v3
	v_add_co_ci_u32_e64 v4, null, 0, v84, vcc_lo
	v_mov_b32_e32 v86, 0
	v_add_co_u32 v3, vcc_lo, 0xffffffc1, v3
	v_add_co_ci_u32_e64 v4, null, -1, v4, vcc_lo
	s_mov_b32 s13, exec_lo
	v_cmpx_gt_i64_e64 s[8:9], v[3:4]
	s_cbranch_execz .LBB193_57
; %bb.56:                               ;   in Loop: Header=BB193_53 Depth=1
	v_lshlrev_b64 v[3:4], 2, v[3:4]
	v_add_co_u32 v3, vcc_lo, s2, v3
	v_add_co_ci_u32_e64 v4, null, s3, v4, vcc_lo
	global_load_dword v86, v[3:4], off
.LBB193_57:                             ;   in Loop: Header=BB193_53 Depth=1
	s_or_b32 exec_lo, exec_lo, s13
.LBB193_58:                             ;   in Loop: Header=BB193_53 Depth=1
	s_or_b32 exec_lo, exec_lo, s12
	v_add_co_u32 v10, vcc_lo, 0xffffffc1, v83
	v_add_co_ci_u32_e64 v11, null, -1, v84, vcc_lo
	v_mov_b32_e32 v9, v2
	v_mov_b32_e32 v3, v2
	;; [unrolled: 1-line block ×7, first 2 shown]
	v_cmp_gt_i64_e32 vcc_lo, s[8:9], v[10:11]
	v_mov_b32_e32 v18, v9
	v_mov_b32_e32 v15, v6
	;; [unrolled: 1-line block ×16, first 2 shown]
	s_and_saveexec_b32 s12, vcc_lo
	s_cbranch_execz .LBB193_60
; %bb.59:                               ;   in Loop: Header=BB193_53 Depth=1
	v_add_co_u32 v3, vcc_lo, v50, v47
	v_add_co_ci_u32_e64 v4, null, v51, v48, vcc_lo
	v_add_co_u32 v5, vcc_lo, v52, v47
	v_add_co_ci_u32_e64 v6, null, v53, v48, vcc_lo
	global_load_ushort v3, v[3:4], off
	global_load_ushort v11, v[5:6], off
	v_mov_b32_e32 v4, v2
	v_mov_b32_e32 v5, v2
	;; [unrolled: 1-line block ×14, first 2 shown]
	s_waitcnt vmcnt(1)
	v_lshlrev_b32_e32 v3, 16, v3
	s_waitcnt vmcnt(0)
	v_lshlrev_b32_e32 v11, 16, v11
.LBB193_60:                             ;   in Loop: Header=BB193_53 Depth=1
	s_or_b32 exec_lo, exec_lo, s12
	v_add_co_u32 v87, vcc_lo, 0xffffffc2, v83
	v_add_co_ci_u32_e64 v88, null, -1, v84, vcc_lo
	s_mov_b32 s12, exec_lo
	v_cmpx_gt_i64_e64 s[8:9], v[87:88]
	s_cbranch_execz .LBB193_62
; %bb.61:                               ;   in Loop: Header=BB193_53 Depth=1
	v_add_co_u32 v87, vcc_lo, v78, v47
	v_add_co_ci_u32_e64 v88, null, v79, v48, vcc_lo
	v_add_co_u32 v89, vcc_lo, v80, v47
	v_add_co_ci_u32_e64 v90, null, v81, v48, vcc_lo
	global_load_ushort v4, v[87:88], off
	global_load_ushort v12, v[89:90], off
	s_waitcnt vmcnt(1)
	v_lshlrev_b32_e32 v4, 16, v4
	s_waitcnt vmcnt(0)
	v_lshlrev_b32_e32 v12, 16, v12
.LBB193_62:                             ;   in Loop: Header=BB193_53 Depth=1
	s_or_b32 exec_lo, exec_lo, s12
	v_add_co_u32 v87, vcc_lo, 0xffffffc3, v83
	v_add_co_ci_u32_e64 v88, null, -1, v84, vcc_lo
	s_mov_b32 s12, exec_lo
	v_cmpx_gt_i64_e64 s[8:9], v[87:88]
	s_cbranch_execz .LBB193_64
; %bb.63:                               ;   in Loop: Header=BB193_53 Depth=1
	v_add_co_u32 v87, vcc_lo, v74, v47
	v_add_co_ci_u32_e64 v88, null, v75, v48, vcc_lo
	v_add_co_u32 v89, vcc_lo, v76, v47
	v_add_co_ci_u32_e64 v90, null, v77, v48, vcc_lo
	global_load_ushort v5, v[87:88], off
	global_load_ushort v13, v[89:90], off
	s_waitcnt vmcnt(1)
	v_lshlrev_b32_e32 v5, 16, v5
	s_waitcnt vmcnt(0)
	v_lshlrev_b32_e32 v13, 16, v13
.LBB193_64:                             ;   in Loop: Header=BB193_53 Depth=1
	;; [unrolled: 18-line block ×7, first 2 shown]
	s_or_b32 exec_lo, exec_lo, s12
	s_waitcnt vmcnt(0)
	ds_bpermute_b32 v85, v2, v86
	ds_bpermute_b32 v87, v2, v86 offset:4
	ds_bpermute_b32 v88, v2, v86 offset:8
	v_mul_f32_e32 v3, v11, v3
	ds_bpermute_b32 v11, v2, v86 offset:12
	v_mul_f32_e32 v4, v12, v4
	ds_bpermute_b32 v12, v2, v86 offset:16
	s_mov_b32 s12, 0
	s_waitcnt lgkmcnt(4)
	v_fma_f32 v85, v3, v85, v82
	v_mul_f32_e32 v3, v13, v5
	ds_bpermute_b32 v5, v2, v86 offset:20
	s_waitcnt lgkmcnt(4)
	v_fmac_f32_e32 v85, v4, v87
	v_mul_f32_e32 v4, v14, v6
	ds_bpermute_b32 v6, v2, v86 offset:24
	s_waitcnt lgkmcnt(4)
	v_fmac_f32_e32 v85, v3, v88
	v_mul_f32_e32 v3, v15, v7
	v_mul_f32_e32 v7, v16, v8
	s_waitcnt lgkmcnt(3)
	v_fmac_f32_e32 v85, v4, v11
	ds_bpermute_b32 v4, v2, v86 offset:28
	s_waitcnt lgkmcnt(3)
	v_fmac_f32_e32 v85, v3, v12
	v_mul_f32_e32 v3, v17, v9
	s_waitcnt lgkmcnt(2)
	v_fmac_f32_e32 v85, v7, v5
	s_waitcnt lgkmcnt(1)
	v_fmac_f32_e32 v85, v3, v6
	v_mul_f32_e32 v3, v18, v10
	s_waitcnt lgkmcnt(0)
	v_fmac_f32_e32 v85, v3, v4
.LBB193_75:                             ;   in Loop: Header=BB193_53 Depth=1
	s_and_b32 vcc_lo, exec_lo, s12
	s_cbranch_vccz .LBB193_81
; %bb.76:                               ;   in Loop: Header=BB193_53 Depth=1
	s_load_dword s12, s[0:1], 0x0
	v_mov_b32_e32 v5, 0
	s_waitcnt lgkmcnt(0)
	s_cmp_lt_u32 s6, s12
	s_cselect_b32 s12, 12, 18
	s_add_u32 s12, s0, s12
	s_addc_u32 s13, s1, 0
	global_load_ushort v3, v2, s[12:13]
	s_mov_b32 s12, exec_lo
	s_waitcnt vmcnt(0)
	v_mad_u32_u24 v3, v1, v3, v0
	v_and_b32_e32 v3, 31, v3
	v_cmpx_gt_u32_e32 8, v3
	s_cbranch_execz .LBB193_80
; %bb.77:                               ;   in Loop: Header=BB193_53 Depth=1
	v_add_co_u32 v3, vcc_lo, v83, v3
	v_add_co_ci_u32_e64 v4, null, 0, v84, vcc_lo
	v_mov_b32_e32 v5, 0
	v_add_co_u32 v3, vcc_lo, 0xffffffc1, v3
	v_add_co_ci_u32_e64 v4, null, -1, v4, vcc_lo
	s_mov_b32 s13, exec_lo
	v_cmpx_gt_i64_e64 s[8:9], v[3:4]
	s_cbranch_execz .LBB193_79
; %bb.78:                               ;   in Loop: Header=BB193_53 Depth=1
	v_lshlrev_b64 v[3:4], 2, v[3:4]
	v_add_co_u32 v3, vcc_lo, s2, v3
	v_add_co_ci_u32_e64 v4, null, s3, v4, vcc_lo
	global_load_dword v5, v[3:4], off
.LBB193_79:                             ;   in Loop: Header=BB193_53 Depth=1
	s_or_b32 exec_lo, exec_lo, s13
.LBB193_80:                             ;   in Loop: Header=BB193_53 Depth=1
	s_or_b32 exec_lo, exec_lo, s12
	v_add_co_u32 v3, vcc_lo, v50, v47
	v_add_co_ci_u32_e64 v4, null, v51, v48, vcc_lo
	v_add_co_u32 v6, vcc_lo, v52, v47
	v_add_co_ci_u32_e64 v7, null, v53, v48, vcc_lo
	v_add_co_u32 v8, vcc_lo, v19, v47
	v_add_co_ci_u32_e64 v9, null, v20, v48, vcc_lo
	v_add_co_u32 v10, vcc_lo, v33, v47
	v_add_co_ci_u32_e64 v11, null, v34, v48, vcc_lo
	global_load_ushort v14, v[3:4], off
	global_load_ushort v15, v[6:7], off
	;; [unrolled: 1-line block ×4, first 2 shown]
	v_add_co_u32 v3, vcc_lo, v21, v47
	v_add_co_ci_u32_e64 v4, null, v22, v48, vcc_lo
	v_add_co_u32 v6, vcc_lo, v35, v47
	v_add_co_ci_u32_e64 v7, null, v36, v48, vcc_lo
	global_load_ushort v18, v[3:4], off
	v_add_co_u32 v3, vcc_lo, v23, v47
	v_add_co_ci_u32_e64 v4, null, v24, v48, vcc_lo
	v_add_co_u32 v8, vcc_lo, v37, v47
	v_add_co_ci_u32_e64 v9, null, v38, v48, vcc_lo
	;; [unrolled: 2-line block ×4, first 2 shown]
	global_load_ushort v83, v[6:7], off
	global_load_ushort v84, v[3:4], off
	;; [unrolled: 1-line block ×5, first 2 shown]
	v_add_co_u32 v3, vcc_lo, v27, v47
	v_add_co_ci_u32_e64 v4, null, v28, v48, vcc_lo
	v_add_co_u32 v6, vcc_lo, v41, v47
	v_add_co_ci_u32_e64 v7, null, v42, v48, vcc_lo
	;; [unrolled: 2-line block ×4, first 2 shown]
	global_load_ushort v13, v[3:4], off
	global_load_ushort v87, v[6:7], off
	;; [unrolled: 1-line block ×4, first 2 shown]
	v_add_co_u32 v3, vcc_lo, v45, v47
	v_add_co_ci_u32_e64 v4, null, v46, v48, vcc_lo
	v_add_co_u32 v6, vcc_lo, v31, v47
	v_add_co_ci_u32_e64 v7, null, v32, v48, vcc_lo
	global_load_ushort v3, v[3:4], off
	global_load_ushort v4, v[6:7], off
	s_waitcnt vmcnt(16)
	ds_bpermute_b32 v6, v2, v5
	ds_bpermute_b32 v7, v2, v5 offset:4
	ds_bpermute_b32 v10, v2, v5 offset:8
	s_waitcnt vmcnt(15)
	v_lshlrev_b32_e32 v14, 16, v14
	s_waitcnt vmcnt(14)
	v_lshlrev_b32_e32 v11, 16, v15
	ds_bpermute_b32 v15, v2, v5 offset:12
	s_waitcnt vmcnt(12)
	v_lshlrev_b32_e32 v17, 16, v17
	v_lshlrev_b32_e32 v16, 16, v16
	v_mul_f32_e32 v11, v14, v11
	ds_bpermute_b32 v14, v2, v5 offset:16
	v_mul_f32_e32 v16, v16, v17
	s_waitcnt lgkmcnt(4)
	v_fmac_f32_e32 v82, v11, v6
	s_waitcnt vmcnt(11)
	v_lshlrev_b32_e32 v18, 16, v18
	ds_bpermute_b32 v6, v2, v5 offset:20
	s_waitcnt lgkmcnt(4)
	v_fmac_f32_e32 v82, v16, v7
	ds_bpermute_b32 v7, v2, v5 offset:24
	ds_bpermute_b32 v5, v2, v5 offset:28
	s_waitcnt vmcnt(10)
	v_lshlrev_b32_e32 v83, 16, v83
	s_waitcnt vmcnt(9)
	v_lshlrev_b32_e32 v17, 16, v84
	;; [unrolled: 2-line block ×5, first 2 shown]
	v_mul_f32_e32 v18, v18, v83
	v_mul_f32_e32 v11, v17, v11
	;; [unrolled: 1-line block ×3, first 2 shown]
	s_waitcnt lgkmcnt(5)
	v_fmac_f32_e32 v82, v18, v10
	s_waitcnt lgkmcnt(4)
	v_fmac_f32_e32 v82, v11, v15
	s_waitcnt vmcnt(5)
	v_lshlrev_b32_e32 v13, 16, v13
	s_waitcnt vmcnt(4)
	v_lshlrev_b32_e32 v10, 16, v87
	;; [unrolled: 2-line block ×4, first 2 shown]
	s_waitcnt lgkmcnt(3)
	v_fmac_f32_e32 v82, v12, v14
	v_mul_f32_e32 v10, v13, v10
	v_mul_f32_e32 v8, v8, v9
	s_waitcnt lgkmcnt(2)
	v_fmac_f32_e32 v82, v10, v6
	s_waitcnt vmcnt(1)
	v_lshlrev_b32_e32 v3, 16, v3
	s_waitcnt vmcnt(0)
	v_lshlrev_b32_e32 v4, 16, v4
	s_waitcnt lgkmcnt(1)
	v_fmac_f32_e32 v82, v8, v7
	v_mul_f32_e32 v3, v4, v3
	s_waitcnt lgkmcnt(0)
	v_fmac_f32_e32 v82, v3, v5
	v_mov_b32_e32 v85, v82
.LBB193_81:                             ;   in Loop: Header=BB193_53 Depth=1
	v_add_co_u32 v50, vcc_lo, v50, s18
	v_add_co_ci_u32_e64 v51, null, s19, v51, vcc_lo
	v_add_co_u32 v52, vcc_lo, v52, s18
	v_add_co_ci_u32_e64 v53, null, s19, v53, vcc_lo
	;; [unrolled: 2-line block ×26, first 2 shown]
	v_add_co_u32 v74, vcc_lo, v74, s18
	s_add_u32 s16, s16, s7
	v_add_co_ci_u32_e64 v75, null, s19, v75, vcc_lo
	v_add_co_u32 v76, vcc_lo, v76, s18
	s_addc_u32 s17, s17, 0
	v_add_co_ci_u32_e64 v77, null, s19, v77, vcc_lo
	v_add_co_u32 v78, vcc_lo, v78, s18
	v_cmp_ge_i64_e64 s12, s[16:17], s[8:9]
	v_add_co_ci_u32_e64 v79, null, s19, v79, vcc_lo
	v_add_co_u32 v80, vcc_lo, v80, s18
	v_add_co_ci_u32_e64 v81, null, s19, v81, vcc_lo
	s_add_u32 s20, s20, s7
	s_addc_u32 s21, s21, 0
	s_and_b32 vcc_lo, exec_lo, s12
	s_cbranch_vccnz .LBB193_83
; %bb.82:                               ;   in Loop: Header=BB193_53 Depth=1
	v_mov_b32_e32 v82, v85
	s_branch .LBB193_53
.LBB193_83:
	v_mad_u32_u24 v2, 0x41, v1, v0
	s_mov_b32 s0, exec_lo
	v_lshl_add_u32 v3, v2, 2, 0
	v_sub_nc_u32_e32 v4, v2, v1
	v_mov_b32_e32 v1, 0
	ds_write_b32 v3, v85
	ds_write_b32 v3, v1 offset:2080
	s_waitcnt lgkmcnt(0)
	s_barrier
	buffer_gl0_inv
	v_cmpx_gt_u32_e32 0x800, v4
	s_cbranch_execz .LBB193_103
; %bb.84:
	s_load_dwordx2 s[2:3], s[4:5], 0x30
	v_and_b32_e32 v1, 31, v0
	v_lshrrev_b32_e32 v3, 5, v4
	v_cmp_gt_u32_e64 s0, 8, v1
	v_mul_u32_u24_e32 v5, 0x41, v1
                                        ; implicit-def: $vgpr1
	s_and_saveexec_b32 s1, s0
	s_cbranch_execz .LBB193_86
; %bb.85:
	v_lshlrev_b32_e32 v1, 2, v3
	v_lshlrev_b32_e32 v2, 2, v5
	v_add3_u32 v1, 0, v1, v2
	ds_read_b32 v1, v1
.LBB193_86:
	s_or_b32 exec_lo, exec_lo, s1
	v_mbcnt_lo_u32_b32 v2, -1, 0
	s_mov_b32 s7, 0
	v_cmp_ne_u32_e64 s1, 0, v0
	s_lshl_b64 s[4:5], s[6:7], 6
	s_waitcnt lgkmcnt(0)
	s_cmp_eq_u64 s[2:3], 0
	v_xor_b32_e32 v6, 4, v2
	v_xor_b32_e32 v7, 2, v2
	;; [unrolled: 1-line block ×3, first 2 shown]
	s_cselect_b32 s6, -1, 0
	v_cmp_gt_i32_e32 vcc_lo, 32, v6
	v_cndmask_b32_e32 v6, v2, v6, vcc_lo
	v_cmp_gt_i32_e32 vcc_lo, 32, v7
	v_lshlrev_b32_e32 v6, 2, v6
	v_cndmask_b32_e32 v7, v2, v7, vcc_lo
	v_cmp_gt_i32_e32 vcc_lo, 32, v9
	ds_bpermute_b32 v8, v6, v1
	v_lshlrev_b32_e32 v7, 2, v7
	v_cndmask_b32_e32 v2, v2, v9, vcc_lo
	s_waitcnt lgkmcnt(0)
	v_add_f32_e32 v1, v1, v8
	ds_bpermute_b32 v8, v7, v1
	s_waitcnt lgkmcnt(0)
	v_add_f32_e32 v9, v1, v8
	v_lshlrev_b32_e32 v8, 2, v2
	v_or_b32_e32 v1, s4, v3
	v_mov_b32_e32 v2, s5
	ds_bpermute_b32 v10, v8, v9
	v_cmp_le_i64_e32 vcc_lo, s[10:11], v[1:2]
	s_or_b32 s7, s1, vcc_lo
	s_nor_b32 s8, s6, s7
	s_waitcnt lgkmcnt(0)
	v_add_f32_e32 v0, v9, v10
	s_and_saveexec_b32 s7, s8
	s_cbranch_execz .LBB193_88
; %bb.87:
	v_bfe_u32 v9, v0, 16, 1
	v_lshlrev_b64 v[1:2], 1, v[1:2]
	v_cmp_o_f32_e32 vcc_lo, v0, v0
	v_mov_b32_e32 v10, 0x7fc0
	v_add3_u32 v9, v0, v9, 0x7fff
	v_cndmask_b32_sdwa v9, v10, v9, vcc_lo dst_sel:DWORD dst_unused:UNUSED_PAD src0_sel:DWORD src1_sel:WORD_1
	v_add_co_u32 v1, vcc_lo, s2, v1
	v_add_co_ci_u32_e64 v2, null, s3, v2, vcc_lo
	global_store_short v[1:2], v9, off
.LBB193_88:
	s_or_b32 exec_lo, exec_lo, s7
	v_cmp_gt_u32_e32 vcc_lo, 0x600, v4
	s_and_b32 exec_lo, exec_lo, vcc_lo
	s_cbranch_execz .LBB193_103
; %bb.89:
	s_and_saveexec_b32 s7, s0
	s_cbranch_execz .LBB193_91
; %bb.90:
	v_lshlrev_b32_e32 v0, 2, v3
	v_lshlrev_b32_e32 v1, 2, v5
	v_add3_u32 v0, 0, v0, v1
	ds_read_b32 v0, v0 offset:64
.LBB193_91:
	s_or_b32 exec_lo, exec_lo, s7
	s_waitcnt lgkmcnt(0)
	ds_bpermute_b32 v1, v6, v0
	s_waitcnt lgkmcnt(0)
	v_add_f32_e32 v0, v0, v1
	ds_bpermute_b32 v1, v7, v0
	s_waitcnt lgkmcnt(0)
	v_add_f32_e32 v2, v0, v1
	v_add_nc_u32_e32 v0, 16, v3
	ds_bpermute_b32 v9, v8, v2
	v_add_co_u32 v0, s7, s4, v0
	v_add_co_ci_u32_e64 v1, null, s5, 0, s7
	v_cmp_le_i64_e32 vcc_lo, s[10:11], v[0:1]
	s_or_b32 s7, s1, vcc_lo
	s_nor_b32 s8, s6, s7
	s_waitcnt lgkmcnt(0)
	v_add_f32_e32 v0, v2, v9
	s_and_saveexec_b32 s7, s8
	s_cbranch_execz .LBB193_93
; %bb.92:
	v_add_co_u32 v1, s8, s4, v3
	v_add_co_ci_u32_e64 v2, null, s5, 0, s8
	v_bfe_u32 v9, v0, 16, 1
	v_cmp_o_f32_e32 vcc_lo, v0, v0
	v_mov_b32_e32 v10, 0x7fc0
	v_lshlrev_b64 v[1:2], 1, v[1:2]
	v_add3_u32 v9, v0, v9, 0x7fff
	v_cndmask_b32_sdwa v9, v10, v9, vcc_lo dst_sel:DWORD dst_unused:UNUSED_PAD src0_sel:DWORD src1_sel:WORD_1
	v_add_co_u32 v1, vcc_lo, s2, v1
	v_add_co_ci_u32_e64 v2, null, s3, v2, vcc_lo
	global_store_short v[1:2], v9, off offset:32
.LBB193_93:
	s_or_b32 exec_lo, exec_lo, s7
	v_cmp_gt_u32_e32 vcc_lo, 0x400, v4
	s_and_b32 exec_lo, exec_lo, vcc_lo
	s_cbranch_execz .LBB193_103
; %bb.94:
	s_and_saveexec_b32 s7, s0
	s_cbranch_execz .LBB193_96
; %bb.95:
	v_lshlrev_b32_e32 v0, 2, v3
	v_lshlrev_b32_e32 v1, 2, v5
	v_add3_u32 v0, 0, v0, v1
	ds_read_b32 v0, v0 offset:128
.LBB193_96:
	s_or_b32 exec_lo, exec_lo, s7
	s_waitcnt lgkmcnt(0)
	ds_bpermute_b32 v1, v6, v0
	s_waitcnt lgkmcnt(0)
	v_add_f32_e32 v0, v0, v1
	ds_bpermute_b32 v1, v7, v0
	s_waitcnt lgkmcnt(0)
	v_add_f32_e32 v2, v0, v1
	v_add_nc_u32_e32 v0, 32, v3
	v_mov_b32_e32 v1, s5
	ds_bpermute_b32 v9, v8, v2
	v_or_b32_e32 v0, s4, v0
	v_cmp_le_i64_e32 vcc_lo, s[10:11], v[0:1]
	s_or_b32 s7, s1, vcc_lo
	s_nor_b32 s8, s6, s7
	s_waitcnt lgkmcnt(0)
	v_add_f32_e32 v0, v2, v9
	s_and_saveexec_b32 s7, s8
	s_cbranch_execz .LBB193_98
; %bb.97:
	v_add_co_u32 v1, s8, s4, v3
	v_add_co_ci_u32_e64 v2, null, s5, 0, s8
	v_bfe_u32 v9, v0, 16, 1
	v_cmp_o_f32_e32 vcc_lo, v0, v0
	v_mov_b32_e32 v10, 0x7fc0
	v_lshlrev_b64 v[1:2], 1, v[1:2]
	v_add3_u32 v9, v0, v9, 0x7fff
	v_cndmask_b32_sdwa v9, v10, v9, vcc_lo dst_sel:DWORD dst_unused:UNUSED_PAD src0_sel:DWORD src1_sel:WORD_1
	v_add_co_u32 v1, vcc_lo, s2, v1
	v_add_co_ci_u32_e64 v2, null, s3, v2, vcc_lo
	global_store_short v[1:2], v9, off offset:64
.LBB193_98:
	s_or_b32 exec_lo, exec_lo, s7
	v_cmp_gt_u32_e32 vcc_lo, 0x200, v4
	s_and_b32 exec_lo, exec_lo, vcc_lo
	s_cbranch_execz .LBB193_103
; %bb.99:
	s_and_saveexec_b32 s7, s0
	s_cbranch_execz .LBB193_101
; %bb.100:
	v_lshlrev_b32_e32 v0, 2, v3
	v_lshlrev_b32_e32 v1, 2, v5
	v_add3_u32 v0, 0, v0, v1
	ds_read_b32 v0, v0 offset:192
.LBB193_101:
	s_or_b32 exec_lo, exec_lo, s7
	s_waitcnt lgkmcnt(0)
	ds_bpermute_b32 v1, v6, v0
	v_add_nc_u32_e32 v2, 48, v3
	v_mov_b32_e32 v5, s5
	v_or_b32_e32 v4, s4, v2
	v_cmp_le_i64_e32 vcc_lo, s[10:11], v[4:5]
	s_or_b32 s0, s1, vcc_lo
	s_nor_b32 s0, s6, s0
	s_waitcnt lgkmcnt(0)
	v_add_f32_e32 v0, v0, v1
	ds_bpermute_b32 v1, v7, v0
	s_waitcnt lgkmcnt(0)
	v_add_f32_e32 v0, v0, v1
	ds_bpermute_b32 v1, v8, v0
	s_and_saveexec_b32 s1, s0
	s_xor_b32 s1, exec_lo, s1
	s_cbranch_execz .LBB193_103
; %bb.102:
	s_waitcnt lgkmcnt(0)
	v_add_f32_e32 v2, v0, v1
	v_add_co_u32 v0, s0, s4, v3
	v_add_co_ci_u32_e64 v1, null, s5, 0, s0
	v_bfe_u32 v4, v2, 16, 1
	v_cmp_o_f32_e32 vcc_lo, v2, v2
	v_mov_b32_e32 v3, 0x7fc0
	v_lshlrev_b64 v[0:1], 1, v[0:1]
	v_add3_u32 v2, v2, v4, 0x7fff
	v_cndmask_b32_sdwa v2, v3, v2, vcc_lo dst_sel:DWORD dst_unused:UNUSED_PAD src0_sel:DWORD src1_sel:WORD_1
	v_add_co_u32 v0, vcc_lo, s2, v0
	v_add_co_ci_u32_e64 v1, null, s3, v1, vcc_lo
	global_store_short v[0:1], v2, off offset:96
.LBB193_103:
	s_endpgm
	.section	.rodata,"a",@progbits
	.p2align	6, 0x0
	.amdhsa_kernel _ZN2at6native12_GLOBAL__N_135GammaBetaBackwardCUDAKernelTemplateIN3c108BFloat16EfLj64ELj8ELj64ELb0ELb0ELb1EEEvllPKT_S7_PKT0_SA_PS5_SB_
		.amdhsa_group_segment_fixed_size 0
		.amdhsa_private_segment_fixed_size 0
		.amdhsa_kernarg_size 320
		.amdhsa_user_sgpr_count 6
		.amdhsa_user_sgpr_private_segment_buffer 1
		.amdhsa_user_sgpr_dispatch_ptr 0
		.amdhsa_user_sgpr_queue_ptr 0
		.amdhsa_user_sgpr_kernarg_segment_ptr 1
		.amdhsa_user_sgpr_dispatch_id 0
		.amdhsa_user_sgpr_flat_scratch_init 0
		.amdhsa_user_sgpr_private_segment_size 0
		.amdhsa_wavefront_size32 1
		.amdhsa_uses_dynamic_stack 0
		.amdhsa_system_sgpr_private_segment_wavefront_offset 0
		.amdhsa_system_sgpr_workgroup_id_x 1
		.amdhsa_system_sgpr_workgroup_id_y 1
		.amdhsa_system_sgpr_workgroup_id_z 0
		.amdhsa_system_sgpr_workgroup_info 0
		.amdhsa_system_vgpr_workitem_id 1
		.amdhsa_next_free_vgpr 91
		.amdhsa_next_free_sgpr 30
		.amdhsa_reserve_vcc 1
		.amdhsa_reserve_flat_scratch 0
		.amdhsa_float_round_mode_32 0
		.amdhsa_float_round_mode_16_64 0
		.amdhsa_float_denorm_mode_32 3
		.amdhsa_float_denorm_mode_16_64 3
		.amdhsa_dx10_clamp 1
		.amdhsa_ieee_mode 1
		.amdhsa_fp16_overflow 0
		.amdhsa_workgroup_processor_mode 1
		.amdhsa_memory_ordered 1
		.amdhsa_forward_progress 1
		.amdhsa_shared_vgpr_count 0
		.amdhsa_exception_fp_ieee_invalid_op 0
		.amdhsa_exception_fp_denorm_src 0
		.amdhsa_exception_fp_ieee_div_zero 0
		.amdhsa_exception_fp_ieee_overflow 0
		.amdhsa_exception_fp_ieee_underflow 0
		.amdhsa_exception_fp_ieee_inexact 0
		.amdhsa_exception_int_div_zero 0
	.end_amdhsa_kernel
	.section	.text._ZN2at6native12_GLOBAL__N_135GammaBetaBackwardCUDAKernelTemplateIN3c108BFloat16EfLj64ELj8ELj64ELb0ELb0ELb1EEEvllPKT_S7_PKT0_SA_PS5_SB_,"axG",@progbits,_ZN2at6native12_GLOBAL__N_135GammaBetaBackwardCUDAKernelTemplateIN3c108BFloat16EfLj64ELj8ELj64ELb0ELb0ELb1EEEvllPKT_S7_PKT0_SA_PS5_SB_,comdat
.Lfunc_end193:
	.size	_ZN2at6native12_GLOBAL__N_135GammaBetaBackwardCUDAKernelTemplateIN3c108BFloat16EfLj64ELj8ELj64ELb0ELb0ELb1EEEvllPKT_S7_PKT0_SA_PS5_SB_, .Lfunc_end193-_ZN2at6native12_GLOBAL__N_135GammaBetaBackwardCUDAKernelTemplateIN3c108BFloat16EfLj64ELj8ELj64ELb0ELb0ELb1EEEvllPKT_S7_PKT0_SA_PS5_SB_
                                        ; -- End function
	.set _ZN2at6native12_GLOBAL__N_135GammaBetaBackwardCUDAKernelTemplateIN3c108BFloat16EfLj64ELj8ELj64ELb0ELb0ELb1EEEvllPKT_S7_PKT0_SA_PS5_SB_.num_vgpr, 91
	.set _ZN2at6native12_GLOBAL__N_135GammaBetaBackwardCUDAKernelTemplateIN3c108BFloat16EfLj64ELj8ELj64ELb0ELb0ELb1EEEvllPKT_S7_PKT0_SA_PS5_SB_.num_agpr, 0
	.set _ZN2at6native12_GLOBAL__N_135GammaBetaBackwardCUDAKernelTemplateIN3c108BFloat16EfLj64ELj8ELj64ELb0ELb0ELb1EEEvllPKT_S7_PKT0_SA_PS5_SB_.numbered_sgpr, 30
	.set _ZN2at6native12_GLOBAL__N_135GammaBetaBackwardCUDAKernelTemplateIN3c108BFloat16EfLj64ELj8ELj64ELb0ELb0ELb1EEEvllPKT_S7_PKT0_SA_PS5_SB_.num_named_barrier, 0
	.set _ZN2at6native12_GLOBAL__N_135GammaBetaBackwardCUDAKernelTemplateIN3c108BFloat16EfLj64ELj8ELj64ELb0ELb0ELb1EEEvllPKT_S7_PKT0_SA_PS5_SB_.private_seg_size, 0
	.set _ZN2at6native12_GLOBAL__N_135GammaBetaBackwardCUDAKernelTemplateIN3c108BFloat16EfLj64ELj8ELj64ELb0ELb0ELb1EEEvllPKT_S7_PKT0_SA_PS5_SB_.uses_vcc, 1
	.set _ZN2at6native12_GLOBAL__N_135GammaBetaBackwardCUDAKernelTemplateIN3c108BFloat16EfLj64ELj8ELj64ELb0ELb0ELb1EEEvllPKT_S7_PKT0_SA_PS5_SB_.uses_flat_scratch, 0
	.set _ZN2at6native12_GLOBAL__N_135GammaBetaBackwardCUDAKernelTemplateIN3c108BFloat16EfLj64ELj8ELj64ELb0ELb0ELb1EEEvllPKT_S7_PKT0_SA_PS5_SB_.has_dyn_sized_stack, 0
	.set _ZN2at6native12_GLOBAL__N_135GammaBetaBackwardCUDAKernelTemplateIN3c108BFloat16EfLj64ELj8ELj64ELb0ELb0ELb1EEEvllPKT_S7_PKT0_SA_PS5_SB_.has_recursion, 0
	.set _ZN2at6native12_GLOBAL__N_135GammaBetaBackwardCUDAKernelTemplateIN3c108BFloat16EfLj64ELj8ELj64ELb0ELb0ELb1EEEvllPKT_S7_PKT0_SA_PS5_SB_.has_indirect_call, 0
	.section	.AMDGPU.csdata,"",@progbits
; Kernel info:
; codeLenInByte = 8672
; TotalNumSgprs: 32
; NumVgprs: 91
; ScratchSize: 0
; MemoryBound: 0
; FloatMode: 240
; IeeeMode: 1
; LDSByteSize: 0 bytes/workgroup (compile time only)
; SGPRBlocks: 0
; VGPRBlocks: 11
; NumSGPRsForWavesPerEU: 32
; NumVGPRsForWavesPerEU: 91
; Occupancy: 10
; WaveLimiterHint : 0
; COMPUTE_PGM_RSRC2:SCRATCH_EN: 0
; COMPUTE_PGM_RSRC2:USER_SGPR: 6
; COMPUTE_PGM_RSRC2:TRAP_HANDLER: 0
; COMPUTE_PGM_RSRC2:TGID_X_EN: 1
; COMPUTE_PGM_RSRC2:TGID_Y_EN: 1
; COMPUTE_PGM_RSRC2:TGID_Z_EN: 0
; COMPUTE_PGM_RSRC2:TIDIG_COMP_CNT: 1
	.section	.text._ZN2at6native12_GLOBAL__N_135GammaBetaBackwardCUDAKernelTemplateIN3c108BFloat16EfLj64ELj16ELj128ELb0ELb1ELb1EEEvllPKT_S7_PKT0_SA_PS5_SB_,"axG",@progbits,_ZN2at6native12_GLOBAL__N_135GammaBetaBackwardCUDAKernelTemplateIN3c108BFloat16EfLj64ELj16ELj128ELb0ELb1ELb1EEEvllPKT_S7_PKT0_SA_PS5_SB_,comdat
	.globl	_ZN2at6native12_GLOBAL__N_135GammaBetaBackwardCUDAKernelTemplateIN3c108BFloat16EfLj64ELj16ELj128ELb0ELb1ELb1EEEvllPKT_S7_PKT0_SA_PS5_SB_ ; -- Begin function _ZN2at6native12_GLOBAL__N_135GammaBetaBackwardCUDAKernelTemplateIN3c108BFloat16EfLj64ELj16ELj128ELb0ELb1ELb1EEEvllPKT_S7_PKT0_SA_PS5_SB_
	.p2align	8
	.type	_ZN2at6native12_GLOBAL__N_135GammaBetaBackwardCUDAKernelTemplateIN3c108BFloat16EfLj64ELj16ELj128ELb0ELb1ELb1EEEvllPKT_S7_PKT0_SA_PS5_SB_,@function
_ZN2at6native12_GLOBAL__N_135GammaBetaBackwardCUDAKernelTemplateIN3c108BFloat16EfLj64ELj16ELj128ELb0ELb1ELb1EEEvllPKT_S7_PKT0_SA_PS5_SB_: ; @_ZN2at6native12_GLOBAL__N_135GammaBetaBackwardCUDAKernelTemplateIN3c108BFloat16EfLj64ELj16ELj128ELb0ELb1ELb1EEEvllPKT_S7_PKT0_SA_PS5_SB_
; %bb.0:
	s_load_dwordx4 s[8:11], s[4:5], 0x0
	s_lshl_b32 s16, s7, 7
	s_mov_b32 s17, 0
	s_waitcnt lgkmcnt(0)
	v_cmp_gt_i64_e64 s0, s[8:9], s[16:17]
	s_and_b32 vcc_lo, exec_lo, s0
	s_cbranch_vccnz .LBB194_2
; %bb.1:
	s_mov_b32 s0, s17
	s_load_dwordx2 s[2:3], s[4:5], 0x30
	v_mov_b32_e32 v2, 0
	s_andn2_b32 vcc_lo, exec_lo, s0
	s_cbranch_vccz .LBB194_3
	s_branch .LBB194_9
.LBB194_2:
	s_load_dwordx2 s[2:3], s[4:5], 0x30
	v_mov_b32_e32 v2, 0
.LBB194_3:
	s_clause 0x3
	s_load_dword s0, s[4:5], 0x4c
	s_load_dword s1, s[4:5], 0x44
	s_load_dwordx4 s[12:15], s[4:5], 0x10
	s_load_dwordx2 s[18:19], s[4:5], 0x28
	v_lshlrev_b32_e32 v4, 3, v1
	v_mov_b32_e32 v3, 0
	v_lshl_add_u32 v2, s6, 6, v0
	v_mov_b32_e32 v8, 8
	v_mov_b32_e32 v9, 4
	v_add_co_u32 v4, s4, v4, s16
	v_add_co_ci_u32_e64 v5, null, 0, 0, s4
	v_lshlrev_b64 v[15:16], 1, v[2:3]
	v_mul_lo_u32 v17, s11, v4
	v_mov_b32_e32 v10, 12
	v_mul_lo_u32 v18, s10, v5
	v_mov_b32_e32 v11, 16
	v_mov_b32_e32 v12, 20
	;; [unrolled: 1-line block ×3, first 2 shown]
	s_waitcnt lgkmcnt(0)
	s_and_b32 s0, s0, 0xffff
	s_lshl_b32 s4, s1, 7
	v_mad_u32_u24 v6, v1, s0, v0
	s_mul_i32 s1, s11, s4
	s_mul_hi_u32 s7, s10, s4
	v_mov_b32_e32 v14, 28
	v_mov_b32_e32 v2, 0
	v_and_b32_e32 v21, 31, v6
	v_mad_u64_u32 v[6:7], null, s10, v4, 0
	s_mov_b32 s5, 0
	s_add_i32 s21, s7, s1
	v_add_co_u32 v4, vcc_lo, v4, v21
	v_add_co_ci_u32_e64 v5, null, 0, v5, vcc_lo
	v_add3_u32 v7, v7, v18, v17
	v_cmp_gt_u32_e64 s0, 8, v21
	s_mul_i32 s20, s10, s4
	v_lshlrev_b64 v[17:18], 2, v[4:5]
	s_lshl_b64 s[20:21], s[20:21], 1
	v_lshlrev_b64 v[19:20], 1, v[6:7]
	s_lshl_b64 s[10:11], s[10:11], 1
	v_add_co_u32 v6, vcc_lo, s18, v17
	v_add_co_ci_u32_e64 v7, null, s19, v18, vcc_lo
	v_add_co_u32 v15, vcc_lo, v19, v15
	v_add_co_ci_u32_e64 v16, null, v20, v16, vcc_lo
	s_lshl_b64 s[18:19], s[4:5], 2
	s_branch .LBB194_6
.LBB194_4:                              ;   in Loop: Header=BB194_6 Depth=1
	s_or_b32 exec_lo, exec_lo, s5
.LBB194_5:                              ;   in Loop: Header=BB194_6 Depth=1
	s_or_b32 exec_lo, exec_lo, s1
	v_add_co_u32 v18, vcc_lo, s12, v15
	v_add_co_ci_u32_e64 v19, null, s13, v16, vcc_lo
	v_add_co_u32 v20, vcc_lo, s14, v15
	v_add_co_ci_u32_e64 v21, null, s15, v16, vcc_lo
	global_load_ushort v28, v[18:19], off
	v_add_co_u32 v18, vcc_lo, v18, s10
	v_add_co_ci_u32_e64 v19, null, s11, v19, vcc_lo
	v_add_co_u32 v22, vcc_lo, v20, s10
	v_add_co_ci_u32_e64 v23, null, s11, v21, vcc_lo
	;; [unrolled: 2-line block ×4, first 2 shown]
	global_load_ushort v29, v[20:21], off
	global_load_ushort v30, v[18:19], off
	;; [unrolled: 1-line block ×5, first 2 shown]
	v_add_co_u32 v18, vcc_lo, v24, s10
	v_add_co_ci_u32_e64 v19, null, s11, v25, vcc_lo
	v_add_co_u32 v20, vcc_lo, v26, s10
	v_add_co_ci_u32_e64 v21, null, s11, v27, vcc_lo
	global_load_ushort v34, v[18:19], off
	v_add_co_u32 v18, vcc_lo, v18, s10
	v_add_co_ci_u32_e64 v19, null, s11, v19, vcc_lo
	v_add_co_u32 v22, vcc_lo, v20, s10
	v_add_co_ci_u32_e64 v23, null, s11, v21, vcc_lo
	;; [unrolled: 2-line block ×4, first 2 shown]
	global_load_ushort v35, v[20:21], off
	global_load_ushort v36, v[18:19], off
	global_load_ushort v37, v[22:23], off
	global_load_ushort v38, v[24:25], off
	global_load_ushort v39, v[26:27], off
	v_add_co_u32 v18, vcc_lo, v26, s10
	v_add_co_ci_u32_e64 v19, null, s11, v27, vcc_lo
	v_add_co_u32 v20, vcc_lo, v24, s10
	v_add_co_ci_u32_e64 v21, null, s11, v25, vcc_lo
	global_load_ushort v24, v[18:19], off
	v_add_co_u32 v18, vcc_lo, v18, s10
	v_add_co_ci_u32_e64 v19, null, s11, v19, vcc_lo
	v_add_co_u32 v22, vcc_lo, v20, s10
	v_add_co_ci_u32_e64 v23, null, s11, v21, vcc_lo
	global_load_ushort v20, v[20:21], off
	global_load_ushort v18, v[18:19], off
	;; [unrolled: 1-line block ×3, first 2 shown]
	s_waitcnt vmcnt(16)
	ds_bpermute_b32 v21, v3, v17
	ds_bpermute_b32 v22, v9, v17
	;; [unrolled: 1-line block ×3, first 2 shown]
	s_add_u32 s16, s16, s4
	v_add_co_u32 v6, vcc_lo, v6, s18
	s_addc_u32 s17, s17, 0
	v_add_co_ci_u32_e64 v7, null, s19, v7, vcc_lo
	v_add_co_u32 v4, vcc_lo, v4, s4
	v_cmp_lt_i64_e64 s1, s[16:17], s[8:9]
	v_add_co_ci_u32_e64 v5, null, 0, v5, vcc_lo
	v_add_co_u32 v15, vcc_lo, v15, s20
	v_add_co_ci_u32_e64 v16, null, s21, v16, vcc_lo
	s_and_b32 vcc_lo, exec_lo, s1
	s_waitcnt vmcnt(15)
	v_lshlrev_b32_e32 v25, 16, v28
	ds_bpermute_b32 v28, v10, v17
	s_waitcnt vmcnt(14)
	v_lshlrev_b32_e32 v23, 16, v29
	s_waitcnt vmcnt(12)
	v_lshlrev_b32_e32 v27, 16, v31
	;; [unrolled: 2-line block ×3, first 2 shown]
	v_mul_f32_e32 v23, v25, v23
	v_lshlrev_b32_e32 v25, 16, v30
	s_waitcnt lgkmcnt(3)
	v_fmac_f32_e32 v2, v23, v21
	v_mul_f32_e32 v21, v25, v27
	v_lshlrev_b32_e32 v23, 16, v32
	ds_bpermute_b32 v25, v11, v17
	ds_bpermute_b32 v27, v12, v17
	s_waitcnt lgkmcnt(4)
	v_fmac_f32_e32 v2, v21, v22
	v_mul_f32_e32 v21, v23, v29
	s_waitcnt vmcnt(9)
	v_lshlrev_b32_e32 v22, 16, v34
	ds_bpermute_b32 v23, v13, v17
	ds_bpermute_b32 v17, v14, v17
	s_waitcnt lgkmcnt(5)
	v_fmac_f32_e32 v2, v21, v26
	s_waitcnt vmcnt(8)
	v_lshlrev_b32_e32 v30, 16, v35
	s_waitcnt vmcnt(6)
	v_lshlrev_b32_e32 v29, 16, v37
	;; [unrolled: 2-line block ×3, first 2 shown]
	v_mul_f32_e32 v21, v22, v30
	v_lshlrev_b32_e32 v22, 16, v36
	v_lshlrev_b32_e32 v30, 16, v38
	s_waitcnt lgkmcnt(4)
	v_fmac_f32_e32 v2, v21, v28
	v_mul_f32_e32 v21, v22, v29
	s_waitcnt vmcnt(3)
	v_lshlrev_b32_e32 v22, 16, v24
	s_waitcnt lgkmcnt(3)
	v_fmac_f32_e32 v2, v21, v25
	v_mul_f32_e32 v21, v30, v26
	s_waitcnt vmcnt(2)
	v_lshlrev_b32_e32 v20, 16, v20
	s_waitcnt vmcnt(1)
	v_lshlrev_b32_e32 v18, 16, v18
	s_waitcnt vmcnt(0)
	v_lshlrev_b32_e32 v19, 16, v19
	s_waitcnt lgkmcnt(2)
	v_fmac_f32_e32 v2, v21, v27
	v_mul_f32_e32 v20, v20, v22
	v_mul_f32_e32 v18, v19, v18
	s_waitcnt lgkmcnt(1)
	v_fmac_f32_e32 v2, v20, v23
	s_waitcnt lgkmcnt(0)
	v_fmac_f32_e32 v2, v18, v17
	s_cbranch_vccz .LBB194_9
.LBB194_6:                              ; =>This Inner Loop Header: Depth=1
	v_mov_b32_e32 v17, 0
	s_and_saveexec_b32 s1, s0
	s_cbranch_execz .LBB194_5
; %bb.7:                                ;   in Loop: Header=BB194_6 Depth=1
	v_mov_b32_e32 v17, 0
	s_mov_b32 s5, exec_lo
	v_cmpx_gt_i64_e64 s[8:9], v[4:5]
	s_cbranch_execz .LBB194_4
; %bb.8:                                ;   in Loop: Header=BB194_6 Depth=1
	global_load_dword v17, v[6:7], off
	s_branch .LBB194_4
.LBB194_9:
	v_mad_u32_u24 v3, 0x41, v1, v0
	s_mov_b32 s0, exec_lo
	v_lshl_add_u32 v4, v3, 2, 0
	v_sub_nc_u32_e32 v3, v3, v1
	v_mov_b32_e32 v1, 0
	ds_write_b32 v4, v2
	ds_write_b32 v4, v1 offset:4160
	s_waitcnt lgkmcnt(0)
	s_barrier
	buffer_gl0_inv
	v_cmpx_gt_u32_e32 0x800, v3
	s_cbranch_execz .LBB194_19
; %bb.10:
	v_and_b32_e32 v2, 31, v0
	v_lshrrev_b32_e32 v1, 5, v3
                                        ; implicit-def: $vgpr6
	v_cmp_gt_u32_e64 s0, 16, v2
	v_mul_u32_u24_e32 v2, 0x41, v2
	s_and_saveexec_b32 s1, s0
	s_cbranch_execz .LBB194_12
; %bb.11:
	v_lshlrev_b32_e32 v4, 2, v1
	v_lshlrev_b32_e32 v5, 2, v2
	v_add3_u32 v4, 0, v4, v5
	ds_read_b32 v6, v4
.LBB194_12:
	s_or_b32 exec_lo, exec_lo, s1
	v_mbcnt_lo_u32_b32 v7, -1, 0
	s_cmp_lg_u64 s[2:3], 0
	s_mov_b32 s7, 0
	s_cselect_b32 s1, -1, 0
	s_lshl_b64 s[4:5], s[6:7], 7
	v_xor_b32_e32 v4, 8, v7
	v_xor_b32_e32 v5, 4, v7
	;; [unrolled: 1-line block ×3, first 2 shown]
	v_cmp_gt_i32_e32 vcc_lo, 32, v4
	v_cndmask_b32_e32 v4, v7, v4, vcc_lo
	v_cmp_gt_i32_e32 vcc_lo, 32, v5
	v_lshlrev_b32_e32 v4, 2, v4
	v_cndmask_b32_e32 v5, v7, v5, vcc_lo
	s_waitcnt lgkmcnt(0)
	ds_bpermute_b32 v8, v4, v6
	v_lshlrev_b32_e32 v5, 2, v5
	s_waitcnt lgkmcnt(0)
	v_add_f32_e32 v8, v6, v8
	v_xor_b32_e32 v6, 2, v7
	ds_bpermute_b32 v9, v5, v8
	v_cmp_gt_i32_e32 vcc_lo, 32, v6
	v_cndmask_b32_e32 v6, v7, v6, vcc_lo
	v_cmp_gt_i32_e32 vcc_lo, 32, v10
	v_lshlrev_b32_e32 v6, 2, v6
	v_cndmask_b32_e32 v7, v7, v10, vcc_lo
	v_cmp_eq_u32_e32 vcc_lo, 0, v0
	v_lshlrev_b32_e32 v7, 2, v7
	s_and_b32 s1, vcc_lo, s1
	s_add_u32 s2, s2, s4
	s_waitcnt lgkmcnt(0)
	v_add_f32_e32 v8, v8, v9
	s_addc_u32 s3, s3, s5
	ds_bpermute_b32 v9, v6, v8
	s_waitcnt lgkmcnt(0)
	v_add_f32_e32 v8, v8, v9
	ds_bpermute_b32 v9, v7, v8
	s_waitcnt lgkmcnt(0)
	v_add_f32_e32 v0, v8, v9
	s_and_saveexec_b32 s4, s1
	s_cbranch_execz .LBB194_14
; %bb.13:
	v_bfe_u32 v8, v0, 16, 1
	v_cmp_o_f32_e32 vcc_lo, v0, v0
	v_mov_b32_e32 v9, 0x7fc0
	v_add3_u32 v8, v0, v8, 0x7fff
	v_cndmask_b32_sdwa v8, v9, v8, vcc_lo dst_sel:DWORD dst_unused:UNUSED_PAD src0_sel:DWORD src1_sel:WORD_1
	v_lshlrev_b32_e32 v9, 1, v1
	global_store_short v9, v8, s[2:3]
.LBB194_14:
	s_or_b32 exec_lo, exec_lo, s4
	v_cmp_gt_u32_e32 vcc_lo, 0x400, v3
	s_and_b32 exec_lo, exec_lo, vcc_lo
	s_cbranch_execz .LBB194_19
; %bb.15:
	s_and_saveexec_b32 s4, s0
	s_cbranch_execz .LBB194_17
; %bb.16:
	v_lshlrev_b32_e32 v0, 2, v1
	v_lshlrev_b32_e32 v2, 2, v2
	v_add3_u32 v0, 0, v0, v2
	ds_read_b32 v0, v0 offset:128
.LBB194_17:
	s_or_b32 exec_lo, exec_lo, s4
	s_waitcnt lgkmcnt(0)
	ds_bpermute_b32 v2, v4, v0
	s_waitcnt lgkmcnt(0)
	v_add_f32_e32 v0, v0, v2
	ds_bpermute_b32 v2, v5, v0
	s_waitcnt lgkmcnt(0)
	v_add_f32_e32 v0, v0, v2
	ds_bpermute_b32 v2, v6, v0
	s_waitcnt lgkmcnt(0)
	v_add_f32_e32 v0, v0, v2
	ds_bpermute_b32 v2, v7, v0
	s_and_saveexec_b32 s0, s1
	s_xor_b32 s0, exec_lo, s0
	s_cbranch_execz .LBB194_19
; %bb.18:
	s_waitcnt lgkmcnt(0)
	v_add_f32_e32 v0, v0, v2
	v_mov_b32_e32 v3, 0x7fc0
	v_lshlrev_b32_e32 v1, 1, v1
	v_bfe_u32 v2, v0, 16, 1
	v_cmp_o_f32_e32 vcc_lo, v0, v0
	v_add3_u32 v0, v0, v2, 0x7fff
	v_cndmask_b32_sdwa v0, v3, v0, vcc_lo dst_sel:DWORD dst_unused:UNUSED_PAD src0_sel:DWORD src1_sel:WORD_1
	global_store_short v1, v0, s[2:3] offset:64
.LBB194_19:
	s_endpgm
	.section	.rodata,"a",@progbits
	.p2align	6, 0x0
	.amdhsa_kernel _ZN2at6native12_GLOBAL__N_135GammaBetaBackwardCUDAKernelTemplateIN3c108BFloat16EfLj64ELj16ELj128ELb0ELb1ELb1EEEvllPKT_S7_PKT0_SA_PS5_SB_
		.amdhsa_group_segment_fixed_size 0
		.amdhsa_private_segment_fixed_size 0
		.amdhsa_kernarg_size 320
		.amdhsa_user_sgpr_count 6
		.amdhsa_user_sgpr_private_segment_buffer 1
		.amdhsa_user_sgpr_dispatch_ptr 0
		.amdhsa_user_sgpr_queue_ptr 0
		.amdhsa_user_sgpr_kernarg_segment_ptr 1
		.amdhsa_user_sgpr_dispatch_id 0
		.amdhsa_user_sgpr_flat_scratch_init 0
		.amdhsa_user_sgpr_private_segment_size 0
		.amdhsa_wavefront_size32 1
		.amdhsa_uses_dynamic_stack 0
		.amdhsa_system_sgpr_private_segment_wavefront_offset 0
		.amdhsa_system_sgpr_workgroup_id_x 1
		.amdhsa_system_sgpr_workgroup_id_y 1
		.amdhsa_system_sgpr_workgroup_id_z 0
		.amdhsa_system_sgpr_workgroup_info 0
		.amdhsa_system_vgpr_workitem_id 1
		.amdhsa_next_free_vgpr 40
		.amdhsa_next_free_sgpr 22
		.amdhsa_reserve_vcc 1
		.amdhsa_reserve_flat_scratch 0
		.amdhsa_float_round_mode_32 0
		.amdhsa_float_round_mode_16_64 0
		.amdhsa_float_denorm_mode_32 3
		.amdhsa_float_denorm_mode_16_64 3
		.amdhsa_dx10_clamp 1
		.amdhsa_ieee_mode 1
		.amdhsa_fp16_overflow 0
		.amdhsa_workgroup_processor_mode 1
		.amdhsa_memory_ordered 1
		.amdhsa_forward_progress 1
		.amdhsa_shared_vgpr_count 0
		.amdhsa_exception_fp_ieee_invalid_op 0
		.amdhsa_exception_fp_denorm_src 0
		.amdhsa_exception_fp_ieee_div_zero 0
		.amdhsa_exception_fp_ieee_overflow 0
		.amdhsa_exception_fp_ieee_underflow 0
		.amdhsa_exception_fp_ieee_inexact 0
		.amdhsa_exception_int_div_zero 0
	.end_amdhsa_kernel
	.section	.text._ZN2at6native12_GLOBAL__N_135GammaBetaBackwardCUDAKernelTemplateIN3c108BFloat16EfLj64ELj16ELj128ELb0ELb1ELb1EEEvllPKT_S7_PKT0_SA_PS5_SB_,"axG",@progbits,_ZN2at6native12_GLOBAL__N_135GammaBetaBackwardCUDAKernelTemplateIN3c108BFloat16EfLj64ELj16ELj128ELb0ELb1ELb1EEEvllPKT_S7_PKT0_SA_PS5_SB_,comdat
.Lfunc_end194:
	.size	_ZN2at6native12_GLOBAL__N_135GammaBetaBackwardCUDAKernelTemplateIN3c108BFloat16EfLj64ELj16ELj128ELb0ELb1ELb1EEEvllPKT_S7_PKT0_SA_PS5_SB_, .Lfunc_end194-_ZN2at6native12_GLOBAL__N_135GammaBetaBackwardCUDAKernelTemplateIN3c108BFloat16EfLj64ELj16ELj128ELb0ELb1ELb1EEEvllPKT_S7_PKT0_SA_PS5_SB_
                                        ; -- End function
	.set _ZN2at6native12_GLOBAL__N_135GammaBetaBackwardCUDAKernelTemplateIN3c108BFloat16EfLj64ELj16ELj128ELb0ELb1ELb1EEEvllPKT_S7_PKT0_SA_PS5_SB_.num_vgpr, 40
	.set _ZN2at6native12_GLOBAL__N_135GammaBetaBackwardCUDAKernelTemplateIN3c108BFloat16EfLj64ELj16ELj128ELb0ELb1ELb1EEEvllPKT_S7_PKT0_SA_PS5_SB_.num_agpr, 0
	.set _ZN2at6native12_GLOBAL__N_135GammaBetaBackwardCUDAKernelTemplateIN3c108BFloat16EfLj64ELj16ELj128ELb0ELb1ELb1EEEvllPKT_S7_PKT0_SA_PS5_SB_.numbered_sgpr, 22
	.set _ZN2at6native12_GLOBAL__N_135GammaBetaBackwardCUDAKernelTemplateIN3c108BFloat16EfLj64ELj16ELj128ELb0ELb1ELb1EEEvllPKT_S7_PKT0_SA_PS5_SB_.num_named_barrier, 0
	.set _ZN2at6native12_GLOBAL__N_135GammaBetaBackwardCUDAKernelTemplateIN3c108BFloat16EfLj64ELj16ELj128ELb0ELb1ELb1EEEvllPKT_S7_PKT0_SA_PS5_SB_.private_seg_size, 0
	.set _ZN2at6native12_GLOBAL__N_135GammaBetaBackwardCUDAKernelTemplateIN3c108BFloat16EfLj64ELj16ELj128ELb0ELb1ELb1EEEvllPKT_S7_PKT0_SA_PS5_SB_.uses_vcc, 1
	.set _ZN2at6native12_GLOBAL__N_135GammaBetaBackwardCUDAKernelTemplateIN3c108BFloat16EfLj64ELj16ELj128ELb0ELb1ELb1EEEvllPKT_S7_PKT0_SA_PS5_SB_.uses_flat_scratch, 0
	.set _ZN2at6native12_GLOBAL__N_135GammaBetaBackwardCUDAKernelTemplateIN3c108BFloat16EfLj64ELj16ELj128ELb0ELb1ELb1EEEvllPKT_S7_PKT0_SA_PS5_SB_.has_dyn_sized_stack, 0
	.set _ZN2at6native12_GLOBAL__N_135GammaBetaBackwardCUDAKernelTemplateIN3c108BFloat16EfLj64ELj16ELj128ELb0ELb1ELb1EEEvllPKT_S7_PKT0_SA_PS5_SB_.has_recursion, 0
	.set _ZN2at6native12_GLOBAL__N_135GammaBetaBackwardCUDAKernelTemplateIN3c108BFloat16EfLj64ELj16ELj128ELb0ELb1ELb1EEEvllPKT_S7_PKT0_SA_PS5_SB_.has_indirect_call, 0
	.section	.AMDGPU.csdata,"",@progbits
; Kernel info:
; codeLenInByte = 1696
; TotalNumSgprs: 24
; NumVgprs: 40
; ScratchSize: 0
; MemoryBound: 0
; FloatMode: 240
; IeeeMode: 1
; LDSByteSize: 0 bytes/workgroup (compile time only)
; SGPRBlocks: 0
; VGPRBlocks: 4
; NumSGPRsForWavesPerEU: 24
; NumVGPRsForWavesPerEU: 40
; Occupancy: 16
; WaveLimiterHint : 0
; COMPUTE_PGM_RSRC2:SCRATCH_EN: 0
; COMPUTE_PGM_RSRC2:USER_SGPR: 6
; COMPUTE_PGM_RSRC2:TRAP_HANDLER: 0
; COMPUTE_PGM_RSRC2:TGID_X_EN: 1
; COMPUTE_PGM_RSRC2:TGID_Y_EN: 1
; COMPUTE_PGM_RSRC2:TGID_Z_EN: 0
; COMPUTE_PGM_RSRC2:TIDIG_COMP_CNT: 1
	.section	.text._ZN2at6native12_GLOBAL__N_135GammaBetaBackwardCUDAKernelTemplateIN3c108BFloat16EfLj64ELj16ELj128ELb0ELb0ELb1EEEvllPKT_S7_PKT0_SA_PS5_SB_,"axG",@progbits,_ZN2at6native12_GLOBAL__N_135GammaBetaBackwardCUDAKernelTemplateIN3c108BFloat16EfLj64ELj16ELj128ELb0ELb0ELb1EEEvllPKT_S7_PKT0_SA_PS5_SB_,comdat
	.globl	_ZN2at6native12_GLOBAL__N_135GammaBetaBackwardCUDAKernelTemplateIN3c108BFloat16EfLj64ELj16ELj128ELb0ELb0ELb1EEEvllPKT_S7_PKT0_SA_PS5_SB_ ; -- Begin function _ZN2at6native12_GLOBAL__N_135GammaBetaBackwardCUDAKernelTemplateIN3c108BFloat16EfLj64ELj16ELj128ELb0ELb0ELb1EEEvllPKT_S7_PKT0_SA_PS5_SB_
	.p2align	8
	.type	_ZN2at6native12_GLOBAL__N_135GammaBetaBackwardCUDAKernelTemplateIN3c108BFloat16EfLj64ELj16ELj128ELb0ELb0ELb1EEEvllPKT_S7_PKT0_SA_PS5_SB_,@function
_ZN2at6native12_GLOBAL__N_135GammaBetaBackwardCUDAKernelTemplateIN3c108BFloat16EfLj64ELj16ELj128ELb0ELb0ELb1EEEvllPKT_S7_PKT0_SA_PS5_SB_: ; @_ZN2at6native12_GLOBAL__N_135GammaBetaBackwardCUDAKernelTemplateIN3c108BFloat16EfLj64ELj16ELj128ELb0ELb0ELb1EEEvllPKT_S7_PKT0_SA_PS5_SB_
; %bb.0:
	s_clause 0x1
	s_load_dwordx8 s[8:15], s[4:5], 0x0
	s_load_dwordx2 s[2:3], s[4:5], 0x28
	s_lshl_b32 s26, s6, 6
	s_mov_b32 s17, 0
	s_or_b32 s16, s26, 63
	s_waitcnt lgkmcnt(0)
	v_cmp_le_i64_e64 s0, s[10:11], s[16:17]
	s_lshl_b32 s16, s7, 7
	v_cmp_gt_i64_e64 s7, s[8:9], s[16:17]
	s_and_b32 vcc_lo, exec_lo, s0
	v_cndmask_b32_e64 v2, 0, 1, s7
	v_cmp_ne_u32_e64 s0, 1, v2
	s_cbranch_vccz .LBB195_49
; %bb.1:
	v_mov_b32_e32 v85, 0
	s_and_b32 vcc_lo, exec_lo, s0
	s_cbranch_vccnz .LBB195_50
; %bb.2:
	v_lshlrev_b32_e32 v21, 3, v1
	v_mov_b32_e32 v2, 0
	v_add_nc_u32_e32 v5, s26, v0
	s_load_dword s1, s[4:5], 0x44
	s_add_u32 s18, s4, 64
	v_add_co_u32 v11, s0, v21, s16
	v_add_co_ci_u32_e64 v12, null, 0, 0, s0
	v_mov_b32_e32 v6, v2
	v_mul_lo_u32 v7, s11, v11
	v_mad_u64_u32 v[3:4], null, s10, v11, 0
	v_mul_lo_u32 v8, s10, v12
	v_cmp_gt_i64_e64 s0, s[10:11], v[5:6]
	v_lshlrev_b64 v[19:20], 1, v[5:6]
	s_addc_u32 s19, s5, 0
	v_mov_b32_e32 v54, 0
	s_mov_b64 s[24:25], s[16:17]
	v_add3_u32 v4, v4, v8, v7
	v_add_co_u32 v7, vcc_lo, v11, 7
	v_add_co_ci_u32_e64 v8, null, 0, v12, vcc_lo
	v_lshlrev_b64 v[5:6], 1, v[3:4]
	v_mul_lo_u32 v13, s11, v7
	s_waitcnt lgkmcnt(0)
	s_lshl_b32 s27, s1, 7
	v_mul_lo_u32 v14, s10, v8
	v_mad_u64_u32 v[7:8], null, s10, v7, 0
	v_add_co_u32 v22, vcc_lo, s12, v5
	v_add_co_ci_u32_e64 v23, null, s13, v6, vcc_lo
	v_add_co_u32 v9, vcc_lo, v11, 6
	v_add_co_ci_u32_e64 v10, null, 0, v12, vcc_lo
	v_add_co_u32 v24, vcc_lo, s14, v5
	v_mul_lo_u32 v15, s11, v9
	v_mul_lo_u32 v16, s10, v10
	v_mad_u64_u32 v[9:10], null, s10, v9, 0
	v_add3_u32 v8, v8, v14, v13
	v_add_co_ci_u32_e64 v25, null, s15, v6, vcc_lo
	v_add_co_u32 v13, vcc_lo, v11, 5
	v_add_co_ci_u32_e64 v14, null, 0, v12, vcc_lo
	v_add3_u32 v10, v10, v16, v15
	v_lshlrev_b64 v[5:6], 1, v[7:8]
	v_mul_lo_u32 v15, s11, v13
	v_mul_lo_u32 v14, s10, v14
	s_mul_i32 s1, s11, s27
	v_lshlrev_b64 v[7:8], 1, v[9:10]
	v_mad_u64_u32 v[9:10], null, s10, v13, 0
	v_add_co_u32 v26, vcc_lo, s12, v5
	v_add_co_ci_u32_e64 v27, null, s13, v6, vcc_lo
	v_add_co_u32 v28, vcc_lo, s14, v5
	v_add_co_ci_u32_e64 v29, null, s15, v6, vcc_lo
	v_add_co_u32 v30, vcc_lo, s12, v7
	v_add3_u32 v10, v10, v14, v15
	s_mul_hi_u32 s20, s10, s27
	v_add_co_ci_u32_e64 v31, null, s13, v8, vcc_lo
	v_add_co_u32 v13, vcc_lo, v11, 4
	s_add_i32 s21, s20, s1
	v_add_co_u32 v32, s1, s14, v7
	v_add_co_ci_u32_e64 v7, null, 0, v12, vcc_lo
	v_lshlrev_b64 v[5:6], 1, v[9:10]
	v_add_co_u32 v9, vcc_lo, v11, 3
	v_add_co_ci_u32_e64 v10, null, 0, v12, vcc_lo
	v_add_co_ci_u32_e64 v33, null, s15, v8, s1
	v_mul_lo_u32 v14, s11, v13
	v_mul_lo_u32 v15, s10, v7
	v_mad_u64_u32 v[7:8], null, s10, v13, 0
	v_mul_lo_u32 v13, s11, v9
	v_mul_lo_u32 v16, s10, v10
	v_mad_u64_u32 v[9:10], null, s10, v9, 0
	v_add_co_u32 v34, vcc_lo, s12, v5
	v_add_co_ci_u32_e64 v35, null, s13, v6, vcc_lo
	v_add3_u32 v8, v8, v15, v14
	v_add_co_u32 v36, vcc_lo, s14, v5
	v_add_co_ci_u32_e64 v37, null, s15, v6, vcc_lo
	v_add_co_u32 v11, vcc_lo, v11, 2
	v_add3_u32 v10, v10, v16, v13
	v_add_co_ci_u32_e64 v12, null, 0, v12, vcc_lo
	v_lshlrev_b64 v[5:6], 1, v[7:8]
	v_mul_lo_u32 v13, s11, v11
	v_lshlrev_b64 v[7:8], 1, v[9:10]
	v_mul_lo_u32 v12, s10, v12
	v_mad_u64_u32 v[9:10], null, s10, v11, 0
	v_add_co_u32 v38, vcc_lo, s12, v5
	v_add_co_ci_u32_e64 v39, null, s13, v6, vcc_lo
	v_add_co_u32 v40, vcc_lo, s14, v5
	v_add_co_ci_u32_e64 v41, null, s15, v6, vcc_lo
	;; [unrolled: 2-line block ×3, first 2 shown]
	v_add3_u32 v10, v10, v12, v13
	v_add_co_u32 v44, vcc_lo, s14, v7
	v_add_co_ci_u32_e64 v45, null, s15, v8, vcc_lo
	v_add_co_u32 v3, vcc_lo, v3, s10
	v_add_co_ci_u32_e64 v4, null, s11, v4, vcc_lo
	v_lshlrev_b64 v[5:6], 1, v[9:10]
	s_mul_i32 s20, s10, s27
	v_lshlrev_b64 v[3:4], 1, v[3:4]
	s_lshl_b64 s[20:21], s[20:21], 1
	s_add_u32 s22, s16, 0x7f
	v_add_co_u32 v46, vcc_lo, s12, v5
	v_add_co_ci_u32_e64 v47, null, s13, v6, vcc_lo
	v_add_co_u32 v48, vcc_lo, s14, v5
	v_add_co_ci_u32_e64 v49, null, s15, v6, vcc_lo
	;; [unrolled: 2-line block ×4, first 2 shown]
	s_addc_u32 s23, 0, 0
.LBB195_3:                              ; =>This Inner Loop Header: Depth=1
	v_cmp_ge_i64_e64 s1, s[22:23], s[8:9]
	v_add_co_u32 v55, s28, v21, s22
	v_add_co_ci_u32_e64 v56, null, 0, s23, s28
                                        ; implicit-def: $vgpr3_vgpr4_vgpr5_vgpr6_vgpr7_vgpr8_vgpr9_vgpr10
                                        ; implicit-def: $vgpr85
                                        ; implicit-def: $vgpr11_vgpr12_vgpr13_vgpr14_vgpr15_vgpr16_vgpr17_vgpr18
                                        ; implicit-def: $vgpr3
	s_and_b32 vcc_lo, exec_lo, s1
	s_mov_b32 s1, -1
	s_cbranch_vccz .LBB195_25
; %bb.4:                                ;   in Loop: Header=BB195_3 Depth=1
	s_load_dword s1, s[18:19], 0xc
	v_mov_b32_e32 v57, 0
	s_waitcnt lgkmcnt(0)
	s_and_b32 s1, s1, 0xffff
	v_mad_u32_u24 v3, v1, s1, v0
	s_mov_b32 s1, exec_lo
	v_and_b32_e32 v3, 31, v3
	v_cmpx_gt_u32_e32 8, v3
	s_cbranch_execz .LBB195_8
; %bb.5:                                ;   in Loop: Header=BB195_3 Depth=1
	v_add_co_u32 v3, vcc_lo, v55, v3
	v_add_co_ci_u32_e64 v4, null, 0, v56, vcc_lo
	v_mov_b32_e32 v57, 0
	v_add_co_u32 v3, vcc_lo, 0xffffff81, v3
	v_add_co_ci_u32_e64 v4, null, -1, v4, vcc_lo
	s_mov_b32 s28, exec_lo
	v_cmpx_gt_i64_e64 s[8:9], v[3:4]
	s_cbranch_execz .LBB195_7
; %bb.6:                                ;   in Loop: Header=BB195_3 Depth=1
	v_lshlrev_b64 v[3:4], 2, v[3:4]
	v_add_co_u32 v3, vcc_lo, s2, v3
	v_add_co_ci_u32_e64 v4, null, s3, v4, vcc_lo
	global_load_dword v57, v[3:4], off
.LBB195_7:                              ;   in Loop: Header=BB195_3 Depth=1
	s_or_b32 exec_lo, exec_lo, s28
.LBB195_8:                              ;   in Loop: Header=BB195_3 Depth=1
	s_or_b32 exec_lo, exec_lo, s1
	v_add_co_u32 v10, vcc_lo, 0xffffff81, v55
	v_add_co_ci_u32_e64 v11, null, -1, v56, vcc_lo
	v_mov_b32_e32 v9, v2
	v_mov_b32_e32 v3, v2
	;; [unrolled: 1-line block ×7, first 2 shown]
	v_cmp_gt_i64_e32 vcc_lo, s[8:9], v[10:11]
	v_mov_b32_e32 v18, v9
	v_mov_b32_e32 v15, v6
	;; [unrolled: 1-line block ×16, first 2 shown]
	s_and_b32 s28, s0, vcc_lo
	s_and_saveexec_b32 s1, s28
	s_cbranch_execz .LBB195_10
; %bb.9:                                ;   in Loop: Header=BB195_3 Depth=1
	v_add_co_u32 v3, vcc_lo, v22, v19
	v_add_co_ci_u32_e64 v4, null, v23, v20, vcc_lo
	v_add_co_u32 v5, vcc_lo, v24, v19
	v_add_co_ci_u32_e64 v6, null, v25, v20, vcc_lo
	global_load_ushort v3, v[3:4], off
	global_load_ushort v11, v[5:6], off
	v_mov_b32_e32 v4, v2
	v_mov_b32_e32 v5, v2
	;; [unrolled: 1-line block ×14, first 2 shown]
	s_waitcnt vmcnt(1)
	v_lshlrev_b32_e32 v3, 16, v3
	s_waitcnt vmcnt(0)
	v_lshlrev_b32_e32 v11, 16, v11
.LBB195_10:                             ;   in Loop: Header=BB195_3 Depth=1
	s_or_b32 exec_lo, exec_lo, s1
	v_add_co_u32 v58, vcc_lo, 0xffffff82, v55
	v_add_co_ci_u32_e64 v59, null, -1, v56, vcc_lo
	v_cmp_gt_i64_e32 vcc_lo, s[8:9], v[58:59]
	s_and_b32 s28, s0, vcc_lo
	s_and_saveexec_b32 s1, s28
	s_cbranch_execz .LBB195_12
; %bb.11:                               ;   in Loop: Header=BB195_3 Depth=1
	v_add_co_u32 v58, vcc_lo, v50, v19
	v_add_co_ci_u32_e64 v59, null, v51, v20, vcc_lo
	v_add_co_u32 v60, vcc_lo, v52, v19
	v_add_co_ci_u32_e64 v61, null, v53, v20, vcc_lo
	global_load_ushort v4, v[58:59], off
	global_load_ushort v12, v[60:61], off
	s_waitcnt vmcnt(1)
	v_lshlrev_b32_e32 v4, 16, v4
	s_waitcnt vmcnt(0)
	v_lshlrev_b32_e32 v12, 16, v12
.LBB195_12:                             ;   in Loop: Header=BB195_3 Depth=1
	s_or_b32 exec_lo, exec_lo, s1
	v_add_co_u32 v58, vcc_lo, 0xffffff83, v55
	v_add_co_ci_u32_e64 v59, null, -1, v56, vcc_lo
	v_cmp_gt_i64_e32 vcc_lo, s[8:9], v[58:59]
	s_and_b32 s28, s0, vcc_lo
	s_and_saveexec_b32 s1, s28
	s_cbranch_execz .LBB195_14
; %bb.13:                               ;   in Loop: Header=BB195_3 Depth=1
	v_add_co_u32 v58, vcc_lo, v46, v19
	v_add_co_ci_u32_e64 v59, null, v47, v20, vcc_lo
	v_add_co_u32 v60, vcc_lo, v48, v19
	v_add_co_ci_u32_e64 v61, null, v49, v20, vcc_lo
	global_load_ushort v5, v[58:59], off
	global_load_ushort v13, v[60:61], off
	s_waitcnt vmcnt(1)
	v_lshlrev_b32_e32 v5, 16, v5
	s_waitcnt vmcnt(0)
	v_lshlrev_b32_e32 v13, 16, v13
.LBB195_14:                             ;   in Loop: Header=BB195_3 Depth=1
	;; [unrolled: 19-line block ×7, first 2 shown]
	s_or_b32 exec_lo, exec_lo, s1
	s_waitcnt vmcnt(0)
	ds_bpermute_b32 v58, v2, v57
	ds_bpermute_b32 v59, v2, v57 offset:4
	ds_bpermute_b32 v60, v2, v57 offset:8
	v_mul_f32_e32 v3, v11, v3
	ds_bpermute_b32 v11, v2, v57 offset:12
	v_mul_f32_e32 v4, v12, v4
	;; [unrolled: 2-line block ×3, first 2 shown]
	s_mov_b32 s1, 0
	s_waitcnt lgkmcnt(4)
	v_fma_f32 v85, v3, v58, v54
	v_mul_f32_e32 v3, v13, v5
	ds_bpermute_b32 v5, v2, v57 offset:20
	s_waitcnt lgkmcnt(4)
	v_fmac_f32_e32 v85, v4, v59
	v_mul_f32_e32 v4, v14, v6
	ds_bpermute_b32 v6, v2, v57 offset:24
	s_waitcnt lgkmcnt(4)
	v_fmac_f32_e32 v85, v3, v60
	ds_bpermute_b32 v3, v2, v57 offset:28
	s_waitcnt lgkmcnt(4)
	v_fmac_f32_e32 v85, v4, v11
	v_mul_f32_e32 v4, v16, v8
	s_waitcnt lgkmcnt(3)
	v_fmac_f32_e32 v85, v7, v12
	s_waitcnt lgkmcnt(2)
	v_fmac_f32_e32 v85, v4, v5
	v_mul_f32_e32 v4, v17, v9
	s_waitcnt lgkmcnt(1)
	v_fmac_f32_e32 v85, v4, v6
.LBB195_25:                             ;   in Loop: Header=BB195_3 Depth=1
	s_and_b32 vcc_lo, exec_lo, s1
	s_cbranch_vccz .LBB195_40
; %bb.26:                               ;   in Loop: Header=BB195_3 Depth=1
	s_load_dword s1, s[18:19], 0x0
	v_mov_b32_e32 v57, 0
	s_waitcnt lgkmcnt(0)
	s_cmp_lt_u32 s6, s1
	s_cselect_b32 s1, 12, 18
	s_add_u32 s28, s18, s1
	s_addc_u32 s29, s19, 0
	s_mov_b32 s1, exec_lo
	global_load_ushort v3, v2, s[28:29]
	s_waitcnt vmcnt(0)
	v_mad_u32_u24 v3, v1, v3, v0
	v_and_b32_e32 v3, 31, v3
	v_cmpx_gt_u32_e32 8, v3
	s_cbranch_execz .LBB195_30
; %bb.27:                               ;   in Loop: Header=BB195_3 Depth=1
	v_add_co_u32 v3, vcc_lo, v55, v3
	v_add_co_ci_u32_e64 v4, null, 0, v56, vcc_lo
	v_mov_b32_e32 v57, 0
	v_add_co_u32 v3, vcc_lo, 0xffffff81, v3
	v_add_co_ci_u32_e64 v4, null, -1, v4, vcc_lo
	s_mov_b32 s28, exec_lo
	v_cmpx_gt_i64_e64 s[8:9], v[3:4]
	s_cbranch_execz .LBB195_29
; %bb.28:                               ;   in Loop: Header=BB195_3 Depth=1
	v_lshlrev_b64 v[3:4], 2, v[3:4]
	v_add_co_u32 v3, vcc_lo, s2, v3
	v_add_co_ci_u32_e64 v4, null, s3, v4, vcc_lo
	global_load_dword v57, v[3:4], off
.LBB195_29:                             ;   in Loop: Header=BB195_3 Depth=1
	s_or_b32 exec_lo, exec_lo, s28
.LBB195_30:                             ;   in Loop: Header=BB195_3 Depth=1
	s_or_b32 exec_lo, exec_lo, s1
	v_mov_b32_e32 v9, v2
	v_mov_b32_e32 v3, v2
	;; [unrolled: 1-line block ×23, first 2 shown]
	s_and_saveexec_b32 s1, s0
	s_cbranch_execnz .LBB195_42
; %bb.31:                               ;   in Loop: Header=BB195_3 Depth=1
	s_or_b32 exec_lo, exec_lo, s1
	s_and_saveexec_b32 s1, s0
	s_cbranch_execnz .LBB195_43
.LBB195_32:                             ;   in Loop: Header=BB195_3 Depth=1
	s_or_b32 exec_lo, exec_lo, s1
	s_and_saveexec_b32 s1, s0
	s_cbranch_execnz .LBB195_44
.LBB195_33:                             ;   in Loop: Header=BB195_3 Depth=1
	s_or_b32 exec_lo, exec_lo, s1
	s_and_saveexec_b32 s1, s0
	s_cbranch_execnz .LBB195_45
.LBB195_34:                             ;   in Loop: Header=BB195_3 Depth=1
	s_or_b32 exec_lo, exec_lo, s1
	s_and_saveexec_b32 s1, s0
	s_cbranch_execnz .LBB195_46
.LBB195_35:                             ;   in Loop: Header=BB195_3 Depth=1
	s_or_b32 exec_lo, exec_lo, s1
	s_and_saveexec_b32 s1, s0
	s_cbranch_execnz .LBB195_47
.LBB195_36:                             ;   in Loop: Header=BB195_3 Depth=1
	s_or_b32 exec_lo, exec_lo, s1
	s_and_saveexec_b32 s1, s0
	s_cbranch_execnz .LBB195_48
.LBB195_37:                             ;   in Loop: Header=BB195_3 Depth=1
	s_or_b32 exec_lo, exec_lo, s1
	s_and_saveexec_b32 s1, s0
	s_cbranch_execz .LBB195_39
.LBB195_38:                             ;   in Loop: Header=BB195_3 Depth=1
	v_add_co_u32 v55, vcc_lo, v26, v19
	v_add_co_ci_u32_e64 v56, null, v27, v20, vcc_lo
	v_add_co_u32 v58, vcc_lo, v28, v19
	v_add_co_ci_u32_e64 v59, null, v29, v20, vcc_lo
	global_load_ushort v10, v[55:56], off
	global_load_ushort v18, v[58:59], off
	s_waitcnt vmcnt(1)
	v_lshlrev_b32_e32 v10, 16, v10
	s_waitcnt vmcnt(0)
	v_lshlrev_b32_e32 v18, 16, v18
.LBB195_39:                             ;   in Loop: Header=BB195_3 Depth=1
	s_or_b32 exec_lo, exec_lo, s1
	s_waitcnt vmcnt(0)
	ds_bpermute_b32 v55, v2, v57
	ds_bpermute_b32 v56, v2, v57 offset:4
	ds_bpermute_b32 v58, v2, v57 offset:8
	v_mul_f32_e32 v3, v11, v3
	ds_bpermute_b32 v11, v2, v57 offset:12
	v_mul_f32_e32 v4, v12, v4
	ds_bpermute_b32 v12, v2, v57 offset:16
	s_waitcnt lgkmcnt(4)
	v_fmac_f32_e32 v54, v3, v55
	v_mul_f32_e32 v3, v13, v5
	ds_bpermute_b32 v5, v2, v57 offset:20
	s_waitcnt lgkmcnt(4)
	v_fmac_f32_e32 v54, v4, v56
	;; [unrolled: 4-line block ×3, first 2 shown]
	v_mul_f32_e32 v3, v15, v7
	s_waitcnt lgkmcnt(3)
	v_fmac_f32_e32 v54, v4, v11
	v_mul_f32_e32 v4, v16, v8
	s_waitcnt lgkmcnt(2)
	v_fmac_f32_e32 v54, v3, v12
	ds_bpermute_b32 v3, v2, v57 offset:28
	s_waitcnt lgkmcnt(2)
	v_fmac_f32_e32 v54, v4, v5
	v_mul_f32_e32 v4, v17, v9
	s_waitcnt lgkmcnt(1)
	v_fmac_f32_e32 v54, v4, v6
	v_mov_b32_e32 v85, v54
.LBB195_40:                             ;   in Loop: Header=BB195_3 Depth=1
	v_add_co_u32 v22, vcc_lo, v22, s20
	v_add_co_ci_u32_e64 v23, null, s21, v23, vcc_lo
	v_add_co_u32 v24, vcc_lo, v24, s20
	v_add_co_ci_u32_e64 v25, null, s21, v25, vcc_lo
	;; [unrolled: 2-line block ×12, first 2 shown]
	v_add_co_u32 v46, vcc_lo, v46, s20
	s_add_u32 s24, s24, s27
	v_add_co_ci_u32_e64 v47, null, s21, v47, vcc_lo
	v_add_co_u32 v48, vcc_lo, v48, s20
	v_mul_f32_e32 v4, v10, v18
	s_addc_u32 s25, s25, 0
	v_add_co_ci_u32_e64 v49, null, s21, v49, vcc_lo
	v_add_co_u32 v50, vcc_lo, v50, s20
	v_cmp_lt_i64_e64 s1, s[24:25], s[8:9]
	v_add_co_ci_u32_e64 v51, null, s21, v51, vcc_lo
	v_add_co_u32 v52, vcc_lo, v52, s20
	s_waitcnt lgkmcnt(0)
	v_fmac_f32_e32 v85, v4, v3
	v_add_co_ci_u32_e64 v53, null, s21, v53, vcc_lo
	s_add_u32 s22, s22, s27
	s_addc_u32 s23, s23, 0
	s_and_b32 vcc_lo, exec_lo, s1
	s_cbranch_vccz .LBB195_50
; %bb.41:                               ;   in Loop: Header=BB195_3 Depth=1
	v_mov_b32_e32 v54, v85
	s_branch .LBB195_3
.LBB195_42:                             ;   in Loop: Header=BB195_3 Depth=1
	v_add_co_u32 v3, vcc_lo, v22, v19
	v_add_co_ci_u32_e64 v4, null, v23, v20, vcc_lo
	v_add_co_u32 v5, vcc_lo, v24, v19
	v_add_co_ci_u32_e64 v6, null, v25, v20, vcc_lo
	global_load_ushort v3, v[3:4], off
	global_load_ushort v11, v[5:6], off
	v_mov_b32_e32 v4, v2
	v_mov_b32_e32 v5, v2
	;; [unrolled: 1-line block ×14, first 2 shown]
	s_waitcnt vmcnt(1)
	v_lshlrev_b32_e32 v3, 16, v3
	s_waitcnt vmcnt(0)
	v_lshlrev_b32_e32 v11, 16, v11
	s_or_b32 exec_lo, exec_lo, s1
	s_and_saveexec_b32 s1, s0
	s_cbranch_execz .LBB195_32
.LBB195_43:                             ;   in Loop: Header=BB195_3 Depth=1
	v_add_co_u32 v55, vcc_lo, v50, v19
	v_add_co_ci_u32_e64 v56, null, v51, v20, vcc_lo
	v_add_co_u32 v58, vcc_lo, v52, v19
	v_add_co_ci_u32_e64 v59, null, v53, v20, vcc_lo
	global_load_ushort v4, v[55:56], off
	global_load_ushort v12, v[58:59], off
	s_waitcnt vmcnt(1)
	v_lshlrev_b32_e32 v4, 16, v4
	s_waitcnt vmcnt(0)
	v_lshlrev_b32_e32 v12, 16, v12
	s_or_b32 exec_lo, exec_lo, s1
	s_and_saveexec_b32 s1, s0
	s_cbranch_execz .LBB195_33
.LBB195_44:                             ;   in Loop: Header=BB195_3 Depth=1
	v_add_co_u32 v55, vcc_lo, v46, v19
	v_add_co_ci_u32_e64 v56, null, v47, v20, vcc_lo
	v_add_co_u32 v58, vcc_lo, v48, v19
	v_add_co_ci_u32_e64 v59, null, v49, v20, vcc_lo
	global_load_ushort v5, v[55:56], off
	global_load_ushort v13, v[58:59], off
	s_waitcnt vmcnt(1)
	v_lshlrev_b32_e32 v5, 16, v5
	s_waitcnt vmcnt(0)
	v_lshlrev_b32_e32 v13, 16, v13
	s_or_b32 exec_lo, exec_lo, s1
	s_and_saveexec_b32 s1, s0
	s_cbranch_execz .LBB195_34
.LBB195_45:                             ;   in Loop: Header=BB195_3 Depth=1
	v_add_co_u32 v55, vcc_lo, v42, v19
	v_add_co_ci_u32_e64 v56, null, v43, v20, vcc_lo
	v_add_co_u32 v58, vcc_lo, v44, v19
	v_add_co_ci_u32_e64 v59, null, v45, v20, vcc_lo
	global_load_ushort v6, v[55:56], off
	global_load_ushort v14, v[58:59], off
	s_waitcnt vmcnt(1)
	v_lshlrev_b32_e32 v6, 16, v6
	s_waitcnt vmcnt(0)
	v_lshlrev_b32_e32 v14, 16, v14
	s_or_b32 exec_lo, exec_lo, s1
	s_and_saveexec_b32 s1, s0
	s_cbranch_execz .LBB195_35
.LBB195_46:                             ;   in Loop: Header=BB195_3 Depth=1
	v_add_co_u32 v55, vcc_lo, v38, v19
	v_add_co_ci_u32_e64 v56, null, v39, v20, vcc_lo
	v_add_co_u32 v58, vcc_lo, v40, v19
	v_add_co_ci_u32_e64 v59, null, v41, v20, vcc_lo
	global_load_ushort v7, v[55:56], off
	global_load_ushort v15, v[58:59], off
	s_waitcnt vmcnt(1)
	v_lshlrev_b32_e32 v7, 16, v7
	s_waitcnt vmcnt(0)
	v_lshlrev_b32_e32 v15, 16, v15
	s_or_b32 exec_lo, exec_lo, s1
	s_and_saveexec_b32 s1, s0
	s_cbranch_execz .LBB195_36
.LBB195_47:                             ;   in Loop: Header=BB195_3 Depth=1
	v_add_co_u32 v55, vcc_lo, v34, v19
	v_add_co_ci_u32_e64 v56, null, v35, v20, vcc_lo
	v_add_co_u32 v58, vcc_lo, v36, v19
	v_add_co_ci_u32_e64 v59, null, v37, v20, vcc_lo
	global_load_ushort v8, v[55:56], off
	global_load_ushort v16, v[58:59], off
	s_waitcnt vmcnt(1)
	v_lshlrev_b32_e32 v8, 16, v8
	s_waitcnt vmcnt(0)
	v_lshlrev_b32_e32 v16, 16, v16
	s_or_b32 exec_lo, exec_lo, s1
	s_and_saveexec_b32 s1, s0
	s_cbranch_execz .LBB195_37
.LBB195_48:                             ;   in Loop: Header=BB195_3 Depth=1
	v_add_co_u32 v55, vcc_lo, v30, v19
	v_add_co_ci_u32_e64 v56, null, v31, v20, vcc_lo
	v_add_co_u32 v58, vcc_lo, v32, v19
	v_add_co_ci_u32_e64 v59, null, v33, v20, vcc_lo
	global_load_ushort v9, v[55:56], off
	global_load_ushort v17, v[58:59], off
	s_waitcnt vmcnt(1)
	v_lshlrev_b32_e32 v9, 16, v9
	s_waitcnt vmcnt(0)
	v_lshlrev_b32_e32 v17, 16, v17
	s_or_b32 exec_lo, exec_lo, s1
	s_and_saveexec_b32 s1, s0
	s_cbranch_execnz .LBB195_38
	s_branch .LBB195_39
.LBB195_49:
                                        ; implicit-def: $vgpr85
	s_branch .LBB195_51
.LBB195_50:
	s_cbranch_execnz .LBB195_83
.LBB195_51:
	v_mov_b32_e32 v85, 0
	s_andn2_b32 vcc_lo, exec_lo, s7
	s_cbranch_vccnz .LBB195_83
; %bb.52:
	s_load_dword s7, s[4:5], 0x44
	v_lshlrev_b32_e32 v49, 3, v1
	v_lshlrev_b32_e32 v8, 4, v1
	v_mov_b32_e32 v82, 0
	v_add_co_u32 v4, s0, v49, s16
	v_add_co_ci_u32_e64 v5, null, 0, 0, s0
	s_add_u32 s0, s4, 64
	v_mul_lo_u32 v6, s11, v4
	v_mad_u64_u32 v[2:3], null, s10, v4, 0
	v_mul_lo_u32 v7, s10, v5
	s_addc_u32 s1, s5, 0
	s_waitcnt lgkmcnt(0)
	s_lshl_b32 s7, s7, 7
	v_add3_u32 v3, v3, v7, v6
	s_mul_i32 s19, s11, s7
	s_mul_hi_u32 s20, s10, s7
	s_mul_i32 s18, s10, s7
	s_add_i32 s19, s20, s19
	v_lshlrev_b64 v[6:7], 1, v[2:3]
	s_lshl_b64 s[18:19], s[18:19], 1
	s_add_u32 s20, s16, 0x7f
	s_addc_u32 s21, 0, 0
	s_lshl_b64 s[22:23], s[16:17], 1
	v_add_co_u32 v8, s22, v8, s22
	v_add_co_ci_u32_e64 v9, null, 0, s23, s22
	v_add_co_u32 v10, vcc_lo, v8, 2
	v_add_co_ci_u32_e64 v11, null, 0, v9, vcc_lo
	v_add_co_u32 v50, vcc_lo, s12, v6
	v_add_co_ci_u32_e64 v51, null, s13, v7, vcc_lo
	;; [unrolled: 2-line block ×6, first 2 shown]
	v_add_co_u32 v41, vcc_lo, v8, 10
	v_mad_u64_u32 v[21:22], null, s10, v6, s[12:13]
	v_mul_lo_u32 v7, s10, v7
	v_mul_lo_u32 v15, s11, v6
	v_mad_u64_u32 v[35:36], null, s10, v6, s[14:15]
	v_add_co_ci_u32_e64 v29, null, 0, v9, vcc_lo
	v_add_co_u32 v43, vcc_lo, v8, 12
	v_add_co_ci_u32_e64 v31, null, 0, v9, vcc_lo
	v_add_co_u32 v8, vcc_lo, v8, 14
	v_mad_u64_u32 v[19:20], null, s10, v10, s[12:13]
	v_mul_lo_u32 v11, s10, v11
	v_mul_lo_u32 v12, s11, v10
	v_mad_u64_u32 v[33:34], null, s10, v10, s[14:15]
	v_add_co_ci_u32_e64 v9, null, 0, v9, vcc_lo
	v_add_co_u32 v6, vcc_lo, v4, 7
	v_add3_u32 v22, v15, v22, v7
	v_add3_u32 v36, v15, v36, v7
	v_add_co_ci_u32_e64 v7, null, 0, v5, vcc_lo
	v_mul_lo_u32 v57, s10, v9
	v_add_co_u32 v9, vcc_lo, v4, 6
	v_add3_u32 v20, v12, v20, v11
	v_add3_u32 v34, v12, v34, v11
	v_add_co_ci_u32_e64 v12, null, 0, v5, vcc_lo
	v_mul_lo_u32 v10, s11, v6
	v_mul_lo_u32 v11, s10, v7
	v_mad_u64_u32 v[6:7], null, s10, v6, 0
	v_mad_u64_u32 v[23:24], null, s10, v13, s[12:13]
	v_mul_lo_u32 v17, s11, v13
	v_mul_lo_u32 v55, s10, v31
	v_mad_u64_u32 v[31:32], null, s10, v8, s[12:13]
	v_mul_lo_u32 v58, s11, v8
	v_mad_u64_u32 v[37:38], null, s10, v13, s[14:15]
	v_mad_u64_u32 v[45:46], null, s10, v8, s[14:15]
	v_mul_lo_u32 v13, s11, v9
	v_mul_lo_u32 v12, s10, v12
	v_mad_u64_u32 v[8:9], null, s10, v9, 0
	v_add3_u32 v7, v7, v11, v10
	v_add_co_u32 v10, vcc_lo, v4, 5
	v_mad_u64_u32 v[27:28], null, s10, v41, s[12:13]
	v_mul_lo_u32 v48, s10, v29
	v_mul_lo_u32 v54, s11, v41
	v_mad_u64_u32 v[41:42], null, s10, v41, s[14:15]
	v_add3_u32 v9, v9, v12, v13
	v_add_co_ci_u32_e64 v11, null, 0, v5, vcc_lo
	v_mad_u64_u32 v[29:30], null, s10, v43, s[12:13]
	v_mul_lo_u32 v56, s11, v43
	v_mad_u64_u32 v[43:44], null, s10, v43, s[14:15]
	v_lshlrev_b64 v[6:7], 1, v[6:7]
	v_lshlrev_b64 v[8:9], 1, v[8:9]
	v_mul_lo_u32 v12, s11, v10
	v_mul_lo_u32 v13, s10, v11
	v_mad_u64_u32 v[10:11], null, s10, v10, 0
	v_add3_u32 v28, v54, v28, v48
	v_add3_u32 v42, v54, v42, v48
	v_add_co_u32 v54, vcc_lo, s12, v6
	v_add3_u32 v30, v56, v30, v55
	v_add3_u32 v44, v56, v44, v55
	v_add_co_ci_u32_e64 v55, null, s13, v7, vcc_lo
	v_add_co_u32 v56, vcc_lo, s14, v6
	v_add3_u32 v32, v58, v32, v57
	v_add3_u32 v46, v58, v46, v57
	v_add_co_ci_u32_e64 v57, null, s15, v7, vcc_lo
	v_add_co_u32 v58, vcc_lo, s12, v8
	v_add_co_ci_u32_e64 v59, null, s13, v9, vcc_lo
	v_add3_u32 v11, v11, v13, v12
	v_add_co_u32 v12, vcc_lo, v4, 4
	v_add_co_ci_u32_e64 v13, null, 0, v5, vcc_lo
	v_add_co_u32 v60, vcc_lo, s14, v8
	v_mul_lo_u32 v14, s10, v14
	v_add_co_ci_u32_e64 v61, null, s15, v9, vcc_lo
	v_lshlrev_b64 v[6:7], 1, v[10:11]
	v_mul_lo_u32 v10, s11, v12
	v_mul_lo_u32 v11, s10, v13
	v_mad_u64_u32 v[8:9], null, s10, v12, 0
	v_add_co_u32 v12, vcc_lo, v4, 3
	v_add_co_ci_u32_e64 v13, null, 0, v5, vcc_lo
	v_add_co_u32 v62, vcc_lo, s12, v6
	v_add3_u32 v24, v17, v24, v14
	v_add3_u32 v38, v17, v38, v14
	v_add_co_ci_u32_e64 v63, null, s13, v7, vcc_lo
	v_add3_u32 v9, v9, v11, v10
	v_mul_lo_u32 v14, s11, v12
	v_mad_u64_u32 v[10:11], null, s10, v12, 0
	v_add_co_u32 v12, vcc_lo, v4, 2
	v_mul_lo_u32 v13, s10, v13
	v_add_co_ci_u32_e64 v15, null, 0, v5, vcc_lo
	v_add_co_u32 v64, vcc_lo, s14, v6
	v_lshlrev_b64 v[4:5], 1, v[8:9]
	v_add_co_ci_u32_e64 v65, null, s15, v7, vcc_lo
	v_mul_lo_u32 v8, s11, v12
	v_mul_lo_u32 v9, s10, v15
	v_mad_u64_u32 v[6:7], null, s10, v12, 0
	v_add3_u32 v11, v11, v13, v14
	v_add_co_u32 v66, vcc_lo, s12, v4
	v_add_co_ci_u32_e64 v67, null, s13, v5, vcc_lo
	v_add_co_u32 v68, vcc_lo, s14, v4
	v_add_co_ci_u32_e64 v69, null, s15, v5, vcc_lo
	v_lshlrev_b64 v[4:5], 1, v[10:11]
	v_add3_u32 v7, v7, v9, v8
	v_add_co_u32 v2, vcc_lo, v2, s10
	v_add_co_ci_u32_e64 v3, null, s11, v3, vcc_lo
	v_lshlrev_b64 v[6:7], 1, v[6:7]
	v_add_co_u32 v70, vcc_lo, s12, v4
	v_add_co_ci_u32_e64 v71, null, s13, v5, vcc_lo
	v_add_co_u32 v72, vcc_lo, s14, v4
	v_lshlrev_b64 v[3:4], 1, v[2:3]
	v_mov_b32_e32 v2, 0
	v_mad_u64_u32 v[25:26], null, s10, v16, s[12:13]
	v_mul_lo_u32 v18, s10, v18
	v_mul_lo_u32 v47, s11, v16
	v_mad_u64_u32 v[39:40], null, s10, v16, s[14:15]
	v_add_co_ci_u32_e64 v73, null, s15, v5, vcc_lo
	v_add_co_u32 v74, vcc_lo, s12, v6
	v_add_co_ci_u32_e64 v75, null, s13, v7, vcc_lo
	v_add_co_u32 v76, vcc_lo, s14, v6
	v_add_nc_u32_e32 v5, s26, v0
	v_mov_b32_e32 v6, v2
	v_add_co_ci_u32_e64 v77, null, s15, v7, vcc_lo
	v_add_co_u32 v78, vcc_lo, s12, v3
	v_add_co_ci_u32_e64 v79, null, s13, v4, vcc_lo
	v_add_co_u32 v80, vcc_lo, s14, v3
	v_add3_u32 v26, v47, v26, v18
	v_add3_u32 v40, v47, v40, v18
	v_lshlrev_b64 v[47:48], 1, v[5:6]
	v_add_co_ci_u32_e64 v81, null, s15, v4, vcc_lo
.LBB195_53:                             ; =>This Inner Loop Header: Depth=1
	v_cmp_ge_i64_e64 s12, s[20:21], s[8:9]
	v_add_co_u32 v83, s13, v49, s20
	v_add_co_ci_u32_e64 v84, null, 0, s21, s13
                                        ; implicit-def: $vgpr85
	s_and_b32 vcc_lo, exec_lo, s12
	s_mov_b32 s12, -1
	s_cbranch_vccz .LBB195_75
; %bb.54:                               ;   in Loop: Header=BB195_53 Depth=1
	s_load_dword s12, s[0:1], 0xc
	v_mov_b32_e32 v86, 0
	s_waitcnt lgkmcnt(0)
	s_and_b32 s12, s12, 0xffff
	v_mad_u32_u24 v3, v1, s12, v0
	s_mov_b32 s12, exec_lo
	v_and_b32_e32 v3, 31, v3
	v_cmpx_gt_u32_e32 8, v3
	s_cbranch_execz .LBB195_58
; %bb.55:                               ;   in Loop: Header=BB195_53 Depth=1
	v_add_co_u32 v3, vcc_lo, v83, v3
	v_add_co_ci_u32_e64 v4, null, 0, v84, vcc_lo
	v_mov_b32_e32 v86, 0
	v_add_co_u32 v3, vcc_lo, 0xffffff81, v3
	v_add_co_ci_u32_e64 v4, null, -1, v4, vcc_lo
	s_mov_b32 s13, exec_lo
	v_cmpx_gt_i64_e64 s[8:9], v[3:4]
	s_cbranch_execz .LBB195_57
; %bb.56:                               ;   in Loop: Header=BB195_53 Depth=1
	v_lshlrev_b64 v[3:4], 2, v[3:4]
	v_add_co_u32 v3, vcc_lo, s2, v3
	v_add_co_ci_u32_e64 v4, null, s3, v4, vcc_lo
	global_load_dword v86, v[3:4], off
.LBB195_57:                             ;   in Loop: Header=BB195_53 Depth=1
	s_or_b32 exec_lo, exec_lo, s13
.LBB195_58:                             ;   in Loop: Header=BB195_53 Depth=1
	s_or_b32 exec_lo, exec_lo, s12
	v_add_co_u32 v10, vcc_lo, 0xffffff81, v83
	v_add_co_ci_u32_e64 v11, null, -1, v84, vcc_lo
	v_mov_b32_e32 v9, v2
	v_mov_b32_e32 v3, v2
	;; [unrolled: 1-line block ×7, first 2 shown]
	v_cmp_gt_i64_e32 vcc_lo, s[8:9], v[10:11]
	v_mov_b32_e32 v18, v9
	v_mov_b32_e32 v15, v6
	;; [unrolled: 1-line block ×16, first 2 shown]
	s_and_saveexec_b32 s12, vcc_lo
	s_cbranch_execz .LBB195_60
; %bb.59:                               ;   in Loop: Header=BB195_53 Depth=1
	v_add_co_u32 v3, vcc_lo, v50, v47
	v_add_co_ci_u32_e64 v4, null, v51, v48, vcc_lo
	v_add_co_u32 v5, vcc_lo, v52, v47
	v_add_co_ci_u32_e64 v6, null, v53, v48, vcc_lo
	global_load_ushort v3, v[3:4], off
	global_load_ushort v11, v[5:6], off
	v_mov_b32_e32 v4, v2
	v_mov_b32_e32 v5, v2
	;; [unrolled: 1-line block ×14, first 2 shown]
	s_waitcnt vmcnt(1)
	v_lshlrev_b32_e32 v3, 16, v3
	s_waitcnt vmcnt(0)
	v_lshlrev_b32_e32 v11, 16, v11
.LBB195_60:                             ;   in Loop: Header=BB195_53 Depth=1
	s_or_b32 exec_lo, exec_lo, s12
	v_add_co_u32 v87, vcc_lo, 0xffffff82, v83
	v_add_co_ci_u32_e64 v88, null, -1, v84, vcc_lo
	s_mov_b32 s12, exec_lo
	v_cmpx_gt_i64_e64 s[8:9], v[87:88]
	s_cbranch_execz .LBB195_62
; %bb.61:                               ;   in Loop: Header=BB195_53 Depth=1
	v_add_co_u32 v87, vcc_lo, v78, v47
	v_add_co_ci_u32_e64 v88, null, v79, v48, vcc_lo
	v_add_co_u32 v89, vcc_lo, v80, v47
	v_add_co_ci_u32_e64 v90, null, v81, v48, vcc_lo
	global_load_ushort v4, v[87:88], off
	global_load_ushort v12, v[89:90], off
	s_waitcnt vmcnt(1)
	v_lshlrev_b32_e32 v4, 16, v4
	s_waitcnt vmcnt(0)
	v_lshlrev_b32_e32 v12, 16, v12
.LBB195_62:                             ;   in Loop: Header=BB195_53 Depth=1
	s_or_b32 exec_lo, exec_lo, s12
	v_add_co_u32 v87, vcc_lo, 0xffffff83, v83
	v_add_co_ci_u32_e64 v88, null, -1, v84, vcc_lo
	s_mov_b32 s12, exec_lo
	v_cmpx_gt_i64_e64 s[8:9], v[87:88]
	s_cbranch_execz .LBB195_64
; %bb.63:                               ;   in Loop: Header=BB195_53 Depth=1
	v_add_co_u32 v87, vcc_lo, v74, v47
	v_add_co_ci_u32_e64 v88, null, v75, v48, vcc_lo
	v_add_co_u32 v89, vcc_lo, v76, v47
	v_add_co_ci_u32_e64 v90, null, v77, v48, vcc_lo
	global_load_ushort v5, v[87:88], off
	global_load_ushort v13, v[89:90], off
	s_waitcnt vmcnt(1)
	v_lshlrev_b32_e32 v5, 16, v5
	s_waitcnt vmcnt(0)
	v_lshlrev_b32_e32 v13, 16, v13
.LBB195_64:                             ;   in Loop: Header=BB195_53 Depth=1
	;; [unrolled: 18-line block ×7, first 2 shown]
	s_or_b32 exec_lo, exec_lo, s12
	s_waitcnt vmcnt(0)
	ds_bpermute_b32 v85, v2, v86
	ds_bpermute_b32 v87, v2, v86 offset:4
	ds_bpermute_b32 v88, v2, v86 offset:8
	v_mul_f32_e32 v3, v11, v3
	ds_bpermute_b32 v11, v2, v86 offset:12
	v_mul_f32_e32 v4, v12, v4
	ds_bpermute_b32 v12, v2, v86 offset:16
	s_mov_b32 s12, 0
	s_waitcnt lgkmcnt(4)
	v_fma_f32 v85, v3, v85, v82
	v_mul_f32_e32 v3, v13, v5
	ds_bpermute_b32 v5, v2, v86 offset:20
	s_waitcnt lgkmcnt(4)
	v_fmac_f32_e32 v85, v4, v87
	v_mul_f32_e32 v4, v14, v6
	ds_bpermute_b32 v6, v2, v86 offset:24
	s_waitcnt lgkmcnt(4)
	v_fmac_f32_e32 v85, v3, v88
	v_mul_f32_e32 v3, v15, v7
	v_mul_f32_e32 v7, v16, v8
	s_waitcnt lgkmcnt(3)
	v_fmac_f32_e32 v85, v4, v11
	ds_bpermute_b32 v4, v2, v86 offset:28
	s_waitcnt lgkmcnt(3)
	v_fmac_f32_e32 v85, v3, v12
	v_mul_f32_e32 v3, v17, v9
	s_waitcnt lgkmcnt(2)
	v_fmac_f32_e32 v85, v7, v5
	s_waitcnt lgkmcnt(1)
	v_fmac_f32_e32 v85, v3, v6
	v_mul_f32_e32 v3, v18, v10
	s_waitcnt lgkmcnt(0)
	v_fmac_f32_e32 v85, v3, v4
.LBB195_75:                             ;   in Loop: Header=BB195_53 Depth=1
	s_and_b32 vcc_lo, exec_lo, s12
	s_cbranch_vccz .LBB195_81
; %bb.76:                               ;   in Loop: Header=BB195_53 Depth=1
	s_load_dword s12, s[0:1], 0x0
	v_mov_b32_e32 v5, 0
	s_waitcnt lgkmcnt(0)
	s_cmp_lt_u32 s6, s12
	s_cselect_b32 s12, 12, 18
	s_add_u32 s12, s0, s12
	s_addc_u32 s13, s1, 0
	global_load_ushort v3, v2, s[12:13]
	s_mov_b32 s12, exec_lo
	s_waitcnt vmcnt(0)
	v_mad_u32_u24 v3, v1, v3, v0
	v_and_b32_e32 v3, 31, v3
	v_cmpx_gt_u32_e32 8, v3
	s_cbranch_execz .LBB195_80
; %bb.77:                               ;   in Loop: Header=BB195_53 Depth=1
	v_add_co_u32 v3, vcc_lo, v83, v3
	v_add_co_ci_u32_e64 v4, null, 0, v84, vcc_lo
	v_mov_b32_e32 v5, 0
	v_add_co_u32 v3, vcc_lo, 0xffffff81, v3
	v_add_co_ci_u32_e64 v4, null, -1, v4, vcc_lo
	s_mov_b32 s13, exec_lo
	v_cmpx_gt_i64_e64 s[8:9], v[3:4]
	s_cbranch_execz .LBB195_79
; %bb.78:                               ;   in Loop: Header=BB195_53 Depth=1
	v_lshlrev_b64 v[3:4], 2, v[3:4]
	v_add_co_u32 v3, vcc_lo, s2, v3
	v_add_co_ci_u32_e64 v4, null, s3, v4, vcc_lo
	global_load_dword v5, v[3:4], off
.LBB195_79:                             ;   in Loop: Header=BB195_53 Depth=1
	s_or_b32 exec_lo, exec_lo, s13
.LBB195_80:                             ;   in Loop: Header=BB195_53 Depth=1
	s_or_b32 exec_lo, exec_lo, s12
	v_add_co_u32 v3, vcc_lo, v50, v47
	v_add_co_ci_u32_e64 v4, null, v51, v48, vcc_lo
	v_add_co_u32 v6, vcc_lo, v52, v47
	v_add_co_ci_u32_e64 v7, null, v53, v48, vcc_lo
	;; [unrolled: 2-line block ×4, first 2 shown]
	global_load_ushort v14, v[3:4], off
	global_load_ushort v15, v[6:7], off
	;; [unrolled: 1-line block ×4, first 2 shown]
	v_add_co_u32 v3, vcc_lo, v21, v47
	v_add_co_ci_u32_e64 v4, null, v22, v48, vcc_lo
	v_add_co_u32 v6, vcc_lo, v35, v47
	v_add_co_ci_u32_e64 v7, null, v36, v48, vcc_lo
	global_load_ushort v18, v[3:4], off
	v_add_co_u32 v3, vcc_lo, v23, v47
	v_add_co_ci_u32_e64 v4, null, v24, v48, vcc_lo
	v_add_co_u32 v8, vcc_lo, v37, v47
	v_add_co_ci_u32_e64 v9, null, v38, v48, vcc_lo
	;; [unrolled: 2-line block ×4, first 2 shown]
	global_load_ushort v83, v[6:7], off
	global_load_ushort v84, v[3:4], off
	;; [unrolled: 1-line block ×5, first 2 shown]
	v_add_co_u32 v3, vcc_lo, v27, v47
	v_add_co_ci_u32_e64 v4, null, v28, v48, vcc_lo
	v_add_co_u32 v6, vcc_lo, v41, v47
	v_add_co_ci_u32_e64 v7, null, v42, v48, vcc_lo
	;; [unrolled: 2-line block ×4, first 2 shown]
	global_load_ushort v13, v[3:4], off
	global_load_ushort v87, v[6:7], off
	;; [unrolled: 1-line block ×4, first 2 shown]
	v_add_co_u32 v3, vcc_lo, v45, v47
	v_add_co_ci_u32_e64 v4, null, v46, v48, vcc_lo
	v_add_co_u32 v6, vcc_lo, v31, v47
	v_add_co_ci_u32_e64 v7, null, v32, v48, vcc_lo
	global_load_ushort v3, v[3:4], off
	global_load_ushort v4, v[6:7], off
	s_waitcnt vmcnt(16)
	ds_bpermute_b32 v6, v2, v5
	ds_bpermute_b32 v7, v2, v5 offset:4
	ds_bpermute_b32 v10, v2, v5 offset:8
	s_waitcnt vmcnt(15)
	v_lshlrev_b32_e32 v14, 16, v14
	s_waitcnt vmcnt(14)
	v_lshlrev_b32_e32 v11, 16, v15
	ds_bpermute_b32 v15, v2, v5 offset:12
	s_waitcnt vmcnt(12)
	v_lshlrev_b32_e32 v17, 16, v17
	v_lshlrev_b32_e32 v16, 16, v16
	v_mul_f32_e32 v11, v14, v11
	ds_bpermute_b32 v14, v2, v5 offset:16
	v_mul_f32_e32 v16, v16, v17
	s_waitcnt lgkmcnt(4)
	v_fmac_f32_e32 v82, v11, v6
	s_waitcnt vmcnt(11)
	v_lshlrev_b32_e32 v18, 16, v18
	ds_bpermute_b32 v6, v2, v5 offset:20
	s_waitcnt lgkmcnt(4)
	v_fmac_f32_e32 v82, v16, v7
	ds_bpermute_b32 v7, v2, v5 offset:24
	ds_bpermute_b32 v5, v2, v5 offset:28
	s_waitcnt vmcnt(10)
	v_lshlrev_b32_e32 v83, 16, v83
	s_waitcnt vmcnt(9)
	v_lshlrev_b32_e32 v17, 16, v84
	;; [unrolled: 2-line block ×5, first 2 shown]
	v_mul_f32_e32 v18, v18, v83
	v_mul_f32_e32 v11, v17, v11
	;; [unrolled: 1-line block ×3, first 2 shown]
	s_waitcnt lgkmcnt(5)
	v_fmac_f32_e32 v82, v18, v10
	s_waitcnt lgkmcnt(4)
	v_fmac_f32_e32 v82, v11, v15
	s_waitcnt vmcnt(5)
	v_lshlrev_b32_e32 v13, 16, v13
	s_waitcnt vmcnt(4)
	v_lshlrev_b32_e32 v10, 16, v87
	;; [unrolled: 2-line block ×4, first 2 shown]
	s_waitcnt lgkmcnt(3)
	v_fmac_f32_e32 v82, v12, v14
	v_mul_f32_e32 v10, v13, v10
	v_mul_f32_e32 v8, v8, v9
	s_waitcnt lgkmcnt(2)
	v_fmac_f32_e32 v82, v10, v6
	s_waitcnt vmcnt(1)
	v_lshlrev_b32_e32 v3, 16, v3
	s_waitcnt vmcnt(0)
	v_lshlrev_b32_e32 v4, 16, v4
	s_waitcnt lgkmcnt(1)
	v_fmac_f32_e32 v82, v8, v7
	v_mul_f32_e32 v3, v4, v3
	s_waitcnt lgkmcnt(0)
	v_fmac_f32_e32 v82, v3, v5
	v_mov_b32_e32 v85, v82
.LBB195_81:                             ;   in Loop: Header=BB195_53 Depth=1
	v_add_co_u32 v50, vcc_lo, v50, s18
	v_add_co_ci_u32_e64 v51, null, s19, v51, vcc_lo
	v_add_co_u32 v52, vcc_lo, v52, s18
	v_add_co_ci_u32_e64 v53, null, s19, v53, vcc_lo
	;; [unrolled: 2-line block ×26, first 2 shown]
	v_add_co_u32 v74, vcc_lo, v74, s18
	s_add_u32 s16, s16, s7
	v_add_co_ci_u32_e64 v75, null, s19, v75, vcc_lo
	v_add_co_u32 v76, vcc_lo, v76, s18
	s_addc_u32 s17, s17, 0
	v_add_co_ci_u32_e64 v77, null, s19, v77, vcc_lo
	v_add_co_u32 v78, vcc_lo, v78, s18
	v_cmp_ge_i64_e64 s12, s[16:17], s[8:9]
	v_add_co_ci_u32_e64 v79, null, s19, v79, vcc_lo
	v_add_co_u32 v80, vcc_lo, v80, s18
	v_add_co_ci_u32_e64 v81, null, s19, v81, vcc_lo
	s_add_u32 s20, s20, s7
	s_addc_u32 s21, s21, 0
	s_and_b32 vcc_lo, exec_lo, s12
	s_cbranch_vccnz .LBB195_83
; %bb.82:                               ;   in Loop: Header=BB195_53 Depth=1
	v_mov_b32_e32 v82, v85
	s_branch .LBB195_53
.LBB195_83:
	v_mad_u32_u24 v2, 0x41, v1, v0
	s_mov_b32 s0, exec_lo
	v_lshl_add_u32 v3, v2, 2, 0
	v_sub_nc_u32_e32 v4, v2, v1
	v_mov_b32_e32 v1, 0
	ds_write_b32 v3, v85
	ds_write_b32 v3, v1 offset:4160
	s_waitcnt lgkmcnt(0)
	s_barrier
	buffer_gl0_inv
	v_cmpx_gt_u32_e32 0x800, v4
	s_cbranch_execz .LBB195_93
; %bb.84:
	s_load_dwordx2 s[2:3], s[4:5], 0x30
	v_and_b32_e32 v1, 31, v0
	v_lshrrev_b32_e32 v3, 5, v4
	v_cmp_gt_u32_e64 s0, 16, v1
	v_mul_u32_u24_e32 v5, 0x41, v1
                                        ; implicit-def: $vgpr1
	s_and_saveexec_b32 s1, s0
	s_cbranch_execz .LBB195_86
; %bb.85:
	v_lshlrev_b32_e32 v1, 2, v3
	v_lshlrev_b32_e32 v2, 2, v5
	v_add3_u32 v1, 0, v1, v2
	ds_read_b32 v1, v1
.LBB195_86:
	s_or_b32 exec_lo, exec_lo, s1
	v_mbcnt_lo_u32_b32 v2, -1, 0
	s_mov_b32 s7, 0
	v_cmp_ne_u32_e64 s1, 0, v0
	s_lshl_b64 s[4:5], s[6:7], 6
	s_waitcnt lgkmcnt(0)
	s_cmp_eq_u64 s[2:3], 0
	v_xor_b32_e32 v6, 8, v2
	v_xor_b32_e32 v7, 4, v2
	v_xor_b32_e32 v10, 1, v2
	s_cselect_b32 s6, -1, 0
	v_cmp_gt_i32_e32 vcc_lo, 32, v6
	v_cndmask_b32_e32 v6, v2, v6, vcc_lo
	v_cmp_gt_i32_e32 vcc_lo, 32, v7
	v_lshlrev_b32_e32 v6, 2, v6
	v_cndmask_b32_e32 v7, v2, v7, vcc_lo
	ds_bpermute_b32 v8, v6, v1
	v_lshlrev_b32_e32 v7, 2, v7
	s_waitcnt lgkmcnt(0)
	v_add_f32_e32 v1, v1, v8
	v_xor_b32_e32 v8, 2, v2
	ds_bpermute_b32 v9, v7, v1
	v_cmp_gt_i32_e32 vcc_lo, 32, v8
	v_cndmask_b32_e32 v8, v2, v8, vcc_lo
	v_cmp_gt_i32_e32 vcc_lo, 32, v10
	v_lshlrev_b32_e32 v8, 2, v8
	v_cndmask_b32_e32 v2, v2, v10, vcc_lo
	s_waitcnt lgkmcnt(0)
	v_add_f32_e32 v1, v1, v9
	ds_bpermute_b32 v9, v8, v1
	s_waitcnt lgkmcnt(0)
	v_add_f32_e32 v10, v1, v9
	v_lshlrev_b32_e32 v9, 2, v2
	v_or_b32_e32 v1, s4, v3
	v_mov_b32_e32 v2, s5
	ds_bpermute_b32 v11, v9, v10
	v_cmp_le_i64_e32 vcc_lo, s[10:11], v[1:2]
	s_or_b32 s7, s1, vcc_lo
	s_nor_b32 s8, s6, s7
	s_waitcnt lgkmcnt(0)
	v_add_f32_e32 v0, v10, v11
	s_and_saveexec_b32 s7, s8
	s_cbranch_execz .LBB195_88
; %bb.87:
	v_bfe_u32 v10, v0, 16, 1
	v_lshlrev_b64 v[1:2], 1, v[1:2]
	v_cmp_o_f32_e32 vcc_lo, v0, v0
	v_mov_b32_e32 v11, 0x7fc0
	v_add3_u32 v10, v0, v10, 0x7fff
	v_cndmask_b32_sdwa v10, v11, v10, vcc_lo dst_sel:DWORD dst_unused:UNUSED_PAD src0_sel:DWORD src1_sel:WORD_1
	v_add_co_u32 v1, vcc_lo, s2, v1
	v_add_co_ci_u32_e64 v2, null, s3, v2, vcc_lo
	global_store_short v[1:2], v10, off
.LBB195_88:
	s_or_b32 exec_lo, exec_lo, s7
	v_cmp_gt_u32_e32 vcc_lo, 0x400, v4
	s_and_b32 exec_lo, exec_lo, vcc_lo
	s_cbranch_execz .LBB195_93
; %bb.89:
	s_and_saveexec_b32 s7, s0
	s_cbranch_execz .LBB195_91
; %bb.90:
	v_lshlrev_b32_e32 v0, 2, v3
	v_lshlrev_b32_e32 v1, 2, v5
	v_add3_u32 v0, 0, v0, v1
	ds_read_b32 v0, v0 offset:128
.LBB195_91:
	s_or_b32 exec_lo, exec_lo, s7
	s_waitcnt lgkmcnt(0)
	ds_bpermute_b32 v1, v6, v0
	v_add_nc_u32_e32 v2, 32, v3
	v_mov_b32_e32 v5, s5
	v_or_b32_e32 v4, s4, v2
	v_cmp_le_i64_e32 vcc_lo, s[10:11], v[4:5]
	s_or_b32 s0, s1, vcc_lo
	s_nor_b32 s0, s6, s0
	s_waitcnt lgkmcnt(0)
	v_add_f32_e32 v0, v0, v1
	ds_bpermute_b32 v1, v7, v0
	s_waitcnt lgkmcnt(0)
	v_add_f32_e32 v0, v0, v1
	ds_bpermute_b32 v1, v8, v0
	s_waitcnt lgkmcnt(0)
	v_add_f32_e32 v0, v0, v1
	ds_bpermute_b32 v1, v9, v0
	s_and_saveexec_b32 s1, s0
	s_xor_b32 s1, exec_lo, s1
	s_cbranch_execz .LBB195_93
; %bb.92:
	s_waitcnt lgkmcnt(0)
	v_add_f32_e32 v2, v0, v1
	v_add_co_u32 v0, s0, s4, v3
	v_add_co_ci_u32_e64 v1, null, s5, 0, s0
	v_bfe_u32 v4, v2, 16, 1
	v_cmp_o_f32_e32 vcc_lo, v2, v2
	v_mov_b32_e32 v3, 0x7fc0
	v_lshlrev_b64 v[0:1], 1, v[0:1]
	v_add3_u32 v2, v2, v4, 0x7fff
	v_cndmask_b32_sdwa v2, v3, v2, vcc_lo dst_sel:DWORD dst_unused:UNUSED_PAD src0_sel:DWORD src1_sel:WORD_1
	v_add_co_u32 v0, vcc_lo, s2, v0
	v_add_co_ci_u32_e64 v1, null, s3, v1, vcc_lo
	global_store_short v[0:1], v2, off offset:64
.LBB195_93:
	s_endpgm
	.section	.rodata,"a",@progbits
	.p2align	6, 0x0
	.amdhsa_kernel _ZN2at6native12_GLOBAL__N_135GammaBetaBackwardCUDAKernelTemplateIN3c108BFloat16EfLj64ELj16ELj128ELb0ELb0ELb1EEEvllPKT_S7_PKT0_SA_PS5_SB_
		.amdhsa_group_segment_fixed_size 0
		.amdhsa_private_segment_fixed_size 0
		.amdhsa_kernarg_size 320
		.amdhsa_user_sgpr_count 6
		.amdhsa_user_sgpr_private_segment_buffer 1
		.amdhsa_user_sgpr_dispatch_ptr 0
		.amdhsa_user_sgpr_queue_ptr 0
		.amdhsa_user_sgpr_kernarg_segment_ptr 1
		.amdhsa_user_sgpr_dispatch_id 0
		.amdhsa_user_sgpr_flat_scratch_init 0
		.amdhsa_user_sgpr_private_segment_size 0
		.amdhsa_wavefront_size32 1
		.amdhsa_uses_dynamic_stack 0
		.amdhsa_system_sgpr_private_segment_wavefront_offset 0
		.amdhsa_system_sgpr_workgroup_id_x 1
		.amdhsa_system_sgpr_workgroup_id_y 1
		.amdhsa_system_sgpr_workgroup_id_z 0
		.amdhsa_system_sgpr_workgroup_info 0
		.amdhsa_system_vgpr_workitem_id 1
		.amdhsa_next_free_vgpr 91
		.amdhsa_next_free_sgpr 30
		.amdhsa_reserve_vcc 1
		.amdhsa_reserve_flat_scratch 0
		.amdhsa_float_round_mode_32 0
		.amdhsa_float_round_mode_16_64 0
		.amdhsa_float_denorm_mode_32 3
		.amdhsa_float_denorm_mode_16_64 3
		.amdhsa_dx10_clamp 1
		.amdhsa_ieee_mode 1
		.amdhsa_fp16_overflow 0
		.amdhsa_workgroup_processor_mode 1
		.amdhsa_memory_ordered 1
		.amdhsa_forward_progress 1
		.amdhsa_shared_vgpr_count 0
		.amdhsa_exception_fp_ieee_invalid_op 0
		.amdhsa_exception_fp_denorm_src 0
		.amdhsa_exception_fp_ieee_div_zero 0
		.amdhsa_exception_fp_ieee_overflow 0
		.amdhsa_exception_fp_ieee_underflow 0
		.amdhsa_exception_fp_ieee_inexact 0
		.amdhsa_exception_int_div_zero 0
	.end_amdhsa_kernel
	.section	.text._ZN2at6native12_GLOBAL__N_135GammaBetaBackwardCUDAKernelTemplateIN3c108BFloat16EfLj64ELj16ELj128ELb0ELb0ELb1EEEvllPKT_S7_PKT0_SA_PS5_SB_,"axG",@progbits,_ZN2at6native12_GLOBAL__N_135GammaBetaBackwardCUDAKernelTemplateIN3c108BFloat16EfLj64ELj16ELj128ELb0ELb0ELb1EEEvllPKT_S7_PKT0_SA_PS5_SB_,comdat
.Lfunc_end195:
	.size	_ZN2at6native12_GLOBAL__N_135GammaBetaBackwardCUDAKernelTemplateIN3c108BFloat16EfLj64ELj16ELj128ELb0ELb0ELb1EEEvllPKT_S7_PKT0_SA_PS5_SB_, .Lfunc_end195-_ZN2at6native12_GLOBAL__N_135GammaBetaBackwardCUDAKernelTemplateIN3c108BFloat16EfLj64ELj16ELj128ELb0ELb0ELb1EEEvllPKT_S7_PKT0_SA_PS5_SB_
                                        ; -- End function
	.set _ZN2at6native12_GLOBAL__N_135GammaBetaBackwardCUDAKernelTemplateIN3c108BFloat16EfLj64ELj16ELj128ELb0ELb0ELb1EEEvllPKT_S7_PKT0_SA_PS5_SB_.num_vgpr, 91
	.set _ZN2at6native12_GLOBAL__N_135GammaBetaBackwardCUDAKernelTemplateIN3c108BFloat16EfLj64ELj16ELj128ELb0ELb0ELb1EEEvllPKT_S7_PKT0_SA_PS5_SB_.num_agpr, 0
	.set _ZN2at6native12_GLOBAL__N_135GammaBetaBackwardCUDAKernelTemplateIN3c108BFloat16EfLj64ELj16ELj128ELb0ELb0ELb1EEEvllPKT_S7_PKT0_SA_PS5_SB_.numbered_sgpr, 30
	.set _ZN2at6native12_GLOBAL__N_135GammaBetaBackwardCUDAKernelTemplateIN3c108BFloat16EfLj64ELj16ELj128ELb0ELb0ELb1EEEvllPKT_S7_PKT0_SA_PS5_SB_.num_named_barrier, 0
	.set _ZN2at6native12_GLOBAL__N_135GammaBetaBackwardCUDAKernelTemplateIN3c108BFloat16EfLj64ELj16ELj128ELb0ELb0ELb1EEEvllPKT_S7_PKT0_SA_PS5_SB_.private_seg_size, 0
	.set _ZN2at6native12_GLOBAL__N_135GammaBetaBackwardCUDAKernelTemplateIN3c108BFloat16EfLj64ELj16ELj128ELb0ELb0ELb1EEEvllPKT_S7_PKT0_SA_PS5_SB_.uses_vcc, 1
	.set _ZN2at6native12_GLOBAL__N_135GammaBetaBackwardCUDAKernelTemplateIN3c108BFloat16EfLj64ELj16ELj128ELb0ELb0ELb1EEEvllPKT_S7_PKT0_SA_PS5_SB_.uses_flat_scratch, 0
	.set _ZN2at6native12_GLOBAL__N_135GammaBetaBackwardCUDAKernelTemplateIN3c108BFloat16EfLj64ELj16ELj128ELb0ELb0ELb1EEEvllPKT_S7_PKT0_SA_PS5_SB_.has_dyn_sized_stack, 0
	.set _ZN2at6native12_GLOBAL__N_135GammaBetaBackwardCUDAKernelTemplateIN3c108BFloat16EfLj64ELj16ELj128ELb0ELb0ELb1EEEvllPKT_S7_PKT0_SA_PS5_SB_.has_recursion, 0
	.set _ZN2at6native12_GLOBAL__N_135GammaBetaBackwardCUDAKernelTemplateIN3c108BFloat16EfLj64ELj16ELj128ELb0ELb0ELb1EEEvllPKT_S7_PKT0_SA_PS5_SB_.has_indirect_call, 0
	.section	.AMDGPU.csdata,"",@progbits
; Kernel info:
; codeLenInByte = 8264
; TotalNumSgprs: 32
; NumVgprs: 91
; ScratchSize: 0
; MemoryBound: 0
; FloatMode: 240
; IeeeMode: 1
; LDSByteSize: 0 bytes/workgroup (compile time only)
; SGPRBlocks: 0
; VGPRBlocks: 11
; NumSGPRsForWavesPerEU: 32
; NumVGPRsForWavesPerEU: 91
; Occupancy: 10
; WaveLimiterHint : 0
; COMPUTE_PGM_RSRC2:SCRATCH_EN: 0
; COMPUTE_PGM_RSRC2:USER_SGPR: 6
; COMPUTE_PGM_RSRC2:TRAP_HANDLER: 0
; COMPUTE_PGM_RSRC2:TGID_X_EN: 1
; COMPUTE_PGM_RSRC2:TGID_Y_EN: 1
; COMPUTE_PGM_RSRC2:TGID_Z_EN: 0
; COMPUTE_PGM_RSRC2:TIDIG_COMP_CNT: 1
	.section	.text._ZN2at6native12_GLOBAL__N_135GammaBetaBackwardCUDAKernelTemplateIN3c108BFloat16EfLj64ELj16ELj256ELb0ELb1ELb1EEEvllPKT_S7_PKT0_SA_PS5_SB_,"axG",@progbits,_ZN2at6native12_GLOBAL__N_135GammaBetaBackwardCUDAKernelTemplateIN3c108BFloat16EfLj64ELj16ELj256ELb0ELb1ELb1EEEvllPKT_S7_PKT0_SA_PS5_SB_,comdat
	.globl	_ZN2at6native12_GLOBAL__N_135GammaBetaBackwardCUDAKernelTemplateIN3c108BFloat16EfLj64ELj16ELj256ELb0ELb1ELb1EEEvllPKT_S7_PKT0_SA_PS5_SB_ ; -- Begin function _ZN2at6native12_GLOBAL__N_135GammaBetaBackwardCUDAKernelTemplateIN3c108BFloat16EfLj64ELj16ELj256ELb0ELb1ELb1EEEvllPKT_S7_PKT0_SA_PS5_SB_
	.p2align	8
	.type	_ZN2at6native12_GLOBAL__N_135GammaBetaBackwardCUDAKernelTemplateIN3c108BFloat16EfLj64ELj16ELj256ELb0ELb1ELb1EEEvllPKT_S7_PKT0_SA_PS5_SB_,@function
_ZN2at6native12_GLOBAL__N_135GammaBetaBackwardCUDAKernelTemplateIN3c108BFloat16EfLj64ELj16ELj256ELb0ELb1ELb1EEEvllPKT_S7_PKT0_SA_PS5_SB_: ; @_ZN2at6native12_GLOBAL__N_135GammaBetaBackwardCUDAKernelTemplateIN3c108BFloat16EfLj64ELj16ELj256ELb0ELb1ELb1EEEvllPKT_S7_PKT0_SA_PS5_SB_
; %bb.0:
	s_load_dwordx4 s[8:11], s[4:5], 0x0
	s_lshl_b32 s16, s7, 8
	s_mov_b32 s17, 0
	s_waitcnt lgkmcnt(0)
	v_cmp_gt_i64_e64 s0, s[8:9], s[16:17]
	s_and_b32 vcc_lo, exec_lo, s0
	s_cbranch_vccnz .LBB196_2
; %bb.1:
	s_mov_b32 s0, s17
	s_load_dwordx2 s[2:3], s[4:5], 0x30
	v_mov_b32_e32 v2, 0
	s_andn2_b32 vcc_lo, exec_lo, s0
	s_cbranch_vccz .LBB196_3
	s_branch .LBB196_9
.LBB196_2:
	s_load_dwordx2 s[2:3], s[4:5], 0x30
	v_mov_b32_e32 v2, 0
.LBB196_3:
	s_clause 0x3
	s_load_dword s0, s[4:5], 0x4c
	s_load_dword s1, s[4:5], 0x44
	s_load_dwordx4 s[12:15], s[4:5], 0x10
	s_load_dwordx2 s[18:19], s[4:5], 0x28
	v_lshlrev_b32_e32 v4, 4, v1
	v_mov_b32_e32 v3, 0
	v_lshl_add_u32 v2, s6, 6, v0
	v_mov_b32_e32 v8, 16
	v_mov_b32_e32 v9, 4
	;; [unrolled: 1-line block ×4, first 2 shown]
	v_lshlrev_b64 v[27:28], 1, v[2:3]
	v_mov_b32_e32 v12, 20
	v_mov_b32_e32 v13, 24
	;; [unrolled: 1-line block ×8, first 2 shown]
	s_waitcnt lgkmcnt(0)
	s_and_b32 s0, s0, 0xffff
	s_lshl_b32 s4, s1, 8
	v_mad_u32_u24 v5, v1, s0, v0
	v_add_co_u32 v4, s0, v4, s16
	v_add_co_ci_u32_e64 v19, null, 0, 0, s0
	v_and_b32_e32 v5, 31, v5
	v_mul_lo_u32 v21, s11, v4
	v_mad_u64_u32 v[6:7], null, s10, v4, 0
	v_mul_lo_u32 v22, s10, v19
	v_add_co_u32 v4, vcc_lo, v4, v5
	v_cmp_gt_u32_e64 s0, 16, v5
	v_add_co_ci_u32_e64 v5, null, 0, v19, vcc_lo
	s_mul_i32 s1, s11, s4
	s_mul_hi_u32 s7, s10, s4
	v_add3_u32 v7, v7, v22, v21
	v_lshlrev_b64 v[23:24], 2, v[4:5]
	v_mov_b32_e32 v19, 48
	v_mov_b32_e32 v21, 56
	;; [unrolled: 1-line block ×3, first 2 shown]
	v_lshlrev_b64 v[25:26], 1, v[6:7]
	v_mov_b32_e32 v2, 0
	v_add_co_u32 v6, vcc_lo, s18, v23
	v_add_co_ci_u32_e64 v7, null, s19, v24, vcc_lo
	v_add_co_u32 v23, vcc_lo, v25, v27
	v_add_co_ci_u32_e64 v24, null, v26, v28, vcc_lo
	s_mov_b32 s5, 0
	s_add_i32 s21, s7, s1
	s_mul_i32 s20, s10, s4
	s_lshl_b64 s[18:19], s[4:5], 2
	s_lshl_b64 s[20:21], s[20:21], 1
	;; [unrolled: 1-line block ×3, first 2 shown]
	s_branch .LBB196_6
.LBB196_4:                              ;   in Loop: Header=BB196_6 Depth=1
	s_or_b32 exec_lo, exec_lo, s5
.LBB196_5:                              ;   in Loop: Header=BB196_6 Depth=1
	s_or_b32 exec_lo, exec_lo, s1
	v_add_co_u32 v26, vcc_lo, s12, v23
	v_add_co_ci_u32_e64 v27, null, s13, v24, vcc_lo
	v_add_co_u32 v28, vcc_lo, s14, v23
	v_add_co_ci_u32_e64 v29, null, s15, v24, vcc_lo
	global_load_ushort v36, v[26:27], off
	v_add_co_u32 v26, vcc_lo, v26, s10
	v_add_co_ci_u32_e64 v27, null, s11, v27, vcc_lo
	v_add_co_u32 v30, vcc_lo, v28, s10
	v_add_co_ci_u32_e64 v31, null, s11, v29, vcc_lo
	v_add_co_u32 v32, vcc_lo, v26, s10
	v_add_co_ci_u32_e64 v33, null, s11, v27, vcc_lo
	v_add_co_u32 v34, vcc_lo, v30, s10
	v_add_co_ci_u32_e64 v35, null, s11, v31, vcc_lo
	global_load_ushort v37, v[28:29], off
	global_load_ushort v38, v[26:27], off
	global_load_ushort v39, v[30:31], off
	global_load_ushort v40, v[32:33], off
	global_load_ushort v41, v[34:35], off
	v_add_co_u32 v26, vcc_lo, v32, s10
	v_add_co_ci_u32_e64 v27, null, s11, v33, vcc_lo
	v_add_co_u32 v28, vcc_lo, v34, s10
	v_add_co_ci_u32_e64 v29, null, s11, v35, vcc_lo
	v_add_co_u32 v30, vcc_lo, v26, s10
	v_add_co_ci_u32_e64 v31, null, s11, v27, vcc_lo
	v_add_co_u32 v32, vcc_lo, v28, s10
	v_add_co_ci_u32_e64 v33, null, s11, v29, vcc_lo
	v_add_co_u32 v34, vcc_lo, v30, s10
	v_add_co_ci_u32_e64 v35, null, s11, v31, vcc_lo
	global_load_ushort v42, v[26:27], off
	global_load_ushort v43, v[28:29], off
	global_load_ushort v44, v[30:31], off
	global_load_ushort v45, v[32:33], off
	global_load_ushort v46, v[34:35], off
	v_add_co_u32 v26, vcc_lo, v32, s10
	v_add_co_ci_u32_e64 v27, null, s11, v33, vcc_lo
	;; [unrolled: 15-line block ×3, first 2 shown]
	v_add_co_u32 v28, vcc_lo, v34, s10
	v_add_co_ci_u32_e64 v29, null, s11, v35, vcc_lo
	global_load_ushort v52, v[26:27], off
	v_add_co_u32 v26, vcc_lo, v26, s10
	v_add_co_ci_u32_e64 v27, null, s11, v27, vcc_lo
	v_add_co_u32 v30, vcc_lo, v28, s10
	v_add_co_ci_u32_e64 v31, null, s11, v29, vcc_lo
	;; [unrolled: 2-line block ×4, first 2 shown]
	global_load_ushort v53, v[28:29], off
	global_load_ushort v54, v[26:27], off
	;; [unrolled: 1-line block ×5, first 2 shown]
	v_add_co_u32 v26, vcc_lo, v32, s10
	v_add_co_ci_u32_e64 v27, null, s11, v33, vcc_lo
	v_add_co_u32 v28, vcc_lo, v34, s10
	v_add_co_ci_u32_e64 v29, null, s11, v35, vcc_lo
	global_load_ushort v58, v[26:27], off
	v_add_co_u32 v26, vcc_lo, v26, s10
	v_add_co_ci_u32_e64 v27, null, s11, v27, vcc_lo
	v_add_co_u32 v30, vcc_lo, v28, s10
	v_add_co_ci_u32_e64 v31, null, s11, v29, vcc_lo
	;; [unrolled: 2-line block ×4, first 2 shown]
	global_load_ushort v59, v[28:29], off
	global_load_ushort v60, v[26:27], off
	;; [unrolled: 1-line block ×5, first 2 shown]
	v_add_co_u32 v26, vcc_lo, v34, s10
	v_add_co_ci_u32_e64 v27, null, s11, v35, vcc_lo
	v_add_co_u32 v28, vcc_lo, v32, s10
	v_add_co_ci_u32_e64 v29, null, s11, v33, vcc_lo
	global_load_ushort v32, v[26:27], off
	v_add_co_u32 v26, vcc_lo, v26, s10
	v_add_co_ci_u32_e64 v27, null, s11, v27, vcc_lo
	v_add_co_u32 v30, vcc_lo, v28, s10
	v_add_co_ci_u32_e64 v31, null, s11, v29, vcc_lo
	global_load_ushort v28, v[28:29], off
	global_load_ushort v26, v[26:27], off
	;; [unrolled: 1-line block ×3, first 2 shown]
	s_waitcnt vmcnt(32)
	ds_bpermute_b32 v29, v3, v25
	ds_bpermute_b32 v30, v9, v25
	;; [unrolled: 1-line block ×3, first 2 shown]
	s_add_u32 s16, s16, s4
	v_add_co_u32 v6, vcc_lo, v6, s18
	s_addc_u32 s17, s17, 0
	v_add_co_ci_u32_e64 v7, null, s19, v7, vcc_lo
	v_add_co_u32 v4, vcc_lo, v4, s4
	v_cmp_lt_i64_e64 s1, s[16:17], s[8:9]
	v_add_co_ci_u32_e64 v5, null, 0, v5, vcc_lo
	v_add_co_u32 v23, vcc_lo, v23, s20
	v_add_co_ci_u32_e64 v24, null, s21, v24, vcc_lo
	s_and_b32 vcc_lo, exec_lo, s1
	s_waitcnt vmcnt(31)
	v_lshlrev_b32_e32 v31, 16, v36
	ds_bpermute_b32 v36, v11, v25
	s_waitcnt vmcnt(30)
	v_lshlrev_b32_e32 v33, 16, v37
	s_waitcnt vmcnt(29)
	v_lshlrev_b32_e32 v35, 16, v38
	;; [unrolled: 2-line block ×3, first 2 shown]
	v_mul_f32_e32 v31, v31, v33
	v_lshlrev_b32_e32 v33, 16, v39
	s_waitcnt lgkmcnt(3)
	v_fmac_f32_e32 v2, v31, v29
	v_mul_f32_e32 v29, v35, v33
	s_waitcnt vmcnt(26)
	v_lshlrev_b32_e32 v31, 16, v41
	ds_bpermute_b32 v33, v8, v25
	s_waitcnt lgkmcnt(3)
	v_fmac_f32_e32 v2, v29, v30
	v_mul_f32_e32 v29, v37, v31
	ds_bpermute_b32 v31, v12, v25
	s_waitcnt vmcnt(25)
	v_lshlrev_b32_e32 v35, 16, v42
	s_waitcnt vmcnt(24)
	v_lshlrev_b32_e32 v30, 16, v43
	;; [unrolled: 2-line block ×3, first 2 shown]
	s_waitcnt lgkmcnt(3)
	v_fmac_f32_e32 v2, v29, v34
	ds_bpermute_b32 v34, v13, v25
	v_mul_f32_e32 v29, v35, v30
	s_waitcnt vmcnt(22)
	v_lshlrev_b32_e32 v30, 16, v45
	s_waitcnt vmcnt(21)
	v_lshlrev_b32_e32 v35, 16, v46
	s_waitcnt lgkmcnt(3)
	v_fmac_f32_e32 v2, v29, v36
	v_mul_f32_e32 v29, v37, v30
	ds_bpermute_b32 v36, v14, v25
	s_waitcnt lgkmcnt(3)
	v_fmac_f32_e32 v2, v29, v33
	ds_bpermute_b32 v33, v15, v25
	s_waitcnt vmcnt(20)
	v_lshlrev_b32_e32 v30, 16, v47
	s_waitcnt vmcnt(18)
	v_lshlrev_b32_e32 v37, 16, v49
	v_mul_f32_e32 v29, v35, v30
	v_lshlrev_b32_e32 v30, 16, v48
	s_waitcnt vmcnt(16)
	v_lshlrev_b32_e32 v35, 16, v51
	s_waitcnt lgkmcnt(3)
	v_fmac_f32_e32 v2, v29, v31
	v_mul_f32_e32 v29, v30, v37
	v_lshlrev_b32_e32 v30, 16, v50
	ds_bpermute_b32 v31, v16, v25
	s_waitcnt lgkmcnt(3)
	v_fmac_f32_e32 v2, v29, v34
	v_mul_f32_e32 v29, v30, v35
	s_waitcnt vmcnt(15)
	v_lshlrev_b32_e32 v30, 16, v52
	ds_bpermute_b32 v34, v17, v25
	s_waitcnt lgkmcnt(3)
	v_fmac_f32_e32 v2, v29, v36
	ds_bpermute_b32 v36, v18, v25
	s_waitcnt vmcnt(14)
	v_lshlrev_b32_e32 v37, 16, v53
	s_waitcnt vmcnt(12)
	v_lshlrev_b32_e32 v35, 16, v55
	v_mul_f32_e32 v29, v30, v37
	v_lshlrev_b32_e32 v30, 16, v54
	s_waitcnt vmcnt(10)
	v_lshlrev_b32_e32 v37, 16, v57
	s_waitcnt lgkmcnt(3)
	v_fmac_f32_e32 v2, v29, v33
	v_mul_f32_e32 v29, v30, v35
	v_lshlrev_b32_e32 v30, 16, v56
	ds_bpermute_b32 v33, v19, v25
	ds_bpermute_b32 v35, v20, v25
	s_waitcnt lgkmcnt(4)
	v_fmac_f32_e32 v2, v29, v31
	v_mul_f32_e32 v29, v30, v37
	s_waitcnt vmcnt(9)
	v_lshlrev_b32_e32 v30, 16, v58
	ds_bpermute_b32 v31, v21, v25
	ds_bpermute_b32 v25, v22, v25
	s_waitcnt lgkmcnt(5)
	v_fmac_f32_e32 v2, v29, v34
	s_waitcnt vmcnt(8)
	v_lshlrev_b32_e32 v38, 16, v59
	s_waitcnt vmcnt(6)
	v_lshlrev_b32_e32 v37, 16, v61
	;; [unrolled: 2-line block ×3, first 2 shown]
	v_mul_f32_e32 v29, v30, v38
	v_lshlrev_b32_e32 v30, 16, v60
	v_lshlrev_b32_e32 v38, 16, v62
	s_waitcnt lgkmcnt(4)
	v_fmac_f32_e32 v2, v29, v36
	v_mul_f32_e32 v29, v30, v37
	s_waitcnt vmcnt(3)
	v_lshlrev_b32_e32 v30, 16, v32
	s_waitcnt lgkmcnt(3)
	v_fmac_f32_e32 v2, v29, v33
	v_mul_f32_e32 v29, v38, v34
	s_waitcnt vmcnt(2)
	v_lshlrev_b32_e32 v28, 16, v28
	s_waitcnt vmcnt(1)
	v_lshlrev_b32_e32 v26, 16, v26
	;; [unrolled: 2-line block ×3, first 2 shown]
	s_waitcnt lgkmcnt(2)
	v_fmac_f32_e32 v2, v29, v35
	v_mul_f32_e32 v28, v28, v30
	v_mul_f32_e32 v26, v27, v26
	s_waitcnt lgkmcnt(1)
	v_fmac_f32_e32 v2, v28, v31
	s_waitcnt lgkmcnt(0)
	v_fmac_f32_e32 v2, v26, v25
	s_cbranch_vccz .LBB196_9
.LBB196_6:                              ; =>This Inner Loop Header: Depth=1
	v_mov_b32_e32 v25, 0
	s_and_saveexec_b32 s1, s0
	s_cbranch_execz .LBB196_5
; %bb.7:                                ;   in Loop: Header=BB196_6 Depth=1
	v_mov_b32_e32 v25, 0
	s_mov_b32 s5, exec_lo
	v_cmpx_gt_i64_e64 s[8:9], v[4:5]
	s_cbranch_execz .LBB196_4
; %bb.8:                                ;   in Loop: Header=BB196_6 Depth=1
	global_load_dword v25, v[6:7], off
	s_branch .LBB196_4
.LBB196_9:
	v_mad_u32_u24 v3, 0x41, v1, v0
	s_mov_b32 s0, exec_lo
	v_lshl_add_u32 v4, v3, 2, 0
	v_sub_nc_u32_e32 v3, v3, v1
	v_mov_b32_e32 v1, 0
	ds_write_b32 v4, v2
	ds_write_b32 v4, v1 offset:4160
	s_waitcnt lgkmcnt(0)
	s_barrier
	buffer_gl0_inv
	v_cmpx_gt_u32_e32 0x800, v3
	s_cbranch_execz .LBB196_19
; %bb.10:
	v_and_b32_e32 v2, 31, v0
	v_lshrrev_b32_e32 v1, 5, v3
                                        ; implicit-def: $vgpr6
	v_cmp_gt_u32_e64 s0, 16, v2
	v_mul_u32_u24_e32 v2, 0x41, v2
	s_and_saveexec_b32 s1, s0
	s_cbranch_execz .LBB196_12
; %bb.11:
	v_lshlrev_b32_e32 v4, 2, v1
	v_lshlrev_b32_e32 v5, 2, v2
	v_add3_u32 v4, 0, v4, v5
	ds_read_b32 v6, v4
.LBB196_12:
	s_or_b32 exec_lo, exec_lo, s1
	v_mbcnt_lo_u32_b32 v7, -1, 0
	s_cmp_lg_u64 s[2:3], 0
	s_mov_b32 s7, 0
	s_cselect_b32 s1, -1, 0
	s_lshl_b64 s[4:5], s[6:7], 7
	v_xor_b32_e32 v4, 8, v7
	v_xor_b32_e32 v5, 4, v7
	v_xor_b32_e32 v10, 1, v7
	v_cmp_gt_i32_e32 vcc_lo, 32, v4
	v_cndmask_b32_e32 v4, v7, v4, vcc_lo
	v_cmp_gt_i32_e32 vcc_lo, 32, v5
	v_lshlrev_b32_e32 v4, 2, v4
	v_cndmask_b32_e32 v5, v7, v5, vcc_lo
	s_waitcnt lgkmcnt(0)
	ds_bpermute_b32 v8, v4, v6
	v_lshlrev_b32_e32 v5, 2, v5
	s_waitcnt lgkmcnt(0)
	v_add_f32_e32 v8, v6, v8
	v_xor_b32_e32 v6, 2, v7
	ds_bpermute_b32 v9, v5, v8
	v_cmp_gt_i32_e32 vcc_lo, 32, v6
	v_cndmask_b32_e32 v6, v7, v6, vcc_lo
	v_cmp_gt_i32_e32 vcc_lo, 32, v10
	v_lshlrev_b32_e32 v6, 2, v6
	v_cndmask_b32_e32 v7, v7, v10, vcc_lo
	v_cmp_eq_u32_e32 vcc_lo, 0, v0
	v_lshlrev_b32_e32 v7, 2, v7
	s_and_b32 s1, vcc_lo, s1
	s_add_u32 s2, s2, s4
	s_waitcnt lgkmcnt(0)
	v_add_f32_e32 v8, v8, v9
	s_addc_u32 s3, s3, s5
	ds_bpermute_b32 v9, v6, v8
	s_waitcnt lgkmcnt(0)
	v_add_f32_e32 v8, v8, v9
	ds_bpermute_b32 v9, v7, v8
	s_waitcnt lgkmcnt(0)
	v_add_f32_e32 v0, v8, v9
	s_and_saveexec_b32 s4, s1
	s_cbranch_execz .LBB196_14
; %bb.13:
	v_bfe_u32 v8, v0, 16, 1
	v_cmp_o_f32_e32 vcc_lo, v0, v0
	v_mov_b32_e32 v9, 0x7fc0
	v_add3_u32 v8, v0, v8, 0x7fff
	v_cndmask_b32_sdwa v8, v9, v8, vcc_lo dst_sel:DWORD dst_unused:UNUSED_PAD src0_sel:DWORD src1_sel:WORD_1
	v_lshlrev_b32_e32 v9, 1, v1
	global_store_short v9, v8, s[2:3]
.LBB196_14:
	s_or_b32 exec_lo, exec_lo, s4
	v_cmp_gt_u32_e32 vcc_lo, 0x400, v3
	s_and_b32 exec_lo, exec_lo, vcc_lo
	s_cbranch_execz .LBB196_19
; %bb.15:
	s_and_saveexec_b32 s4, s0
	s_cbranch_execz .LBB196_17
; %bb.16:
	v_lshlrev_b32_e32 v0, 2, v1
	v_lshlrev_b32_e32 v2, 2, v2
	v_add3_u32 v0, 0, v0, v2
	ds_read_b32 v0, v0 offset:128
.LBB196_17:
	s_or_b32 exec_lo, exec_lo, s4
	s_waitcnt lgkmcnt(0)
	ds_bpermute_b32 v2, v4, v0
	s_waitcnt lgkmcnt(0)
	v_add_f32_e32 v0, v0, v2
	ds_bpermute_b32 v2, v5, v0
	s_waitcnt lgkmcnt(0)
	v_add_f32_e32 v0, v0, v2
	ds_bpermute_b32 v2, v6, v0
	s_waitcnt lgkmcnt(0)
	v_add_f32_e32 v0, v0, v2
	ds_bpermute_b32 v2, v7, v0
	s_and_saveexec_b32 s0, s1
	s_xor_b32 s0, exec_lo, s0
	s_cbranch_execz .LBB196_19
; %bb.18:
	s_waitcnt lgkmcnt(0)
	v_add_f32_e32 v0, v0, v2
	v_mov_b32_e32 v3, 0x7fc0
	v_lshlrev_b32_e32 v1, 1, v1
	v_bfe_u32 v2, v0, 16, 1
	v_cmp_o_f32_e32 vcc_lo, v0, v0
	v_add3_u32 v0, v0, v2, 0x7fff
	v_cndmask_b32_sdwa v0, v3, v0, vcc_lo dst_sel:DWORD dst_unused:UNUSED_PAD src0_sel:DWORD src1_sel:WORD_1
	global_store_short v1, v0, s[2:3] offset:64
.LBB196_19:
	s_endpgm
	.section	.rodata,"a",@progbits
	.p2align	6, 0x0
	.amdhsa_kernel _ZN2at6native12_GLOBAL__N_135GammaBetaBackwardCUDAKernelTemplateIN3c108BFloat16EfLj64ELj16ELj256ELb0ELb1ELb1EEEvllPKT_S7_PKT0_SA_PS5_SB_
		.amdhsa_group_segment_fixed_size 0
		.amdhsa_private_segment_fixed_size 0
		.amdhsa_kernarg_size 320
		.amdhsa_user_sgpr_count 6
		.amdhsa_user_sgpr_private_segment_buffer 1
		.amdhsa_user_sgpr_dispatch_ptr 0
		.amdhsa_user_sgpr_queue_ptr 0
		.amdhsa_user_sgpr_kernarg_segment_ptr 1
		.amdhsa_user_sgpr_dispatch_id 0
		.amdhsa_user_sgpr_flat_scratch_init 0
		.amdhsa_user_sgpr_private_segment_size 0
		.amdhsa_wavefront_size32 1
		.amdhsa_uses_dynamic_stack 0
		.amdhsa_system_sgpr_private_segment_wavefront_offset 0
		.amdhsa_system_sgpr_workgroup_id_x 1
		.amdhsa_system_sgpr_workgroup_id_y 1
		.amdhsa_system_sgpr_workgroup_id_z 0
		.amdhsa_system_sgpr_workgroup_info 0
		.amdhsa_system_vgpr_workitem_id 1
		.amdhsa_next_free_vgpr 64
		.amdhsa_next_free_sgpr 22
		.amdhsa_reserve_vcc 1
		.amdhsa_reserve_flat_scratch 0
		.amdhsa_float_round_mode_32 0
		.amdhsa_float_round_mode_16_64 0
		.amdhsa_float_denorm_mode_32 3
		.amdhsa_float_denorm_mode_16_64 3
		.amdhsa_dx10_clamp 1
		.amdhsa_ieee_mode 1
		.amdhsa_fp16_overflow 0
		.amdhsa_workgroup_processor_mode 1
		.amdhsa_memory_ordered 1
		.amdhsa_forward_progress 1
		.amdhsa_shared_vgpr_count 0
		.amdhsa_exception_fp_ieee_invalid_op 0
		.amdhsa_exception_fp_denorm_src 0
		.amdhsa_exception_fp_ieee_div_zero 0
		.amdhsa_exception_fp_ieee_overflow 0
		.amdhsa_exception_fp_ieee_underflow 0
		.amdhsa_exception_fp_ieee_inexact 0
		.amdhsa_exception_int_div_zero 0
	.end_amdhsa_kernel
	.section	.text._ZN2at6native12_GLOBAL__N_135GammaBetaBackwardCUDAKernelTemplateIN3c108BFloat16EfLj64ELj16ELj256ELb0ELb1ELb1EEEvllPKT_S7_PKT0_SA_PS5_SB_,"axG",@progbits,_ZN2at6native12_GLOBAL__N_135GammaBetaBackwardCUDAKernelTemplateIN3c108BFloat16EfLj64ELj16ELj256ELb0ELb1ELb1EEEvllPKT_S7_PKT0_SA_PS5_SB_,comdat
.Lfunc_end196:
	.size	_ZN2at6native12_GLOBAL__N_135GammaBetaBackwardCUDAKernelTemplateIN3c108BFloat16EfLj64ELj16ELj256ELb0ELb1ELb1EEEvllPKT_S7_PKT0_SA_PS5_SB_, .Lfunc_end196-_ZN2at6native12_GLOBAL__N_135GammaBetaBackwardCUDAKernelTemplateIN3c108BFloat16EfLj64ELj16ELj256ELb0ELb1ELb1EEEvllPKT_S7_PKT0_SA_PS5_SB_
                                        ; -- End function
	.set _ZN2at6native12_GLOBAL__N_135GammaBetaBackwardCUDAKernelTemplateIN3c108BFloat16EfLj64ELj16ELj256ELb0ELb1ELb1EEEvllPKT_S7_PKT0_SA_PS5_SB_.num_vgpr, 64
	.set _ZN2at6native12_GLOBAL__N_135GammaBetaBackwardCUDAKernelTemplateIN3c108BFloat16EfLj64ELj16ELj256ELb0ELb1ELb1EEEvllPKT_S7_PKT0_SA_PS5_SB_.num_agpr, 0
	.set _ZN2at6native12_GLOBAL__N_135GammaBetaBackwardCUDAKernelTemplateIN3c108BFloat16EfLj64ELj16ELj256ELb0ELb1ELb1EEEvllPKT_S7_PKT0_SA_PS5_SB_.numbered_sgpr, 22
	.set _ZN2at6native12_GLOBAL__N_135GammaBetaBackwardCUDAKernelTemplateIN3c108BFloat16EfLj64ELj16ELj256ELb0ELb1ELb1EEEvllPKT_S7_PKT0_SA_PS5_SB_.num_named_barrier, 0
	.set _ZN2at6native12_GLOBAL__N_135GammaBetaBackwardCUDAKernelTemplateIN3c108BFloat16EfLj64ELj16ELj256ELb0ELb1ELb1EEEvllPKT_S7_PKT0_SA_PS5_SB_.private_seg_size, 0
	.set _ZN2at6native12_GLOBAL__N_135GammaBetaBackwardCUDAKernelTemplateIN3c108BFloat16EfLj64ELj16ELj256ELb0ELb1ELb1EEEvllPKT_S7_PKT0_SA_PS5_SB_.uses_vcc, 1
	.set _ZN2at6native12_GLOBAL__N_135GammaBetaBackwardCUDAKernelTemplateIN3c108BFloat16EfLj64ELj16ELj256ELb0ELb1ELb1EEEvllPKT_S7_PKT0_SA_PS5_SB_.uses_flat_scratch, 0
	.set _ZN2at6native12_GLOBAL__N_135GammaBetaBackwardCUDAKernelTemplateIN3c108BFloat16EfLj64ELj16ELj256ELb0ELb1ELb1EEEvllPKT_S7_PKT0_SA_PS5_SB_.has_dyn_sized_stack, 0
	.set _ZN2at6native12_GLOBAL__N_135GammaBetaBackwardCUDAKernelTemplateIN3c108BFloat16EfLj64ELj16ELj256ELb0ELb1ELb1EEEvllPKT_S7_PKT0_SA_PS5_SB_.has_recursion, 0
	.set _ZN2at6native12_GLOBAL__N_135GammaBetaBackwardCUDAKernelTemplateIN3c108BFloat16EfLj64ELj16ELj256ELb0ELb1ELb1EEEvllPKT_S7_PKT0_SA_PS5_SB_.has_indirect_call, 0
	.section	.AMDGPU.csdata,"",@progbits
; Kernel info:
; codeLenInByte = 2388
; TotalNumSgprs: 24
; NumVgprs: 64
; ScratchSize: 0
; MemoryBound: 0
; FloatMode: 240
; IeeeMode: 1
; LDSByteSize: 0 bytes/workgroup (compile time only)
; SGPRBlocks: 0
; VGPRBlocks: 7
; NumSGPRsForWavesPerEU: 24
; NumVGPRsForWavesPerEU: 64
; Occupancy: 16
; WaveLimiterHint : 0
; COMPUTE_PGM_RSRC2:SCRATCH_EN: 0
; COMPUTE_PGM_RSRC2:USER_SGPR: 6
; COMPUTE_PGM_RSRC2:TRAP_HANDLER: 0
; COMPUTE_PGM_RSRC2:TGID_X_EN: 1
; COMPUTE_PGM_RSRC2:TGID_Y_EN: 1
; COMPUTE_PGM_RSRC2:TGID_Z_EN: 0
; COMPUTE_PGM_RSRC2:TIDIG_COMP_CNT: 1
	.section	.text._ZN2at6native12_GLOBAL__N_135GammaBetaBackwardCUDAKernelTemplateIN3c108BFloat16EfLj64ELj16ELj256ELb0ELb0ELb1EEEvllPKT_S7_PKT0_SA_PS5_SB_,"axG",@progbits,_ZN2at6native12_GLOBAL__N_135GammaBetaBackwardCUDAKernelTemplateIN3c108BFloat16EfLj64ELj16ELj256ELb0ELb0ELb1EEEvllPKT_S7_PKT0_SA_PS5_SB_,comdat
	.globl	_ZN2at6native12_GLOBAL__N_135GammaBetaBackwardCUDAKernelTemplateIN3c108BFloat16EfLj64ELj16ELj256ELb0ELb0ELb1EEEvllPKT_S7_PKT0_SA_PS5_SB_ ; -- Begin function _ZN2at6native12_GLOBAL__N_135GammaBetaBackwardCUDAKernelTemplateIN3c108BFloat16EfLj64ELj16ELj256ELb0ELb0ELb1EEEvllPKT_S7_PKT0_SA_PS5_SB_
	.p2align	8
	.type	_ZN2at6native12_GLOBAL__N_135GammaBetaBackwardCUDAKernelTemplateIN3c108BFloat16EfLj64ELj16ELj256ELb0ELb0ELb1EEEvllPKT_S7_PKT0_SA_PS5_SB_,@function
_ZN2at6native12_GLOBAL__N_135GammaBetaBackwardCUDAKernelTemplateIN3c108BFloat16EfLj64ELj16ELj256ELb0ELb0ELb1EEEvllPKT_S7_PKT0_SA_PS5_SB_: ; @_ZN2at6native12_GLOBAL__N_135GammaBetaBackwardCUDAKernelTemplateIN3c108BFloat16EfLj64ELj16ELj256ELb0ELb0ELb1EEEvllPKT_S7_PKT0_SA_PS5_SB_
; %bb.0:
	s_mov_b64 s[38:39], s[2:3]
	s_mov_b64 s[36:37], s[0:1]
	s_mov_b32 s17, 0
	s_add_u32 s36, s36, s8
	s_clause 0x1
	s_load_dwordx8 s[8:15], s[4:5], 0x0
	s_load_dwordx2 s[2:3], s[4:5], 0x28
	s_addc_u32 s37, s37, 0
	s_lshl_b32 s26, s6, 6
	s_or_b32 s16, s26, 63
	s_waitcnt lgkmcnt(0)
	v_cmp_le_i64_e64 s0, s[10:11], s[16:17]
	s_lshl_b32 s16, s7, 8
	v_cmp_gt_i64_e64 s7, s[8:9], s[16:17]
	s_and_b32 vcc_lo, exec_lo, s0
	v_cndmask_b32_e64 v2, 0, 1, s7
	v_cmp_ne_u32_e64 s0, 1, v2
	s_cbranch_vccz .LBB197_81
; %bb.1:
	v_mov_b32_e32 v98, 0
	s_and_b32 vcc_lo, exec_lo, s0
	s_cbranch_vccnz .LBB197_82
; %bb.2:
	v_lshlrev_b32_e32 v109, 4, v1
	v_mov_b32_e32 v2, 0
	s_load_dword s1, s[4:5], 0x44
	v_add_nc_u32_e32 v7, s26, v0
	s_add_u32 s18, s4, 64
	v_add_co_u32 v5, s0, v109, s16
	v_add_co_ci_u32_e64 v6, null, 0, 0, s0
	v_mov_b32_e32 v8, v2
	v_mul_lo_u32 v12, s11, v5
	v_mad_u64_u32 v[3:4], null, s10, v5, 0
	v_mul_lo_u32 v9, s10, v6
	v_add_co_u32 v10, vcc_lo, v5, 15
	v_add_co_ci_u32_e64 v11, null, 0, v6, vcc_lo
	v_cmp_gt_i64_e64 s0, s[10:11], v[7:8]
	v_lshlrev_b64 v[35:36], 1, v[7:8]
	s_addc_u32 s19, s5, 0
	v_add3_u32 v4, v4, v9, v12
	v_mul_lo_u32 v12, s11, v10
	v_mul_lo_u32 v11, s10, v11
	v_mad_u64_u32 v[9:10], null, s10, v10, 0
	v_lshlrev_b64 v[7:8], 1, v[3:4]
	s_waitcnt lgkmcnt(0)
	s_lshl_b32 s27, s1, 8
	v_mov_b32_e32 v100, 0
	s_mul_i32 s1, s11, s27
	s_mul_hi_u32 s20, s10, s27
	s_mov_b64 s[24:25], s[16:17]
	v_add3_u32 v10, v10, v11, v12
	v_add_co_u32 v11, vcc_lo, v5, 14
	v_add_co_ci_u32_e64 v12, null, 0, v6, vcc_lo
	v_lshlrev_b64 v[9:10], 1, v[9:10]
	v_mul_lo_u32 v13, s11, v11
	v_add_co_u32 v110, vcc_lo, s12, v7
	v_mul_lo_u32 v14, s10, v12
	v_mad_u64_u32 v[11:12], null, s10, v11, 0
	v_add_co_ci_u32_e64 v37, null, s13, v8, vcc_lo
	v_add_co_u32 v38, vcc_lo, s14, v7
	v_add_co_ci_u32_e64 v39, null, s15, v8, vcc_lo
	v_add3_u32 v12, v12, v14, v13
	v_add_co_u32 v40, vcc_lo, s12, v9
	v_add_co_ci_u32_e64 v41, null, s13, v10, vcc_lo
	v_add_co_u32 v13, vcc_lo, v5, 13
	s_add_i32 s21, s20, s1
	v_add_co_u32 v42, s1, s14, v9
	v_lshlrev_b64 v[7:8], 1, v[11:12]
	v_add_co_ci_u32_e64 v9, null, 0, v6, vcc_lo
	v_add_co_u32 v11, vcc_lo, v5, 12
	v_add_co_ci_u32_e64 v12, null, 0, v6, vcc_lo
	v_add_co_ci_u32_e64 v43, null, s15, v10, s1
	v_mul_lo_u32 v14, s11, v13
	v_mul_lo_u32 v15, s10, v9
	v_mad_u64_u32 v[9:10], null, s10, v13, 0
	v_mul_lo_u32 v13, s11, v11
	v_mul_lo_u32 v16, s10, v12
	v_mad_u64_u32 v[11:12], null, s10, v11, 0
	v_add_co_u32 v44, vcc_lo, s12, v7
	v_add_co_ci_u32_e64 v45, null, s13, v8, vcc_lo
	v_add_co_u32 v46, vcc_lo, s14, v7
	v_add_co_ci_u32_e64 v47, null, s15, v8, vcc_lo
	v_add3_u32 v12, v12, v16, v13
	v_add_co_u32 v13, vcc_lo, v5, 11
	v_add3_u32 v10, v10, v15, v14
	v_add_co_ci_u32_e64 v14, null, 0, v6, vcc_lo
	v_mul_lo_u32 v15, s11, v13
	s_mul_i32 s20, s10, s27
	v_lshlrev_b64 v[7:8], 1, v[9:10]
	v_lshlrev_b64 v[9:10], 1, v[11:12]
	v_mul_lo_u32 v14, s10, v14
	v_mad_u64_u32 v[11:12], null, s10, v13, 0
	s_lshl_b64 s[20:21], s[20:21], 1
	v_add_co_u32 v48, vcc_lo, s12, v7
	v_add_co_ci_u32_e64 v49, null, s13, v8, vcc_lo
	v_add_co_u32 v50, vcc_lo, s14, v7
	v_add3_u32 v12, v12, v14, v15
	v_add_co_ci_u32_e64 v51, null, s15, v8, vcc_lo
	v_add_co_u32 v52, vcc_lo, s12, v9
	v_add_co_ci_u32_e64 v53, null, s13, v10, vcc_lo
	v_add_co_u32 v13, vcc_lo, v5, 10
	v_add_co_u32 v54, s1, s14, v9
	v_lshlrev_b64 v[7:8], 1, v[11:12]
	v_add_co_ci_u32_e64 v9, null, 0, v6, vcc_lo
	v_add_co_u32 v11, vcc_lo, v5, 9
	v_add_co_ci_u32_e64 v12, null, 0, v6, vcc_lo
	v_add_co_ci_u32_e64 v55, null, s15, v10, s1
	v_mul_lo_u32 v14, s11, v13
	v_mul_lo_u32 v15, s10, v9
	v_mad_u64_u32 v[9:10], null, s10, v13, 0
	v_mul_lo_u32 v13, s11, v11
	v_mul_lo_u32 v16, s10, v12
	v_mad_u64_u32 v[11:12], null, s10, v11, 0
	v_add_co_u32 v56, vcc_lo, s12, v7
	v_add_co_ci_u32_e64 v57, null, s13, v8, vcc_lo
	v_add_co_u32 v58, vcc_lo, s14, v7
	v_add3_u32 v10, v10, v15, v14
	v_add_co_ci_u32_e64 v59, null, s15, v8, vcc_lo
	v_add3_u32 v12, v12, v16, v13
	v_add_co_u32 v13, vcc_lo, v5, 8
	v_add_co_ci_u32_e64 v14, null, 0, v6, vcc_lo
	v_lshlrev_b64 v[7:8], 1, v[9:10]
	v_lshlrev_b64 v[9:10], 1, v[11:12]
	v_mul_lo_u32 v15, s11, v13
	v_mul_lo_u32 v14, s10, v14
	v_mad_u64_u32 v[11:12], null, s10, v13, 0
	v_add_co_u32 v60, vcc_lo, s12, v7
	v_add_co_ci_u32_e64 v61, null, s13, v8, vcc_lo
	v_add_co_u32 v62, vcc_lo, s14, v7
	v_add_co_ci_u32_e64 v63, null, s15, v8, vcc_lo
	v_add_co_u32 v64, vcc_lo, s12, v9
	v_add3_u32 v12, v12, v14, v15
	v_add_co_ci_u32_e64 v65, null, s13, v10, vcc_lo
	v_add_co_u32 v13, vcc_lo, v5, 7
	v_add_co_u32 v66, s1, s14, v9
	v_add_co_ci_u32_e64 v9, null, 0, v6, vcc_lo
	v_lshlrev_b64 v[7:8], 1, v[11:12]
	v_add_co_u32 v11, vcc_lo, v5, 6
	v_add_co_ci_u32_e64 v12, null, 0, v6, vcc_lo
	v_add_co_ci_u32_e64 v67, null, s15, v10, s1
	v_mul_lo_u32 v14, s11, v13
	v_mul_lo_u32 v15, s10, v9
	v_mad_u64_u32 v[9:10], null, s10, v13, 0
	v_mul_lo_u32 v13, s11, v11
	v_mul_lo_u32 v16, s10, v12
	v_mad_u64_u32 v[11:12], null, s10, v11, 0
	v_add_co_u32 v68, vcc_lo, s12, v7
	v_add3_u32 v10, v10, v15, v14
	v_add_co_ci_u32_e64 v69, null, s13, v8, vcc_lo
	v_add_co_u32 v70, vcc_lo, s14, v7
	v_add_co_ci_u32_e64 v71, null, s15, v8, vcc_lo
	v_add3_u32 v12, v12, v16, v13
	v_add_co_u32 v13, vcc_lo, v5, 5
	v_lshlrev_b64 v[7:8], 1, v[9:10]
	v_add_co_ci_u32_e64 v14, null, 0, v6, vcc_lo
	v_lshlrev_b64 v[9:10], 1, v[11:12]
	v_mul_lo_u32 v15, s11, v13
	v_mad_u64_u32 v[11:12], null, s10, v13, 0
	v_add_co_u32 v72, vcc_lo, s12, v7
	v_mul_lo_u32 v14, s10, v14
	v_add_co_ci_u32_e64 v73, null, s13, v8, vcc_lo
	v_add_co_u32 v74, vcc_lo, s14, v7
	v_add_co_ci_u32_e64 v75, null, s15, v8, vcc_lo
	v_add_co_u32 v76, vcc_lo, s12, v9
	;; [unrolled: 2-line block ×3, first 2 shown]
	v_add3_u32 v12, v12, v14, v15
	v_add_co_u32 v78, s1, s14, v9
	v_add_co_ci_u32_e64 v9, null, 0, v6, vcc_lo
	v_add_co_ci_u32_e64 v79, null, s15, v10, s1
	v_lshlrev_b64 v[7:8], 1, v[11:12]
	v_mul_lo_u32 v14, s11, v13
	v_add_co_u32 v11, vcc_lo, v5, 3
	v_mul_lo_u32 v15, s10, v9
	v_mad_u64_u32 v[9:10], null, s10, v13, 0
	v_add_co_ci_u32_e64 v12, null, 0, v6, vcc_lo
	v_mul_lo_u32 v13, s11, v11
	v_add_co_u32 v80, vcc_lo, s12, v7
	v_mul_lo_u32 v16, s10, v12
	v_mad_u64_u32 v[11:12], null, s10, v11, 0
	v_add3_u32 v10, v10, v15, v14
	v_add_co_ci_u32_e64 v81, null, s13, v8, vcc_lo
	v_add_co_u32 v82, vcc_lo, s14, v7
	v_add_co_ci_u32_e64 v83, null, s15, v8, vcc_lo
	v_lshlrev_b64 v[7:8], 1, v[9:10]
	v_add_co_u32 v9, vcc_lo, v5, 2
	v_add3_u32 v12, v12, v16, v13
	v_add_co_ci_u32_e64 v10, null, 0, v6, vcc_lo
	v_add_co_u32 v84, vcc_lo, s12, v7
	v_lshlrev_b64 v[5:6], 1, v[11:12]
	v_mul_lo_u32 v11, s11, v9
	v_mul_lo_u32 v12, s10, v10
	v_mad_u64_u32 v[9:10], null, s10, v9, 0
	v_add_co_ci_u32_e64 v85, null, s13, v8, vcc_lo
	v_add_co_u32 v86, vcc_lo, s14, v7
	v_add_co_ci_u32_e64 v87, null, s15, v8, vcc_lo
	v_add_co_u32 v88, vcc_lo, s12, v5
	v_add_co_ci_u32_e64 v89, null, s13, v6, vcc_lo
	v_add3_u32 v10, v10, v12, v11
	v_add_co_u32 v90, vcc_lo, s14, v5
	v_add_co_ci_u32_e64 v91, null, s15, v6, vcc_lo
	v_add_co_u32 v3, vcc_lo, v3, s10
	v_add_co_ci_u32_e64 v4, null, s11, v4, vcc_lo
	v_lshlrev_b64 v[5:6], 1, v[9:10]
	s_add_u32 s22, s16, 0xff
	s_addc_u32 s23, 0, 0
	v_lshlrev_b64 v[3:4], 1, v[3:4]
	v_add_co_u32 v92, vcc_lo, s12, v5
	v_add_co_ci_u32_e64 v93, null, s13, v6, vcc_lo
	v_add_co_u32 v94, vcc_lo, s14, v5
	v_add_co_ci_u32_e64 v95, null, s15, v6, vcc_lo
	;; [unrolled: 2-line block ×4, first 2 shown]
.LBB197_3:                              ; =>This Inner Loop Header: Depth=1
	v_cmp_ge_i64_e64 s1, s[22:23], s[8:9]
	v_add_co_u32 v101, s28, v109, s22
	v_add_co_ci_u32_e64 v102, null, 0, s23, s28
                                        ; implicit-def: $vgpr3_vgpr4_vgpr5_vgpr6_vgpr7_vgpr8_vgpr9_vgpr10_vgpr11_vgpr12_vgpr13_vgpr14_vgpr15_vgpr16_vgpr17_vgpr18
                                        ; implicit-def: $vgpr98
                                        ; implicit-def: $vgpr19_vgpr20_vgpr21_vgpr22_vgpr23_vgpr24_vgpr25_vgpr26_vgpr27_vgpr28_vgpr29_vgpr30_vgpr31_vgpr32_vgpr33_vgpr34
                                        ; implicit-def: $vgpr3
	s_and_b32 vcc_lo, exec_lo, s1
	s_mov_b32 s1, -1
	s_cbranch_vccz .LBB197_41
; %bb.4:                                ;   in Loop: Header=BB197_3 Depth=1
	s_load_dword s1, s[18:19], 0xc
	v_mov_b32_e32 v103, 0
	s_waitcnt lgkmcnt(0)
	s_and_b32 s1, s1, 0xffff
	v_mad_u32_u24 v3, v1, s1, v0
	s_mov_b32 s1, exec_lo
	v_and_b32_e32 v3, 31, v3
	v_cmpx_gt_u32_e32 16, v3
	s_cbranch_execz .LBB197_8
; %bb.5:                                ;   in Loop: Header=BB197_3 Depth=1
	v_add_co_u32 v3, vcc_lo, v101, v3
	v_add_co_ci_u32_e64 v4, null, 0, v102, vcc_lo
	v_mov_b32_e32 v103, 0
	v_add_co_u32 v3, vcc_lo, 0xffffff01, v3
	v_add_co_ci_u32_e64 v4, null, -1, v4, vcc_lo
	s_mov_b32 s28, exec_lo
	v_cmpx_gt_i64_e64 s[8:9], v[3:4]
	s_cbranch_execz .LBB197_7
; %bb.6:                                ;   in Loop: Header=BB197_3 Depth=1
	v_lshlrev_b64 v[3:4], 2, v[3:4]
	v_add_co_u32 v3, vcc_lo, s2, v3
	v_add_co_ci_u32_e64 v4, null, s3, v4, vcc_lo
	global_load_dword v103, v[3:4], off
.LBB197_7:                              ;   in Loop: Header=BB197_3 Depth=1
	s_or_b32 exec_lo, exec_lo, s28
.LBB197_8:                              ;   in Loop: Header=BB197_3 Depth=1
	s_or_b32 exec_lo, exec_lo, s1
	v_add_co_u32 v18, vcc_lo, 0xffffff01, v101
	v_add_co_ci_u32_e64 v19, null, -1, v102, vcc_lo
	v_mov_b32_e32 v17, v2
	v_mov_b32_e32 v3, v2
	;; [unrolled: 1-line block ×15, first 2 shown]
	v_cmp_gt_i64_e32 vcc_lo, s[8:9], v[18:19]
	v_mov_b32_e32 v34, v17
	v_mov_b32_e32 v31, v14
	;; [unrolled: 1-line block ×32, first 2 shown]
	s_and_b32 s28, s0, vcc_lo
	s_and_saveexec_b32 s1, s28
	s_cbranch_execz .LBB197_10
; %bb.9:                                ;   in Loop: Header=BB197_3 Depth=1
	v_add_co_u32 v3, vcc_lo, v110, v35
	v_add_co_ci_u32_e64 v4, null, v37, v36, vcc_lo
	v_add_co_u32 v5, vcc_lo, v38, v35
	v_add_co_ci_u32_e64 v6, null, v39, v36, vcc_lo
	global_load_ushort v3, v[3:4], off
	global_load_ushort v19, v[5:6], off
	v_mov_b32_e32 v4, v2
	v_mov_b32_e32 v5, v2
	;; [unrolled: 1-line block ×30, first 2 shown]
	s_waitcnt vmcnt(1)
	v_lshlrev_b32_e32 v3, 16, v3
	s_waitcnt vmcnt(0)
	v_lshlrev_b32_e32 v19, 16, v19
.LBB197_10:                             ;   in Loop: Header=BB197_3 Depth=1
	s_or_b32 exec_lo, exec_lo, s1
	v_add_co_u32 v105, vcc_lo, 0xffffff02, v101
	v_add_co_ci_u32_e64 v106, null, -1, v102, vcc_lo
	v_cmp_gt_i64_e32 vcc_lo, s[8:9], v[105:106]
	s_and_b32 s28, s0, vcc_lo
	s_and_saveexec_b32 s1, s28
	s_cbranch_execz .LBB197_12
; %bb.11:                               ;   in Loop: Header=BB197_3 Depth=1
	v_add_co_u32 v105, vcc_lo, v96, v35
	v_add_co_ci_u32_e64 v106, null, v97, v36, vcc_lo
	v_add_co_u32 v107, vcc_lo, v104, v35
	v_add_co_ci_u32_e64 v108, null, v99, v36, vcc_lo
	global_load_ushort v4, v[105:106], off
	global_load_ushort v20, v[107:108], off
	s_waitcnt vmcnt(1)
	v_lshlrev_b32_e32 v4, 16, v4
	s_waitcnt vmcnt(0)
	v_lshlrev_b32_e32 v20, 16, v20
.LBB197_12:                             ;   in Loop: Header=BB197_3 Depth=1
	s_or_b32 exec_lo, exec_lo, s1
	v_add_co_u32 v105, vcc_lo, 0xffffff03, v101
	v_add_co_ci_u32_e64 v106, null, -1, v102, vcc_lo
	v_cmp_gt_i64_e32 vcc_lo, s[8:9], v[105:106]
	s_and_b32 s28, s0, vcc_lo
	s_and_saveexec_b32 s1, s28
	s_cbranch_execz .LBB197_14
; %bb.13:                               ;   in Loop: Header=BB197_3 Depth=1
	v_add_co_u32 v105, vcc_lo, v92, v35
	v_add_co_ci_u32_e64 v106, null, v93, v36, vcc_lo
	v_add_co_u32 v107, vcc_lo, v94, v35
	v_add_co_ci_u32_e64 v108, null, v95, v36, vcc_lo
	global_load_ushort v5, v[105:106], off
	global_load_ushort v21, v[107:108], off
	s_waitcnt vmcnt(1)
	v_lshlrev_b32_e32 v5, 16, v5
	s_waitcnt vmcnt(0)
	v_lshlrev_b32_e32 v21, 16, v21
.LBB197_14:                             ;   in Loop: Header=BB197_3 Depth=1
	;; [unrolled: 19-line block ×15, first 2 shown]
	s_or_b32 exec_lo, exec_lo, s1
	s_waitcnt vmcnt(0)
	ds_bpermute_b32 v98, v2, v103
	ds_bpermute_b32 v105, v2, v103 offset:4
	ds_bpermute_b32 v106, v2, v103 offset:8
	v_mul_f32_e32 v3, v19, v3
	ds_bpermute_b32 v19, v2, v103 offset:12
	v_mul_f32_e32 v4, v20, v4
	ds_bpermute_b32 v20, v2, v103 offset:16
	s_mov_b32 s1, 0
	s_waitcnt lgkmcnt(4)
	v_fma_f32 v98, v3, v98, v100
	v_mul_f32_e32 v3, v21, v5
	ds_bpermute_b32 v5, v2, v103 offset:20
	s_waitcnt lgkmcnt(4)
	v_fmac_f32_e32 v98, v4, v105
	v_mul_f32_e32 v4, v22, v6
	ds_bpermute_b32 v6, v2, v103 offset:24
	s_waitcnt lgkmcnt(4)
	v_fmac_f32_e32 v98, v3, v106
	;; [unrolled: 4-line block ×9, first 2 shown]
	v_mul_f32_e32 v4, v30, v14
	v_mul_f32_e32 v9, v31, v15
	s_waitcnt lgkmcnt(3)
	v_fmac_f32_e32 v98, v3, v5
	ds_bpermute_b32 v5, v2, v103 offset:56
	ds_bpermute_b32 v3, v2, v103 offset:60
	s_waitcnt lgkmcnt(4)
	v_fmac_f32_e32 v98, v4, v6
	v_mul_f32_e32 v4, v32, v16
	s_waitcnt lgkmcnt(3)
	v_fmac_f32_e32 v98, v9, v7
	s_waitcnt lgkmcnt(2)
	v_fmac_f32_e32 v98, v4, v8
	v_mul_f32_e32 v4, v33, v17
	s_waitcnt lgkmcnt(1)
	v_fmac_f32_e32 v98, v4, v5
.LBB197_41:                             ;   in Loop: Header=BB197_3 Depth=1
	s_and_b32 vcc_lo, exec_lo, s1
	s_cbranch_vccz .LBB197_64
; %bb.42:                               ;   in Loop: Header=BB197_3 Depth=1
	s_load_dword s1, s[18:19], 0x0
	v_mov_b32_e32 v98, 0
	s_waitcnt lgkmcnt(0)
	s_cmp_lt_u32 s6, s1
	s_cselect_b32 s1, 12, 18
	s_add_u32 s28, s18, s1
	s_addc_u32 s29, s19, 0
	s_mov_b32 s1, exec_lo
	global_load_ushort v3, v2, s[28:29]
	s_waitcnt vmcnt(0)
	v_mad_u32_u24 v3, v1, v3, v0
	v_and_b32_e32 v3, 31, v3
	v_cmpx_gt_u32_e32 16, v3
	s_cbranch_execz .LBB197_46
; %bb.43:                               ;   in Loop: Header=BB197_3 Depth=1
	v_add_co_u32 v3, vcc_lo, v101, v3
	v_add_co_ci_u32_e64 v4, null, 0, v102, vcc_lo
	v_mov_b32_e32 v98, 0
	v_add_co_u32 v3, vcc_lo, 0xffffff01, v3
	v_add_co_ci_u32_e64 v4, null, -1, v4, vcc_lo
	s_mov_b32 s28, exec_lo
	v_cmpx_gt_i64_e64 s[8:9], v[3:4]
	s_cbranch_execz .LBB197_45
; %bb.44:                               ;   in Loop: Header=BB197_3 Depth=1
	v_lshlrev_b64 v[3:4], 2, v[3:4]
	v_add_co_u32 v3, vcc_lo, s2, v3
	v_add_co_ci_u32_e64 v4, null, s3, v4, vcc_lo
	global_load_dword v98, v[3:4], off
.LBB197_45:                             ;   in Loop: Header=BB197_3 Depth=1
	s_or_b32 exec_lo, exec_lo, s28
.LBB197_46:                             ;   in Loop: Header=BB197_3 Depth=1
	s_or_b32 exec_lo, exec_lo, s1
	v_mov_b32_e32 v17, v2
	v_mov_b32_e32 v3, v2
	;; [unrolled: 1-line block ×47, first 2 shown]
	s_and_saveexec_b32 s1, s0
	s_cbranch_execnz .LBB197_66
; %bb.47:                               ;   in Loop: Header=BB197_3 Depth=1
	s_or_b32 exec_lo, exec_lo, s1
	s_and_saveexec_b32 s1, s0
	s_cbranch_execnz .LBB197_67
.LBB197_48:                             ;   in Loop: Header=BB197_3 Depth=1
	s_or_b32 exec_lo, exec_lo, s1
	s_and_saveexec_b32 s1, s0
	s_cbranch_execnz .LBB197_68
.LBB197_49:                             ;   in Loop: Header=BB197_3 Depth=1
	s_or_b32 exec_lo, exec_lo, s1
	s_and_saveexec_b32 s1, s0
	s_cbranch_execnz .LBB197_69
.LBB197_50:                             ;   in Loop: Header=BB197_3 Depth=1
	s_or_b32 exec_lo, exec_lo, s1
	s_and_saveexec_b32 s1, s0
	s_cbranch_execnz .LBB197_70
.LBB197_51:                             ;   in Loop: Header=BB197_3 Depth=1
	s_or_b32 exec_lo, exec_lo, s1
	s_and_saveexec_b32 s1, s0
	s_cbranch_execnz .LBB197_71
.LBB197_52:                             ;   in Loop: Header=BB197_3 Depth=1
	s_or_b32 exec_lo, exec_lo, s1
	s_and_saveexec_b32 s1, s0
	s_cbranch_execnz .LBB197_72
.LBB197_53:                             ;   in Loop: Header=BB197_3 Depth=1
	s_or_b32 exec_lo, exec_lo, s1
	s_and_saveexec_b32 s1, s0
	s_cbranch_execnz .LBB197_73
.LBB197_54:                             ;   in Loop: Header=BB197_3 Depth=1
	s_or_b32 exec_lo, exec_lo, s1
	s_and_saveexec_b32 s1, s0
	s_cbranch_execnz .LBB197_74
.LBB197_55:                             ;   in Loop: Header=BB197_3 Depth=1
	s_or_b32 exec_lo, exec_lo, s1
	s_and_saveexec_b32 s1, s0
	s_cbranch_execnz .LBB197_75
.LBB197_56:                             ;   in Loop: Header=BB197_3 Depth=1
	s_or_b32 exec_lo, exec_lo, s1
	s_and_saveexec_b32 s1, s0
	s_cbranch_execnz .LBB197_76
.LBB197_57:                             ;   in Loop: Header=BB197_3 Depth=1
	s_or_b32 exec_lo, exec_lo, s1
	s_and_saveexec_b32 s1, s0
	s_cbranch_execnz .LBB197_77
.LBB197_58:                             ;   in Loop: Header=BB197_3 Depth=1
	s_or_b32 exec_lo, exec_lo, s1
	s_and_saveexec_b32 s1, s0
	s_cbranch_execnz .LBB197_78
.LBB197_59:                             ;   in Loop: Header=BB197_3 Depth=1
	s_or_b32 exec_lo, exec_lo, s1
	s_and_saveexec_b32 s1, s0
	s_cbranch_execnz .LBB197_79
.LBB197_60:                             ;   in Loop: Header=BB197_3 Depth=1
	s_or_b32 exec_lo, exec_lo, s1
	s_and_saveexec_b32 s1, s0
	s_cbranch_execnz .LBB197_80
.LBB197_61:                             ;   in Loop: Header=BB197_3 Depth=1
	s_or_b32 exec_lo, exec_lo, s1
	s_and_saveexec_b32 s1, s0
	s_cbranch_execz .LBB197_63
.LBB197_62:                             ;   in Loop: Header=BB197_3 Depth=1
	v_add_co_u32 v101, vcc_lo, v40, v35
	v_add_co_ci_u32_e64 v102, null, v41, v36, vcc_lo
	v_add_co_u32 v105, vcc_lo, v42, v35
	v_add_co_ci_u32_e64 v106, null, v43, v36, vcc_lo
	global_load_ushort v18, v[101:102], off
	global_load_ushort v34, v[105:106], off
	s_waitcnt vmcnt(1)
	v_lshlrev_b32_e32 v18, 16, v18
	s_waitcnt vmcnt(0)
	v_lshlrev_b32_e32 v34, 16, v34
.LBB197_63:                             ;   in Loop: Header=BB197_3 Depth=1
	s_or_b32 exec_lo, exec_lo, s1
	s_waitcnt vmcnt(0)
	ds_bpermute_b32 v101, v2, v98
	ds_bpermute_b32 v102, v2, v98 offset:4
	ds_bpermute_b32 v103, v2, v98 offset:8
	v_mul_f32_e32 v3, v19, v3
	ds_bpermute_b32 v19, v2, v98 offset:12
	v_mul_f32_e32 v4, v20, v4
	ds_bpermute_b32 v20, v2, v98 offset:16
	s_waitcnt lgkmcnt(4)
	v_fmac_f32_e32 v100, v3, v101
	v_mul_f32_e32 v3, v21, v5
	ds_bpermute_b32 v5, v2, v98 offset:20
	s_waitcnt lgkmcnt(4)
	v_fmac_f32_e32 v100, v4, v102
	;; [unrolled: 4-line block ×10, first 2 shown]
	v_mul_f32_e32 v4, v30, v14
	s_waitcnt lgkmcnt(3)
	v_fmac_f32_e32 v100, v3, v5
	ds_bpermute_b32 v5, v2, v98 offset:56
	v_mul_f32_e32 v3, v31, v15
	s_waitcnt lgkmcnt(3)
	v_fmac_f32_e32 v100, v4, v6
	v_mul_f32_e32 v4, v32, v16
	s_waitcnt lgkmcnt(2)
	v_fmac_f32_e32 v100, v3, v7
	ds_bpermute_b32 v3, v2, v98 offset:60
	s_waitcnt lgkmcnt(2)
	v_fmac_f32_e32 v100, v4, v8
	v_mul_f32_e32 v4, v33, v17
	s_waitcnt lgkmcnt(1)
	v_fmac_f32_e32 v100, v4, v5
	v_mov_b32_e32 v98, v100
.LBB197_64:                             ;   in Loop: Header=BB197_3 Depth=1
	v_add_co_u32 v110, vcc_lo, v110, s20
	v_add_co_ci_u32_e64 v37, null, s21, v37, vcc_lo
	v_add_co_u32 v38, vcc_lo, v38, s20
	v_add_co_ci_u32_e64 v39, null, s21, v39, vcc_lo
	;; [unrolled: 2-line block ×28, first 2 shown]
	v_add_co_u32 v92, vcc_lo, v92, s20
	s_add_u32 s24, s24, s27
	v_add_co_ci_u32_e64 v93, null, s21, v93, vcc_lo
	v_add_co_u32 v94, vcc_lo, v94, s20
	v_mul_f32_e32 v4, v18, v34
	s_addc_u32 s25, s25, 0
	v_add_co_ci_u32_e64 v95, null, s21, v95, vcc_lo
	v_add_co_u32 v96, vcc_lo, v96, s20
	v_cmp_lt_i64_e64 s1, s[24:25], s[8:9]
	v_add_co_ci_u32_e64 v97, null, s21, v97, vcc_lo
	v_add_co_u32 v104, vcc_lo, v104, s20
	s_waitcnt lgkmcnt(0)
	v_fmac_f32_e32 v98, v4, v3
	v_add_co_ci_u32_e64 v99, null, s21, v99, vcc_lo
	s_add_u32 s22, s22, s27
	s_addc_u32 s23, s23, 0
	s_and_b32 vcc_lo, exec_lo, s1
	s_cbranch_vccz .LBB197_82
; %bb.65:                               ;   in Loop: Header=BB197_3 Depth=1
	v_mov_b32_e32 v100, v98
	s_branch .LBB197_3
.LBB197_66:                             ;   in Loop: Header=BB197_3 Depth=1
	v_add_co_u32 v3, vcc_lo, v110, v35
	v_add_co_ci_u32_e64 v4, null, v37, v36, vcc_lo
	v_add_co_u32 v5, vcc_lo, v38, v35
	v_add_co_ci_u32_e64 v6, null, v39, v36, vcc_lo
	global_load_ushort v3, v[3:4], off
	global_load_ushort v19, v[5:6], off
	v_mov_b32_e32 v4, v2
	v_mov_b32_e32 v5, v2
	;; [unrolled: 1-line block ×30, first 2 shown]
	s_waitcnt vmcnt(1)
	v_lshlrev_b32_e32 v3, 16, v3
	s_waitcnt vmcnt(0)
	v_lshlrev_b32_e32 v19, 16, v19
	s_or_b32 exec_lo, exec_lo, s1
	s_and_saveexec_b32 s1, s0
	s_cbranch_execz .LBB197_48
.LBB197_67:                             ;   in Loop: Header=BB197_3 Depth=1
	v_add_co_u32 v101, vcc_lo, v96, v35
	v_add_co_ci_u32_e64 v102, null, v97, v36, vcc_lo
	v_add_co_u32 v105, vcc_lo, v104, v35
	v_add_co_ci_u32_e64 v106, null, v99, v36, vcc_lo
	global_load_ushort v4, v[101:102], off
	global_load_ushort v20, v[105:106], off
	s_waitcnt vmcnt(1)
	v_lshlrev_b32_e32 v4, 16, v4
	s_waitcnt vmcnt(0)
	v_lshlrev_b32_e32 v20, 16, v20
	s_or_b32 exec_lo, exec_lo, s1
	s_and_saveexec_b32 s1, s0
	s_cbranch_execz .LBB197_49
.LBB197_68:                             ;   in Loop: Header=BB197_3 Depth=1
	v_add_co_u32 v101, vcc_lo, v92, v35
	v_add_co_ci_u32_e64 v102, null, v93, v36, vcc_lo
	v_add_co_u32 v105, vcc_lo, v94, v35
	v_add_co_ci_u32_e64 v106, null, v95, v36, vcc_lo
	global_load_ushort v5, v[101:102], off
	global_load_ushort v21, v[105:106], off
	s_waitcnt vmcnt(1)
	v_lshlrev_b32_e32 v5, 16, v5
	s_waitcnt vmcnt(0)
	v_lshlrev_b32_e32 v21, 16, v21
	s_or_b32 exec_lo, exec_lo, s1
	s_and_saveexec_b32 s1, s0
	s_cbranch_execz .LBB197_50
.LBB197_69:                             ;   in Loop: Header=BB197_3 Depth=1
	v_add_co_u32 v101, vcc_lo, v88, v35
	v_add_co_ci_u32_e64 v102, null, v89, v36, vcc_lo
	v_add_co_u32 v105, vcc_lo, v90, v35
	v_add_co_ci_u32_e64 v106, null, v91, v36, vcc_lo
	global_load_ushort v6, v[101:102], off
	global_load_ushort v22, v[105:106], off
	s_waitcnt vmcnt(1)
	v_lshlrev_b32_e32 v6, 16, v6
	s_waitcnt vmcnt(0)
	v_lshlrev_b32_e32 v22, 16, v22
	s_or_b32 exec_lo, exec_lo, s1
	s_and_saveexec_b32 s1, s0
	s_cbranch_execz .LBB197_51
.LBB197_70:                             ;   in Loop: Header=BB197_3 Depth=1
	v_add_co_u32 v101, vcc_lo, v84, v35
	v_add_co_ci_u32_e64 v102, null, v85, v36, vcc_lo
	v_add_co_u32 v105, vcc_lo, v86, v35
	v_add_co_ci_u32_e64 v106, null, v87, v36, vcc_lo
	global_load_ushort v7, v[101:102], off
	global_load_ushort v23, v[105:106], off
	s_waitcnt vmcnt(1)
	v_lshlrev_b32_e32 v7, 16, v7
	s_waitcnt vmcnt(0)
	v_lshlrev_b32_e32 v23, 16, v23
	s_or_b32 exec_lo, exec_lo, s1
	s_and_saveexec_b32 s1, s0
	s_cbranch_execz .LBB197_52
.LBB197_71:                             ;   in Loop: Header=BB197_3 Depth=1
	v_add_co_u32 v101, vcc_lo, v80, v35
	v_add_co_ci_u32_e64 v102, null, v81, v36, vcc_lo
	v_add_co_u32 v105, vcc_lo, v82, v35
	v_add_co_ci_u32_e64 v106, null, v83, v36, vcc_lo
	global_load_ushort v8, v[101:102], off
	global_load_ushort v24, v[105:106], off
	s_waitcnt vmcnt(1)
	v_lshlrev_b32_e32 v8, 16, v8
	s_waitcnt vmcnt(0)
	v_lshlrev_b32_e32 v24, 16, v24
	s_or_b32 exec_lo, exec_lo, s1
	s_and_saveexec_b32 s1, s0
	s_cbranch_execz .LBB197_53
.LBB197_72:                             ;   in Loop: Header=BB197_3 Depth=1
	v_add_co_u32 v101, vcc_lo, v76, v35
	v_add_co_ci_u32_e64 v102, null, v77, v36, vcc_lo
	v_add_co_u32 v105, vcc_lo, v78, v35
	v_add_co_ci_u32_e64 v106, null, v79, v36, vcc_lo
	global_load_ushort v9, v[101:102], off
	global_load_ushort v25, v[105:106], off
	s_waitcnt vmcnt(1)
	v_lshlrev_b32_e32 v9, 16, v9
	s_waitcnt vmcnt(0)
	v_lshlrev_b32_e32 v25, 16, v25
	s_or_b32 exec_lo, exec_lo, s1
	s_and_saveexec_b32 s1, s0
	s_cbranch_execz .LBB197_54
.LBB197_73:                             ;   in Loop: Header=BB197_3 Depth=1
	v_add_co_u32 v101, vcc_lo, v72, v35
	v_add_co_ci_u32_e64 v102, null, v73, v36, vcc_lo
	v_add_co_u32 v105, vcc_lo, v74, v35
	v_add_co_ci_u32_e64 v106, null, v75, v36, vcc_lo
	global_load_ushort v10, v[101:102], off
	global_load_ushort v26, v[105:106], off
	s_waitcnt vmcnt(1)
	v_lshlrev_b32_e32 v10, 16, v10
	s_waitcnt vmcnt(0)
	v_lshlrev_b32_e32 v26, 16, v26
	s_or_b32 exec_lo, exec_lo, s1
	s_and_saveexec_b32 s1, s0
	s_cbranch_execz .LBB197_55
.LBB197_74:                             ;   in Loop: Header=BB197_3 Depth=1
	v_add_co_u32 v101, vcc_lo, v68, v35
	v_add_co_ci_u32_e64 v102, null, v69, v36, vcc_lo
	v_add_co_u32 v105, vcc_lo, v70, v35
	v_add_co_ci_u32_e64 v106, null, v71, v36, vcc_lo
	global_load_ushort v11, v[101:102], off
	global_load_ushort v27, v[105:106], off
	s_waitcnt vmcnt(1)
	v_lshlrev_b32_e32 v11, 16, v11
	s_waitcnt vmcnt(0)
	v_lshlrev_b32_e32 v27, 16, v27
	s_or_b32 exec_lo, exec_lo, s1
	s_and_saveexec_b32 s1, s0
	s_cbranch_execz .LBB197_56
.LBB197_75:                             ;   in Loop: Header=BB197_3 Depth=1
	v_add_co_u32 v101, vcc_lo, v64, v35
	v_add_co_ci_u32_e64 v102, null, v65, v36, vcc_lo
	v_add_co_u32 v105, vcc_lo, v66, v35
	v_add_co_ci_u32_e64 v106, null, v67, v36, vcc_lo
	global_load_ushort v12, v[101:102], off
	global_load_ushort v28, v[105:106], off
	s_waitcnt vmcnt(1)
	v_lshlrev_b32_e32 v12, 16, v12
	s_waitcnt vmcnt(0)
	v_lshlrev_b32_e32 v28, 16, v28
	s_or_b32 exec_lo, exec_lo, s1
	s_and_saveexec_b32 s1, s0
	s_cbranch_execz .LBB197_57
.LBB197_76:                             ;   in Loop: Header=BB197_3 Depth=1
	v_add_co_u32 v101, vcc_lo, v60, v35
	v_add_co_ci_u32_e64 v102, null, v61, v36, vcc_lo
	v_add_co_u32 v105, vcc_lo, v62, v35
	v_add_co_ci_u32_e64 v106, null, v63, v36, vcc_lo
	global_load_ushort v13, v[101:102], off
	global_load_ushort v29, v[105:106], off
	s_waitcnt vmcnt(1)
	v_lshlrev_b32_e32 v13, 16, v13
	s_waitcnt vmcnt(0)
	v_lshlrev_b32_e32 v29, 16, v29
	s_or_b32 exec_lo, exec_lo, s1
	s_and_saveexec_b32 s1, s0
	s_cbranch_execz .LBB197_58
.LBB197_77:                             ;   in Loop: Header=BB197_3 Depth=1
	v_add_co_u32 v101, vcc_lo, v56, v35
	v_add_co_ci_u32_e64 v102, null, v57, v36, vcc_lo
	v_add_co_u32 v105, vcc_lo, v58, v35
	v_add_co_ci_u32_e64 v106, null, v59, v36, vcc_lo
	global_load_ushort v14, v[101:102], off
	global_load_ushort v30, v[105:106], off
	s_waitcnt vmcnt(1)
	v_lshlrev_b32_e32 v14, 16, v14
	s_waitcnt vmcnt(0)
	v_lshlrev_b32_e32 v30, 16, v30
	s_or_b32 exec_lo, exec_lo, s1
	s_and_saveexec_b32 s1, s0
	s_cbranch_execz .LBB197_59
.LBB197_78:                             ;   in Loop: Header=BB197_3 Depth=1
	v_add_co_u32 v101, vcc_lo, v52, v35
	v_add_co_ci_u32_e64 v102, null, v53, v36, vcc_lo
	v_add_co_u32 v105, vcc_lo, v54, v35
	v_add_co_ci_u32_e64 v106, null, v55, v36, vcc_lo
	global_load_ushort v15, v[101:102], off
	global_load_ushort v31, v[105:106], off
	s_waitcnt vmcnt(1)
	v_lshlrev_b32_e32 v15, 16, v15
	s_waitcnt vmcnt(0)
	v_lshlrev_b32_e32 v31, 16, v31
	s_or_b32 exec_lo, exec_lo, s1
	s_and_saveexec_b32 s1, s0
	s_cbranch_execz .LBB197_60
.LBB197_79:                             ;   in Loop: Header=BB197_3 Depth=1
	v_add_co_u32 v101, vcc_lo, v48, v35
	v_add_co_ci_u32_e64 v102, null, v49, v36, vcc_lo
	v_add_co_u32 v105, vcc_lo, v50, v35
	v_add_co_ci_u32_e64 v106, null, v51, v36, vcc_lo
	global_load_ushort v16, v[101:102], off
	global_load_ushort v32, v[105:106], off
	s_waitcnt vmcnt(1)
	v_lshlrev_b32_e32 v16, 16, v16
	s_waitcnt vmcnt(0)
	v_lshlrev_b32_e32 v32, 16, v32
	s_or_b32 exec_lo, exec_lo, s1
	s_and_saveexec_b32 s1, s0
	s_cbranch_execz .LBB197_61
.LBB197_80:                             ;   in Loop: Header=BB197_3 Depth=1
	v_add_co_u32 v101, vcc_lo, v44, v35
	v_add_co_ci_u32_e64 v102, null, v45, v36, vcc_lo
	v_add_co_u32 v105, vcc_lo, v46, v35
	v_add_co_ci_u32_e64 v106, null, v47, v36, vcc_lo
	global_load_ushort v17, v[101:102], off
	global_load_ushort v33, v[105:106], off
	s_waitcnt vmcnt(1)
	v_lshlrev_b32_e32 v17, 16, v17
	s_waitcnt vmcnt(0)
	v_lshlrev_b32_e32 v33, 16, v33
	s_or_b32 exec_lo, exec_lo, s1
	s_and_saveexec_b32 s1, s0
	s_cbranch_execnz .LBB197_62
	s_branch .LBB197_63
.LBB197_81:
                                        ; implicit-def: $vgpr98
	s_branch .LBB197_83
.LBB197_82:
	s_cbranch_execnz .LBB197_132
.LBB197_83:
	v_mov_b32_e32 v98, 0
	s_andn2_b32 vcc_lo, exec_lo, s7
	s_cbranch_vccnz .LBB197_132
; %bb.84:
	buffer_store_dword v0, off, s[36:39], 0 offset:152 ; 4-byte Folded Spill
	v_add_nc_u32_e32 v3, s26, v0
	v_lshlrev_b32_e32 v0, 4, v1
	v_mov_b32_e32 v2, 0
	s_load_dword s7, s[4:5], 0x44
	s_add_u32 s0, s4, 64
	s_addc_u32 s1, s5, 0
	v_add_co_u32 v5, s18, v0, s16
	v_mov_b32_e32 v4, v2
	v_add_co_ci_u32_e64 v6, null, 0, 0, s18
	buffer_store_dword v0, off, s[36:39], 0 offset:160 ; 4-byte Folded Spill
	v_mul_lo_u32 v0, s11, v5
	v_lshlrev_b64 v[35:36], 1, v[3:4]
	v_mul_lo_u32 v7, s10, v6
	v_mad_u64_u32 v[3:4], null, s10, v5, 0
	buffer_store_dword v1, off, s[36:39], 0 offset:156 ; 4-byte Folded Spill
	v_mov_b32_e32 v100, 0
	v_add3_u32 v4, v4, v7, v0
	s_waitcnt lgkmcnt(0)
	s_lshl_b32 s7, s7, 8
	s_mul_i32 s18, s11, s7
	s_mul_hi_u32 s19, s10, s7
	v_lshlrev_b64 v[7:8], 1, v[3:4]
	s_add_i32 s19, s19, s18
	s_mul_i32 s18, s10, s7
	s_lshl_b64 s[18:19], s[18:19], 1
	s_add_u32 s20, s16, 0xff
	v_add_co_u32 v0, vcc_lo, s12, v7
	s_addc_u32 s21, 0, 0
	s_lshl_b64 s[22:23], s[16:17], 1
	buffer_store_dword v0, off, s[36:39], 0 ; 4-byte Folded Spill
	v_add_co_ci_u32_e64 v0, null, s13, v8, vcc_lo
	buffer_store_dword v0, off, s[36:39], 0 offset:4 ; 4-byte Folded Spill
	v_add_co_u32 v0, vcc_lo, s14, v7
	buffer_store_dword v0, off, s[36:39], 0 offset:8 ; 4-byte Folded Spill
	v_add_co_ci_u32_e64 v0, null, s15, v8, vcc_lo
	buffer_store_dword v0, off, s[36:39], 0 offset:12 ; 4-byte Folded Spill
	v_lshlrev_b32_e32 v0, 5, v1
	v_add_co_u32 v0, s22, v0, s22
	v_add_co_ci_u32_e64 v1, null, 0, s23, s22
	v_add_co_u32 v67, vcc_lo, v0, 2
	v_add_co_ci_u32_e64 v7, null, 0, v1, vcc_lo
	v_add_co_u32 v70, vcc_lo, v0, 4
	v_mad_u64_u32 v[37:38], null, s10, v67, s[12:13]
	v_mul_lo_u32 v69, s10, v7
	v_add_co_ci_u32_e64 v7, null, 0, v1, vcc_lo
	v_add_co_u32 v71, vcc_lo, v0, 6
	v_mul_lo_u32 v72, s11, v67
	v_mul_lo_u32 v81, s10, v7
	v_add_co_ci_u32_e64 v7, null, 0, v1, vcc_lo
	v_add_co_u32 v73, vcc_lo, v0, 8
	v_mad_u64_u32 v[67:68], null, s10, v67, s[14:15]
	v_mul_lo_u32 v74, s10, v7
	v_add_co_ci_u32_e64 v7, null, 0, v1, vcc_lo
	v_add_co_u32 v75, vcc_lo, v0, 10
	v_add3_u32 v38, v72, v38, v69
	v_mul_lo_u32 v76, s10, v7
	v_add_co_ci_u32_e64 v7, null, 0, v1, vcc_lo
	v_add_co_u32 v32, vcc_lo, v0, 12
	v_mad_u64_u32 v[41:42], null, s10, v71, s[12:13]
	v_mul_lo_u32 v77, s10, v7
	v_add_co_ci_u32_e64 v7, null, 0, v1, vcc_lo
	v_add_co_u32 v31, vcc_lo, v0, 14
	v_mul_lo_u32 v80, s11, v71
	v_mul_lo_u32 v33, s10, v7
	v_add_co_ci_u32_e64 v7, null, 0, v1, vcc_lo
	v_add_co_u32 v26, vcc_lo, v0, 16
	v_add3_u32 v68, v72, v68, v69
	v_mul_lo_u32 v29, s10, v7
	v_add_co_ci_u32_e64 v7, null, 0, v1, vcc_lo
	v_add_co_u32 v25, vcc_lo, v0, 18
	v_mad_u64_u32 v[71:72], null, s10, v71, s[14:15]
	v_mul_lo_u32 v27, s10, v7
	v_add_co_ci_u32_e64 v7, null, 0, v1, vcc_lo
	v_add_co_u32 v20, vcc_lo, v0, 20
	v_add3_u32 v42, v80, v42, v74
	v_mul_lo_u32 v23, s10, v7
	v_add_co_ci_u32_e64 v7, null, 0, v1, vcc_lo
	v_add_co_u32 v19, vcc_lo, v0, 22
	v_mad_u64_u32 v[43:44], null, s10, v73, s[12:13]
	v_mul_lo_u32 v21, s10, v7
	v_add_co_ci_u32_e64 v7, null, 0, v1, vcc_lo
	v_add_co_u32 v14, vcc_lo, v0, 24
	v_mul_lo_u32 v79, s11, v73
	v_mul_lo_u32 v17, s10, v7
	v_add_co_ci_u32_e64 v7, null, 0, v1, vcc_lo
	v_add_co_u32 v11, vcc_lo, v0, 26
	v_add3_u32 v72, v80, v72, v74
	v_mul_lo_u32 v15, s10, v7
	v_add_co_ci_u32_e64 v7, null, 0, v1, vcc_lo
	v_add_co_u32 v8, vcc_lo, v0, 28
	v_mad_u64_u32 v[73:74], null, s10, v73, s[14:15]
	v_mul_lo_u32 v12, s10, v7
	v_add_co_ci_u32_e64 v7, null, 0, v1, vcc_lo
	v_add_co_u32 v0, vcc_lo, v0, 30
	v_add_co_ci_u32_e64 v1, null, 0, v1, vcc_lo
	v_mul_lo_u32 v9, s10, v7
	v_mad_u64_u32 v[65:66], null, s10, v0, s[12:13]
	v_mul_lo_u32 v1, s10, v1
	v_mul_lo_u32 v7, s11, v0
	v_mad_u64_u32 v[95:96], null, s10, v0, s[14:15]
	v_add_co_u32 v0, vcc_lo, v5, 15
	v_mad_u64_u32 v[63:64], null, s10, v8, s[12:13]
	v_mul_lo_u32 v10, s11, v8
	v_add3_u32 v66, v7, v66, v1
	v_add3_u32 v96, v7, v96, v1
	v_add_co_ci_u32_e64 v1, null, 0, v6, vcc_lo
	v_mad_u64_u32 v[93:94], null, s10, v8, s[14:15]
	v_mul_lo_u32 v7, s11, v0
	v_mul_lo_u32 v8, s10, v1
	v_mad_u64_u32 v[0:1], null, s10, v0, 0
	v_mad_u64_u32 v[39:40], null, s10, v70, s[12:13]
	v_mul_lo_u32 v82, s11, v70
	v_add3_u32 v44, v79, v44, v76
	v_mad_u64_u32 v[45:46], null, s10, v75, s[12:13]
	v_add3_u32 v1, v1, v8, v7
	v_mul_lo_u32 v78, s11, v75
	v_mad_u64_u32 v[69:70], null, s10, v70, s[14:15]
	v_add3_u32 v74, v79, v74, v76
	v_lshlrev_b64 v[0:1], 1, v[0:1]
	v_mad_u64_u32 v[75:76], null, s10, v75, s[14:15]
	v_add3_u32 v40, v82, v40, v81
	v_add3_u32 v46, v78, v46, v77
	v_mad_u64_u32 v[47:48], null, s10, v32, s[12:13]
	v_add_co_u32 v7, vcc_lo, s12, v0
	v_mul_lo_u32 v34, s11, v32
	v_mad_u64_u32 v[49:50], null, s10, v31, s[12:13]
	buffer_store_dword v7, off, s[36:39], 0 offset:16 ; 4-byte Folded Spill
	v_add_co_ci_u32_e64 v7, null, s13, v1, vcc_lo
	v_add_co_u32 v0, vcc_lo, s14, v0
	v_mul_lo_u32 v30, s11, v31
	buffer_store_dword v7, off, s[36:39], 0 offset:20 ; 4-byte Folded Spill
	v_mad_u64_u32 v[51:52], null, s10, v26, s[12:13]
	buffer_store_dword v0, off, s[36:39], 0 offset:24 ; 4-byte Folded Spill
	v_add_co_ci_u32_e64 v0, null, s15, v1, vcc_lo
	v_mul_lo_u32 v28, s11, v26
	v_mad_u64_u32 v[53:54], null, s10, v25, s[12:13]
	buffer_store_dword v0, off, s[36:39], 0 offset:28 ; 4-byte Folded Spill
	v_add_co_u32 v0, vcc_lo, v5, 14
	v_add_co_ci_u32_e64 v1, null, 0, v6, vcc_lo
	v_mul_lo_u32 v24, s11, v25
	v_mul_lo_u32 v7, s11, v0
	v_mad_u64_u32 v[55:56], null, s10, v20, s[12:13]
	v_mul_lo_u32 v8, s10, v1
	v_mad_u64_u32 v[0:1], null, s10, v0, 0
	;; [unrolled: 2-line block ×4, first 2 shown]
	v_add3_u32 v1, v1, v8, v7
	v_mul_lo_u32 v16, s11, v14
	v_mad_u64_u32 v[61:62], null, s10, v11, s[12:13]
	v_mul_lo_u32 v13, s11, v11
	v_lshlrev_b64 v[0:1], 1, v[0:1]
	v_add3_u32 v70, v82, v70, v81
	v_add3_u32 v76, v78, v76, v77
	v_mad_u64_u32 v[77:78], null, s10, v32, s[14:15]
	v_mad_u64_u32 v[79:80], null, s10, v31, s[14:15]
	v_add_co_u32 v7, vcc_lo, s12, v0
	v_mad_u64_u32 v[81:82], null, s10, v26, s[14:15]
	v_mad_u64_u32 v[83:84], null, s10, v25, s[14:15]
	buffer_store_dword v7, off, s[36:39], 0 offset:32 ; 4-byte Folded Spill
	v_add_co_ci_u32_e64 v7, null, s13, v1, vcc_lo
	v_add_co_u32 v0, vcc_lo, s14, v0
	v_mad_u64_u32 v[85:86], null, s10, v20, s[14:15]
	buffer_store_dword v7, off, s[36:39], 0 offset:36 ; 4-byte Folded Spill
	buffer_store_dword v0, off, s[36:39], 0 offset:40 ; 4-byte Folded Spill
	v_add_co_ci_u32_e64 v0, null, s15, v1, vcc_lo
	v_mad_u64_u32 v[87:88], null, s10, v19, s[14:15]
	v_mad_u64_u32 v[89:90], null, s10, v14, s[14:15]
	buffer_store_dword v0, off, s[36:39], 0 offset:44 ; 4-byte Folded Spill
	v_add_co_u32 v0, vcc_lo, v5, 13
	v_add_co_ci_u32_e64 v1, null, 0, v6, vcc_lo
	v_mad_u64_u32 v[91:92], null, s10, v11, s[14:15]
	v_mul_lo_u32 v7, s11, v0
	v_mul_lo_u32 v8, s10, v1
	v_mad_u64_u32 v[0:1], null, s10, v0, 0
	v_add3_u32 v48, v34, v48, v33
	v_add3_u32 v50, v30, v50, v29
	;; [unrolled: 1-line block ×11, first 2 shown]
	v_lshlrev_b64 v[0:1], 1, v[0:1]
	v_add3_u32 v80, v30, v80, v29
	v_add3_u32 v82, v28, v82, v27
	;; [unrolled: 1-line block ×5, first 2 shown]
	v_add_co_u32 v7, vcc_lo, s12, v0
	v_add3_u32 v90, v16, v90, v15
	v_add3_u32 v92, v13, v92, v12
	v_add3_u32 v94, v10, v94, v9
	buffer_store_dword v7, off, s[36:39], 0 offset:48 ; 4-byte Folded Spill
	v_add_co_ci_u32_e64 v7, null, s13, v1, vcc_lo
	v_add_co_u32 v0, vcc_lo, s14, v0
	buffer_store_dword v7, off, s[36:39], 0 offset:52 ; 4-byte Folded Spill
	buffer_store_dword v0, off, s[36:39], 0 offset:56 ; 4-byte Folded Spill
	v_add_co_ci_u32_e64 v0, null, s15, v1, vcc_lo
	buffer_store_dword v0, off, s[36:39], 0 offset:60 ; 4-byte Folded Spill
	v_add_co_u32 v0, vcc_lo, v5, 12
	v_add_co_ci_u32_e64 v1, null, 0, v6, vcc_lo
	v_mul_lo_u32 v7, s11, v0
	v_mul_lo_u32 v8, s10, v1
	v_mad_u64_u32 v[0:1], null, s10, v0, 0
	v_add3_u32 v1, v1, v8, v7
	v_lshlrev_b64 v[0:1], 1, v[0:1]
	v_add_co_u32 v7, vcc_lo, s12, v0
	buffer_store_dword v7, off, s[36:39], 0 offset:64 ; 4-byte Folded Spill
	v_add_co_ci_u32_e64 v7, null, s13, v1, vcc_lo
	v_add_co_u32 v0, vcc_lo, s14, v0
	buffer_store_dword v7, off, s[36:39], 0 offset:68 ; 4-byte Folded Spill
	buffer_store_dword v0, off, s[36:39], 0 offset:72 ; 4-byte Folded Spill
	v_add_co_ci_u32_e64 v0, null, s15, v1, vcc_lo
	buffer_store_dword v0, off, s[36:39], 0 offset:76 ; 4-byte Folded Spill
	v_add_co_u32 v0, vcc_lo, v5, 11
	v_add_co_ci_u32_e64 v1, null, 0, v6, vcc_lo
	v_mul_lo_u32 v7, s11, v0
	v_mul_lo_u32 v8, s10, v1
	v_mad_u64_u32 v[0:1], null, s10, v0, 0
	v_add3_u32 v1, v1, v8, v7
	v_lshlrev_b64 v[0:1], 1, v[0:1]
	v_add_co_u32 v7, vcc_lo, s12, v0
	;; [unrolled: 15-line block ×6, first 2 shown]
	buffer_store_dword v7, off, s[36:39], 0 offset:144 ; 4-byte Folded Spill
	v_add_co_ci_u32_e64 v7, null, s13, v1, vcc_lo
	v_add_co_u32 v103, vcc_lo, s14, v0
	v_add_co_ci_u32_e64 v104, null, s15, v1, vcc_lo
	v_add_co_u32 v0, vcc_lo, v5, 6
	v_add_co_ci_u32_e64 v1, null, 0, v6, vcc_lo
	buffer_store_dword v7, off, s[36:39], 0 offset:148 ; 4-byte Folded Spill
	v_mul_lo_u32 v7, s11, v0
	v_mul_lo_u32 v8, s10, v1
	v_mad_u64_u32 v[0:1], null, s10, v0, 0
	v_add3_u32 v1, v1, v8, v7
	v_lshlrev_b64 v[0:1], 1, v[0:1]
	v_add_co_u32 v105, vcc_lo, s12, v0
	v_add_co_ci_u32_e64 v106, null, s13, v1, vcc_lo
	v_add_co_u32 v107, vcc_lo, s14, v0
	v_add_co_ci_u32_e64 v108, null, s15, v1, vcc_lo
	v_add_co_u32 v0, vcc_lo, v5, 5
	v_add_co_ci_u32_e64 v1, null, 0, v6, vcc_lo
	v_mul_lo_u32 v7, s11, v0
	v_mul_lo_u32 v8, s10, v1
	v_mad_u64_u32 v[0:1], null, s10, v0, 0
	v_add3_u32 v1, v1, v8, v7
	v_lshlrev_b64 v[0:1], 1, v[0:1]
	v_add_co_u32 v109, vcc_lo, s12, v0
	v_add_co_ci_u32_e64 v110, null, s13, v1, vcc_lo
	v_add_co_u32 v111, vcc_lo, s14, v0
	v_add_co_ci_u32_e64 v112, null, s15, v1, vcc_lo
	v_add_co_u32 v0, vcc_lo, v5, 4
	v_add_co_ci_u32_e64 v1, null, 0, v6, vcc_lo
	;; [unrolled: 11-line block ×5, first 2 shown]
	v_lshlrev_b64 v[0:1], 1, v[0:1]
	v_add_co_u32 v125, vcc_lo, s12, v0
	v_add_co_ci_u32_e64 v126, null, s13, v1, vcc_lo
	v_add_co_u32 v127, vcc_lo, s14, v0
	v_add_co_ci_u32_e64 v97, null, s15, v1, vcc_lo
.LBB197_85:                             ; =>This Inner Loop Header: Depth=1
	buffer_load_dword v0, off, s[36:39], 0 offset:160 ; 4-byte Folded Reload
	v_cmp_ge_i64_e64 s13, s[20:21], s[8:9]
                                        ; implicit-def: $vgpr98
	s_and_b32 vcc_lo, exec_lo, s13
	s_waitcnt vmcnt(0)
	v_add_co_u32 v0, s12, v0, s20
	v_add_co_ci_u32_e64 v1, null, 0, s21, s12
	s_mov_b32 s12, -1
	s_cbranch_vccz .LBB197_123
; %bb.86:                               ;   in Loop: Header=BB197_85 Depth=1
	s_load_dword s12, s[0:1], 0xc
	s_clause 0x1
	buffer_load_dword v3, off, s[36:39], 0 offset:152
	buffer_load_dword v4, off, s[36:39], 0 offset:156
	v_mov_b32_e32 v99, 0
	s_waitcnt lgkmcnt(0)
	s_and_b32 s12, s12, 0xffff
	s_waitcnt vmcnt(0)
	v_mad_u32_u24 v3, v4, s12, v3
	s_mov_b32 s12, exec_lo
	v_and_b32_e32 v3, 31, v3
	v_cmpx_gt_u32_e32 16, v3
	s_cbranch_execz .LBB197_90
; %bb.87:                               ;   in Loop: Header=BB197_85 Depth=1
	v_add_co_u32 v3, vcc_lo, v0, v3
	v_add_co_ci_u32_e64 v4, null, 0, v1, vcc_lo
	v_mov_b32_e32 v99, 0
	v_add_co_u32 v3, vcc_lo, 0xffffff01, v3
	v_add_co_ci_u32_e64 v4, null, -1, v4, vcc_lo
	s_mov_b32 s13, exec_lo
	v_cmpx_gt_i64_e64 s[8:9], v[3:4]
	s_cbranch_execz .LBB197_89
; %bb.88:                               ;   in Loop: Header=BB197_85 Depth=1
	v_lshlrev_b64 v[3:4], 2, v[3:4]
	v_add_co_u32 v3, vcc_lo, s2, v3
	v_add_co_ci_u32_e64 v4, null, s3, v4, vcc_lo
	global_load_dword v99, v[3:4], off
.LBB197_89:                             ;   in Loop: Header=BB197_85 Depth=1
	s_or_b32 exec_lo, exec_lo, s13
.LBB197_90:                             ;   in Loop: Header=BB197_85 Depth=1
	s_or_b32 exec_lo, exec_lo, s12
	v_add_co_u32 v18, vcc_lo, 0xffffff01, v0
	v_add_co_ci_u32_e64 v19, null, -1, v1, vcc_lo
	v_mov_b32_e32 v17, v2
	v_mov_b32_e32 v3, v2
	;; [unrolled: 1-line block ×15, first 2 shown]
	v_cmp_gt_i64_e32 vcc_lo, s[8:9], v[18:19]
	v_mov_b32_e32 v34, v17
	v_mov_b32_e32 v31, v14
	;; [unrolled: 1-line block ×32, first 2 shown]
	s_and_saveexec_b32 s12, vcc_lo
	s_cbranch_execz .LBB197_92
; %bb.91:                               ;   in Loop: Header=BB197_85 Depth=1
	s_clause 0x3
	buffer_load_dword v3, off, s[36:39], 0
	buffer_load_dword v4, off, s[36:39], 0 offset:4
	buffer_load_dword v5, off, s[36:39], 0 offset:8
	;; [unrolled: 1-line block ×3, first 2 shown]
	v_mov_b32_e32 v7, v2
	v_mov_b32_e32 v8, v2
	;; [unrolled: 1-line block ×27, first 2 shown]
	s_waitcnt vmcnt(3)
	v_add_co_u32 v3, vcc_lo, v3, v35
	s_waitcnt vmcnt(2)
	v_add_co_ci_u32_e64 v4, null, v4, v36, vcc_lo
	s_waitcnt vmcnt(1)
	v_add_co_u32 v5, vcc_lo, v5, v35
	s_waitcnt vmcnt(0)
	v_add_co_ci_u32_e64 v6, null, v6, v36, vcc_lo
	global_load_ushort v3, v[3:4], off
	global_load_ushort v19, v[5:6], off
	v_mov_b32_e32 v4, v2
	v_mov_b32_e32 v5, v2
	;; [unrolled: 1-line block ×3, first 2 shown]
	s_waitcnt vmcnt(1)
	v_lshlrev_b32_e32 v3, 16, v3
	s_waitcnt vmcnt(0)
	v_lshlrev_b32_e32 v19, 16, v19
.LBB197_92:                             ;   in Loop: Header=BB197_85 Depth=1
	s_or_b32 exec_lo, exec_lo, s12
	v_add_co_u32 v101, vcc_lo, 0xffffff02, v0
	v_add_co_ci_u32_e64 v102, null, -1, v1, vcc_lo
	s_mov_b32 s12, exec_lo
	v_cmpx_gt_i64_e64 s[8:9], v[101:102]
	s_cbranch_execz .LBB197_94
; %bb.93:                               ;   in Loop: Header=BB197_85 Depth=1
	v_add_co_u32 v101, vcc_lo, v125, v35
	v_add_co_ci_u32_e64 v102, null, v126, v36, vcc_lo
	global_load_ushort v4, v[101:102], off
	v_add_co_u32 v101, vcc_lo, v127, v35
	v_add_co_ci_u32_e64 v102, null, v97, v36, vcc_lo
	global_load_ushort v20, v[101:102], off
	s_waitcnt vmcnt(1)
	v_lshlrev_b32_e32 v4, 16, v4
	s_waitcnt vmcnt(0)
	v_lshlrev_b32_e32 v20, 16, v20
.LBB197_94:                             ;   in Loop: Header=BB197_85 Depth=1
	s_or_b32 exec_lo, exec_lo, s12
	v_add_co_u32 v101, vcc_lo, 0xffffff03, v0
	v_add_co_ci_u32_e64 v102, null, -1, v1, vcc_lo
	s_mov_b32 s12, exec_lo
	v_cmpx_gt_i64_e64 s[8:9], v[101:102]
	s_cbranch_execz .LBB197_96
; %bb.95:                               ;   in Loop: Header=BB197_85 Depth=1
	v_add_co_u32 v101, vcc_lo, v121, v35
	v_add_co_ci_u32_e64 v102, null, v122, v36, vcc_lo
	global_load_ushort v5, v[101:102], off
	v_add_co_u32 v101, vcc_lo, v123, v35
	v_add_co_ci_u32_e64 v102, null, v124, v36, vcc_lo
	global_load_ushort v21, v[101:102], off
	s_waitcnt vmcnt(1)
	v_lshlrev_b32_e32 v5, 16, v5
	s_waitcnt vmcnt(0)
	v_lshlrev_b32_e32 v21, 16, v21
.LBB197_96:                             ;   in Loop: Header=BB197_85 Depth=1
	;; [unrolled: 18-line block ×3, first 2 shown]
	s_or_b32 exec_lo, exec_lo, s12
	v_add_co_u32 v101, vcc_lo, 0xffffff05, v0
	v_add_co_ci_u32_e64 v102, null, -1, v1, vcc_lo
	s_mov_b32 s12, exec_lo
	v_cmpx_gt_i64_e64 s[8:9], v[101:102]
	s_cbranch_execz .LBB197_100
; %bb.99:                               ;   in Loop: Header=BB197_85 Depth=1
	v_add_co_u32 v101, vcc_lo, v113, v35
	v_add_co_ci_u32_e64 v102, null, v114, v36, vcc_lo
	global_load_ushort v7, v[101:102], off
	v_add_co_u32 v101, vcc_lo, v115, v35
	v_add_co_ci_u32_e64 v102, null, v116, v36, vcc_lo
	global_load_ushort v23, v[101:102], off
	s_waitcnt vmcnt(1)
	v_lshlrev_b32_e32 v7, 16, v7
	s_waitcnt vmcnt(0)
	v_lshlrev_b32_e32 v23, 16, v23
.LBB197_100:                            ;   in Loop: Header=BB197_85 Depth=1
	s_or_b32 exec_lo, exec_lo, s12
	v_add_co_u32 v101, vcc_lo, 0xffffff06, v0
	v_add_co_ci_u32_e64 v102, null, -1, v1, vcc_lo
	s_mov_b32 s12, exec_lo
	v_cmpx_gt_i64_e64 s[8:9], v[101:102]
	s_cbranch_execz .LBB197_102
; %bb.101:                              ;   in Loop: Header=BB197_85 Depth=1
	v_add_co_u32 v101, vcc_lo, v109, v35
	v_add_co_ci_u32_e64 v102, null, v110, v36, vcc_lo
	global_load_ushort v8, v[101:102], off
	v_add_co_u32 v101, vcc_lo, v111, v35
	v_add_co_ci_u32_e64 v102, null, v112, v36, vcc_lo
	global_load_ushort v24, v[101:102], off
	s_waitcnt vmcnt(1)
	v_lshlrev_b32_e32 v8, 16, v8
	s_waitcnt vmcnt(0)
	v_lshlrev_b32_e32 v24, 16, v24
.LBB197_102:                            ;   in Loop: Header=BB197_85 Depth=1
	s_or_b32 exec_lo, exec_lo, s12
	v_add_co_u32 v101, vcc_lo, 0xffffff07, v0
	v_add_co_ci_u32_e64 v102, null, -1, v1, vcc_lo
	s_mov_b32 s12, exec_lo
	v_cmpx_gt_i64_e64 s[8:9], v[101:102]
	s_cbranch_execz .LBB197_104
; %bb.103:                              ;   in Loop: Header=BB197_85 Depth=1
	v_add_co_u32 v101, vcc_lo, v105, v35
	v_add_co_ci_u32_e64 v102, null, v106, v36, vcc_lo
	global_load_ushort v9, v[101:102], off
	v_add_co_u32 v101, vcc_lo, v107, v35
	v_add_co_ci_u32_e64 v102, null, v108, v36, vcc_lo
	global_load_ushort v25, v[101:102], off
	s_waitcnt vmcnt(1)
	v_lshlrev_b32_e32 v9, 16, v9
	s_waitcnt vmcnt(0)
	v_lshlrev_b32_e32 v25, 16, v25
.LBB197_104:                            ;   in Loop: Header=BB197_85 Depth=1
	s_or_b32 exec_lo, exec_lo, s12
	v_add_co_u32 v101, vcc_lo, 0xffffff08, v0
	v_add_co_ci_u32_e64 v102, null, -1, v1, vcc_lo
	s_mov_b32 s12, exec_lo
	v_cmpx_gt_i64_e64 s[8:9], v[101:102]
	s_cbranch_execz .LBB197_106
; %bb.105:                              ;   in Loop: Header=BB197_85 Depth=1
	buffer_load_dword v10, off, s[36:39], 0 offset:144 ; 4-byte Folded Reload
	s_waitcnt vmcnt(0)
	v_add_co_u32 v101, vcc_lo, v10, v35
	buffer_load_dword v10, off, s[36:39], 0 offset:148 ; 4-byte Folded Reload
	s_waitcnt vmcnt(0)
	v_add_co_ci_u32_e64 v102, null, v10, v36, vcc_lo
	global_load_ushort v10, v[101:102], off
	v_add_co_u32 v101, vcc_lo, v103, v35
	v_add_co_ci_u32_e64 v102, null, v104, v36, vcc_lo
	global_load_ushort v26, v[101:102], off
	s_waitcnt vmcnt(1)
	v_lshlrev_b32_e32 v10, 16, v10
	s_waitcnt vmcnt(0)
	v_lshlrev_b32_e32 v26, 16, v26
.LBB197_106:                            ;   in Loop: Header=BB197_85 Depth=1
	s_or_b32 exec_lo, exec_lo, s12
	v_add_co_u32 v101, vcc_lo, 0xffffff09, v0
	v_add_co_ci_u32_e64 v102, null, -1, v1, vcc_lo
	s_mov_b32 s12, exec_lo
	v_cmpx_gt_i64_e64 s[8:9], v[101:102]
	s_cbranch_execz .LBB197_108
; %bb.107:                              ;   in Loop: Header=BB197_85 Depth=1
	s_clause 0x1
	buffer_load_dword v11, off, s[36:39], 0 offset:128
	buffer_load_dword v27, off, s[36:39], 0 offset:136
	s_waitcnt vmcnt(1)
	v_add_co_u32 v101, vcc_lo, v11, v35
	buffer_load_dword v11, off, s[36:39], 0 offset:132 ; 4-byte Folded Reload
	s_waitcnt vmcnt(0)
	v_add_co_ci_u32_e64 v102, null, v11, v36, vcc_lo
	global_load_ushort v11, v[101:102], off
	v_add_co_u32 v101, vcc_lo, v27, v35
	buffer_load_dword v27, off, s[36:39], 0 offset:140 ; 4-byte Folded Reload
	s_waitcnt vmcnt(1)
	v_lshlrev_b32_e32 v11, 16, v11
	s_waitcnt vmcnt(0)
	v_add_co_ci_u32_e64 v102, null, v27, v36, vcc_lo
	global_load_ushort v27, v[101:102], off
	s_waitcnt vmcnt(0)
	v_lshlrev_b32_e32 v27, 16, v27
.LBB197_108:                            ;   in Loop: Header=BB197_85 Depth=1
	s_or_b32 exec_lo, exec_lo, s12
	v_add_co_u32 v101, vcc_lo, 0xffffff0a, v0
	v_add_co_ci_u32_e64 v102, null, -1, v1, vcc_lo
	s_mov_b32 s12, exec_lo
	v_cmpx_gt_i64_e64 s[8:9], v[101:102]
	s_cbranch_execz .LBB197_110
; %bb.109:                              ;   in Loop: Header=BB197_85 Depth=1
	s_clause 0x1
	buffer_load_dword v12, off, s[36:39], 0 offset:112
	buffer_load_dword v28, off, s[36:39], 0 offset:120
	s_waitcnt vmcnt(1)
	v_add_co_u32 v101, vcc_lo, v12, v35
	buffer_load_dword v12, off, s[36:39], 0 offset:116 ; 4-byte Folded Reload
	s_waitcnt vmcnt(0)
	v_add_co_ci_u32_e64 v102, null, v12, v36, vcc_lo
	global_load_ushort v12, v[101:102], off
	v_add_co_u32 v101, vcc_lo, v28, v35
	buffer_load_dword v28, off, s[36:39], 0 offset:124 ; 4-byte Folded Reload
	s_waitcnt vmcnt(1)
	v_lshlrev_b32_e32 v12, 16, v12
	s_waitcnt vmcnt(0)
	v_add_co_ci_u32_e64 v102, null, v28, v36, vcc_lo
	global_load_ushort v28, v[101:102], off
	s_waitcnt vmcnt(0)
	v_lshlrev_b32_e32 v28, 16, v28
.LBB197_110:                            ;   in Loop: Header=BB197_85 Depth=1
	;; [unrolled: 26-line block ×8, first 2 shown]
	s_or_b32 exec_lo, exec_lo, s12
	v_mul_f32_e32 v3, v19, v3
	s_waitcnt vmcnt(0)
	ds_bpermute_b32 v19, v2, v99
	v_mul_f32_e32 v4, v20, v4
	ds_bpermute_b32 v20, v2, v99 offset:4
	v_mul_f32_e32 v5, v21, v5
	ds_bpermute_b32 v21, v2, v99 offset:8
	;; [unrolled: 2-line block ×4, first 2 shown]
	v_mul_f32_e32 v8, v24, v8
	v_mul_f32_e32 v9, v25, v9
	v_mul_f32_e32 v10, v26, v10
	v_mul_f32_e32 v11, v27, v11
	v_mul_f32_e32 v12, v28, v12
	v_mul_f32_e32 v13, v29, v13
	v_mul_f32_e32 v14, v30, v14
	v_mul_f32_e32 v15, v31, v15
	v_mul_f32_e32 v16, v32, v16
	v_mul_f32_e32 v17, v33, v17
	v_mul_f32_e32 v18, v34, v18
	s_waitcnt lgkmcnt(4)
	v_fma_f32 v98, v3, v19, v100
	ds_bpermute_b32 v3, v2, v99 offset:20
	s_mov_b32 s12, 0
	s_waitcnt lgkmcnt(4)
	v_fmac_f32_e32 v98, v4, v20
	ds_bpermute_b32 v4, v2, v99 offset:24
	s_waitcnt lgkmcnt(4)
	v_fmac_f32_e32 v98, v5, v21
	ds_bpermute_b32 v5, v2, v99 offset:28
	;; [unrolled: 3-line block ×8, first 2 shown]
	s_waitcnt lgkmcnt(4)
	v_fmac_f32_e32 v98, v12, v7
	s_waitcnt lgkmcnt(3)
	v_fmac_f32_e32 v98, v13, v3
	ds_bpermute_b32 v3, v2, v99 offset:56
	s_waitcnt lgkmcnt(3)
	v_fmac_f32_e32 v98, v14, v4
	ds_bpermute_b32 v4, v2, v99 offset:60
	s_waitcnt lgkmcnt(3)
	v_fmac_f32_e32 v98, v15, v5
	s_waitcnt lgkmcnt(2)
	v_fmac_f32_e32 v98, v16, v6
	;; [unrolled: 2-line block ×4, first 2 shown]
.LBB197_123:                            ;   in Loop: Header=BB197_85 Depth=1
	s_and_b32 vcc_lo, exec_lo, s12
	s_cbranch_vccz .LBB197_129
; %bb.124:                              ;   in Loop: Header=BB197_85 Depth=1
	s_load_dword s12, s[0:1], 0x0
	s_waitcnt lgkmcnt(0)
	s_cmp_lt_u32 s6, s12
	s_cselect_b32 s12, 12, 18
	s_add_u32 s12, s0, s12
	s_addc_u32 s13, s1, 0
	global_load_ushort v3, v2, s[12:13]
	s_clause 0x1
	buffer_load_dword v4, off, s[36:39], 0 offset:152
	buffer_load_dword v5, off, s[36:39], 0 offset:156
	s_mov_b32 s12, exec_lo
	s_waitcnt vmcnt(0)
	v_mad_u32_u24 v3, v5, v3, v4
	v_mov_b32_e32 v5, 0
	v_and_b32_e32 v3, 31, v3
	v_cmpx_gt_u32_e32 16, v3
	s_cbranch_execz .LBB197_128
; %bb.125:                              ;   in Loop: Header=BB197_85 Depth=1
	v_add_co_u32 v0, vcc_lo, v0, v3
	v_add_co_ci_u32_e64 v1, null, 0, v1, vcc_lo
	v_mov_b32_e32 v5, 0
	v_add_co_u32 v3, vcc_lo, 0xffffff01, v0
	v_add_co_ci_u32_e64 v4, null, -1, v1, vcc_lo
	s_mov_b32 s13, exec_lo
	v_cmpx_gt_i64_e64 s[8:9], v[3:4]
	s_cbranch_execz .LBB197_127
; %bb.126:                              ;   in Loop: Header=BB197_85 Depth=1
	v_lshlrev_b64 v[0:1], 2, v[3:4]
	v_add_co_u32 v0, vcc_lo, s2, v0
	v_add_co_ci_u32_e64 v1, null, s3, v1, vcc_lo
	global_load_dword v5, v[0:1], off
.LBB197_127:                            ;   in Loop: Header=BB197_85 Depth=1
	s_or_b32 exec_lo, exec_lo, s13
.LBB197_128:                            ;   in Loop: Header=BB197_85 Depth=1
	s_or_b32 exec_lo, exec_lo, s12
	s_clause 0x1
	buffer_load_dword v0, off, s[36:39], 0
	buffer_load_dword v1, off, s[36:39], 0 offset:4
	s_waitcnt vmcnt(1)
	v_add_co_u32 v0, vcc_lo, v0, v35
	s_waitcnt vmcnt(0)
	v_add_co_ci_u32_e64 v1, null, v1, v36, vcc_lo
	global_load_ushort v3, v[0:1], off
	s_clause 0x1
	buffer_load_dword v0, off, s[36:39], 0 offset:8
	buffer_load_dword v1, off, s[36:39], 0 offset:12
	s_waitcnt vmcnt(1)
	v_add_co_u32 v0, vcc_lo, v0, v35
	s_waitcnt vmcnt(0)
	v_add_co_ci_u32_e64 v1, null, v1, v36, vcc_lo
	global_load_ushort v1, v[0:1], off
	v_lshlrev_b32_e32 v0, 16, v3
	s_waitcnt vmcnt(0)
	v_lshlrev_b32_e32 v1, 16, v1
	v_mul_f32_e32 v0, v0, v1
	ds_bpermute_b32 v1, v2, v5
	s_waitcnt lgkmcnt(0)
	v_fmac_f32_e32 v100, v0, v1
	v_add_co_u32 v0, vcc_lo, v37, v35
	v_add_co_ci_u32_e64 v1, null, v38, v36, vcc_lo
	global_load_ushort v3, v[0:1], off
	v_add_co_u32 v0, vcc_lo, v67, v35
	v_add_co_ci_u32_e64 v1, null, v68, v36, vcc_lo
	global_load_ushort v0, v[0:1], off
	s_waitcnt vmcnt(1)
	v_lshlrev_b32_e32 v1, 16, v3
	s_waitcnt vmcnt(0)
	v_lshlrev_b32_e32 v0, 16, v0
	v_mul_f32_e32 v0, v1, v0
	ds_bpermute_b32 v1, v2, v5 offset:4
	s_waitcnt lgkmcnt(0)
	v_fmac_f32_e32 v100, v0, v1
	v_add_co_u32 v0, vcc_lo, v39, v35
	v_add_co_ci_u32_e64 v1, null, v40, v36, vcc_lo
	global_load_ushort v3, v[0:1], off
	v_add_co_u32 v0, vcc_lo, v69, v35
	v_add_co_ci_u32_e64 v1, null, v70, v36, vcc_lo
	global_load_ushort v0, v[0:1], off
	s_waitcnt vmcnt(1)
	v_lshlrev_b32_e32 v1, 16, v3
	s_waitcnt vmcnt(0)
	v_lshlrev_b32_e32 v0, 16, v0
	v_mul_f32_e32 v0, v1, v0
	ds_bpermute_b32 v1, v2, v5 offset:8
	;; [unrolled: 14-line block ×15, first 2 shown]
	s_waitcnt lgkmcnt(0)
	v_fmac_f32_e32 v100, v0, v1
	v_mov_b32_e32 v98, v100
.LBB197_129:                            ;   in Loop: Header=BB197_85 Depth=1
	buffer_load_dword v0, off, s[36:39], 0  ; 4-byte Folded Reload
	s_add_u32 s16, s16, s7
	s_addc_u32 s17, s17, 0
	s_add_u32 s20, s20, s7
	v_cmp_ge_i64_e64 s12, s[16:17], s[8:9]
	s_addc_u32 s21, s21, 0
	s_waitcnt vmcnt(0)
	v_add_co_u32 v0, vcc_lo, v0, s18
	buffer_store_dword v0, off, s[36:39], 0 ; 4-byte Folded Spill
	buffer_load_dword v0, off, s[36:39], 0 offset:4 ; 4-byte Folded Reload
	s_waitcnt vmcnt(0)
	v_add_co_ci_u32_e64 v0, null, s19, v0, vcc_lo
	buffer_store_dword v0, off, s[36:39], 0 offset:4 ; 4-byte Folded Spill
	buffer_load_dword v0, off, s[36:39], 0 offset:8 ; 4-byte Folded Reload
	s_waitcnt vmcnt(0)
	v_add_co_u32 v0, vcc_lo, v0, s18
	buffer_store_dword v0, off, s[36:39], 0 offset:8 ; 4-byte Folded Spill
	buffer_load_dword v0, off, s[36:39], 0 offset:12 ; 4-byte Folded Reload
	s_waitcnt vmcnt(0)
	v_add_co_ci_u32_e64 v0, null, s19, v0, vcc_lo
	v_add_co_u32 v37, vcc_lo, v37, s18
	v_add_co_ci_u32_e64 v38, null, s19, v38, vcc_lo
	buffer_store_dword v0, off, s[36:39], 0 offset:12 ; 4-byte Folded Spill
	buffer_load_dword v0, off, s[36:39], 0 offset:16 ; 4-byte Folded Reload
	v_add_co_u32 v39, vcc_lo, v39, s18
	v_add_co_ci_u32_e64 v40, null, s19, v40, vcc_lo
	v_add_co_u32 v41, vcc_lo, v41, s18
	v_add_co_ci_u32_e64 v42, null, s19, v42, vcc_lo
	;; [unrolled: 2-line block ×29, first 2 shown]
	s_waitcnt vmcnt(0)
	v_add_co_u32 v0, vcc_lo, v0, s18
	buffer_store_dword v0, off, s[36:39], 0 offset:16 ; 4-byte Folded Spill
	buffer_load_dword v0, off, s[36:39], 0 offset:20 ; 4-byte Folded Reload
	s_waitcnt vmcnt(0)
	v_add_co_ci_u32_e64 v0, null, s19, v0, vcc_lo
	buffer_store_dword v0, off, s[36:39], 0 offset:20 ; 4-byte Folded Spill
	buffer_load_dword v0, off, s[36:39], 0 offset:24 ; 4-byte Folded Reload
	s_waitcnt vmcnt(0)
	v_add_co_u32 v0, vcc_lo, v0, s18
	buffer_store_dword v0, off, s[36:39], 0 offset:24 ; 4-byte Folded Spill
	buffer_load_dword v0, off, s[36:39], 0 offset:28 ; 4-byte Folded Reload
	s_waitcnt vmcnt(0)
	v_add_co_ci_u32_e64 v0, null, s19, v0, vcc_lo
	buffer_store_dword v0, off, s[36:39], 0 offset:28 ; 4-byte Folded Spill
	buffer_load_dword v0, off, s[36:39], 0 offset:32 ; 4-byte Folded Reload
	;; [unrolled: 8-line block ×16, first 2 shown]
	s_waitcnt vmcnt(0)
	v_add_co_u32 v0, vcc_lo, v0, s18
	buffer_store_dword v0, off, s[36:39], 0 offset:144 ; 4-byte Folded Spill
	buffer_load_dword v0, off, s[36:39], 0 offset:148 ; 4-byte Folded Reload
	s_waitcnt vmcnt(0)
	v_add_co_ci_u32_e64 v0, null, s19, v0, vcc_lo
	v_add_co_u32 v103, vcc_lo, v103, s18
	v_add_co_ci_u32_e64 v104, null, s19, v104, vcc_lo
	v_add_co_u32 v105, vcc_lo, v105, s18
	;; [unrolled: 2-line block ×13, first 2 shown]
	v_add_co_ci_u32_e64 v97, null, s19, v97, vcc_lo
	s_and_b32 vcc_lo, exec_lo, s12
	buffer_store_dword v0, off, s[36:39], 0 offset:148 ; 4-byte Folded Spill
	s_cbranch_vccnz .LBB197_131
; %bb.130:                              ;   in Loop: Header=BB197_85 Depth=1
	v_mov_b32_e32 v100, v98
	s_branch .LBB197_85
.LBB197_131:
	s_clause 0x1
	buffer_load_dword v0, off, s[36:39], 0 offset:152
	buffer_load_dword v1, off, s[36:39], 0 offset:156
.LBB197_132:
	s_waitcnt vmcnt(0)
	v_mad_u32_u24 v2, 0x41, v1, v0
	s_mov_b32 s0, exec_lo
	v_lshl_add_u32 v4, v2, 2, 0
	v_sub_nc_u32_e32 v3, v2, v1
	v_mov_b32_e32 v2, 0
	ds_write_b32 v4, v98
	ds_write_b32 v4, v2 offset:4160
	s_waitcnt lgkmcnt(0)
	s_waitcnt_vscnt null, 0x0
	s_barrier
	buffer_gl0_inv
	v_cmpx_gt_u32_e32 0x800, v3
	s_cbranch_execz .LBB197_142
; %bb.133:
	s_load_dwordx2 s[2:3], s[4:5], 0x30
	v_and_b32_e32 v1, 31, v0
	v_lshrrev_b32_e32 v12, 5, v3
	v_cmp_gt_u32_e64 s0, 16, v1
	v_mul_u32_u24_e32 v4, 0x41, v1
                                        ; implicit-def: $vgpr1
	s_and_saveexec_b32 s1, s0
	s_cbranch_execz .LBB197_135
; %bb.134:
	v_lshlrev_b32_e32 v1, 2, v12
	v_lshlrev_b32_e32 v2, 2, v4
	v_add3_u32 v1, 0, v1, v2
	ds_read_b32 v1, v1
.LBB197_135:
	s_or_b32 exec_lo, exec_lo, s1
	v_mbcnt_lo_u32_b32 v2, -1, 0
	s_mov_b32 s7, 0
	v_cmp_ne_u32_e64 s1, 0, v0
	s_lshl_b64 s[4:5], s[6:7], 6
	s_waitcnt lgkmcnt(0)
	s_cmp_eq_u64 s[2:3], 0
	v_xor_b32_e32 v5, 8, v2
	v_xor_b32_e32 v6, 4, v2
	;; [unrolled: 1-line block ×3, first 2 shown]
	s_cselect_b32 s6, -1, 0
	v_cmp_gt_i32_e32 vcc_lo, 32, v5
	v_cndmask_b32_e32 v5, v2, v5, vcc_lo
	v_cmp_gt_i32_e32 vcc_lo, 32, v6
	v_lshlrev_b32_e32 v5, 2, v5
	v_cndmask_b32_e32 v6, v2, v6, vcc_lo
	ds_bpermute_b32 v7, v5, v1
	v_lshlrev_b32_e32 v6, 2, v6
	s_waitcnt lgkmcnt(0)
	v_add_f32_e32 v1, v1, v7
	v_xor_b32_e32 v7, 2, v2
	ds_bpermute_b32 v8, v6, v1
	v_cmp_gt_i32_e32 vcc_lo, 32, v7
	v_cndmask_b32_e32 v7, v2, v7, vcc_lo
	v_cmp_gt_i32_e32 vcc_lo, 32, v9
	v_lshlrev_b32_e32 v7, 2, v7
	v_cndmask_b32_e32 v2, v2, v9, vcc_lo
	s_waitcnt lgkmcnt(0)
	v_add_f32_e32 v1, v1, v8
	ds_bpermute_b32 v8, v7, v1
	s_waitcnt lgkmcnt(0)
	v_add_f32_e32 v9, v1, v8
	v_lshlrev_b32_e32 v8, 2, v2
	v_or_b32_e32 v1, s4, v12
	v_mov_b32_e32 v2, s5
	ds_bpermute_b32 v10, v8, v9
	v_cmp_le_i64_e32 vcc_lo, s[10:11], v[1:2]
	s_or_b32 s7, s1, vcc_lo
	s_nor_b32 s8, s6, s7
	s_waitcnt lgkmcnt(0)
	v_add_f32_e32 v9, v9, v10
	s_and_saveexec_b32 s7, s8
	s_cbranch_execz .LBB197_137
; %bb.136:
	v_bfe_u32 v10, v9, 16, 1
	v_lshlrev_b64 v[1:2], 1, v[1:2]
	v_cmp_o_f32_e32 vcc_lo, v9, v9
	v_mov_b32_e32 v11, 0x7fc0
	v_add3_u32 v10, v9, v10, 0x7fff
	v_cndmask_b32_sdwa v10, v11, v10, vcc_lo dst_sel:DWORD dst_unused:UNUSED_PAD src0_sel:DWORD src1_sel:WORD_1
	v_add_co_u32 v1, vcc_lo, s2, v1
	v_add_co_ci_u32_e64 v2, null, s3, v2, vcc_lo
	global_store_short v[1:2], v10, off
.LBB197_137:
	s_or_b32 exec_lo, exec_lo, s7
	v_cmp_gt_u32_e32 vcc_lo, 0x400, v3
	s_and_b32 exec_lo, exec_lo, vcc_lo
	s_cbranch_execz .LBB197_142
; %bb.138:
	s_and_saveexec_b32 s7, s0
	s_cbranch_execz .LBB197_140
; %bb.139:
	v_lshlrev_b32_e32 v1, 2, v12
	v_lshlrev_b32_e32 v2, 2, v4
	v_add3_u32 v1, 0, v1, v2
	ds_read_b32 v9, v1 offset:128
.LBB197_140:
	s_or_b32 exec_lo, exec_lo, s7
	s_waitcnt lgkmcnt(0)
	ds_bpermute_b32 v1, v5, v9
	v_add_nc_u32_e32 v3, 32, v12
	v_mov_b32_e32 v4, s5
	v_or_b32_e32 v3, s4, v3
	v_cmp_le_i64_e32 vcc_lo, s[10:11], v[3:4]
	s_or_b32 s0, s1, vcc_lo
	s_nor_b32 s0, s6, s0
	s_waitcnt lgkmcnt(0)
	v_add_f32_e32 v1, v9, v1
	ds_bpermute_b32 v2, v6, v1
	s_waitcnt lgkmcnt(0)
	v_add_f32_e32 v1, v1, v2
	ds_bpermute_b32 v2, v7, v1
	;; [unrolled: 3-line block ×3, first 2 shown]
	s_and_saveexec_b32 s1, s0
	s_xor_b32 s1, exec_lo, s1
	s_cbranch_execz .LBB197_142
; %bb.141:
	s_waitcnt lgkmcnt(0)
	v_add_f32_e32 v2, v1, v2
	v_add_co_u32 v0, s0, s4, v12
	v_add_co_ci_u32_e64 v1, null, s5, 0, s0
	v_bfe_u32 v3, v2, 16, 1
	v_cmp_o_f32_e32 vcc_lo, v2, v2
	v_mov_b32_e32 v4, 0x7fc0
	v_lshlrev_b64 v[0:1], 1, v[0:1]
	v_add3_u32 v2, v2, v3, 0x7fff
	v_cndmask_b32_sdwa v2, v4, v2, vcc_lo dst_sel:DWORD dst_unused:UNUSED_PAD src0_sel:DWORD src1_sel:WORD_1
	v_add_co_u32 v0, vcc_lo, s2, v0
	v_add_co_ci_u32_e64 v1, null, s3, v1, vcc_lo
	global_store_short v[0:1], v2, off offset:64
.LBB197_142:
	s_endpgm
	.section	.rodata,"a",@progbits
	.p2align	6, 0x0
	.amdhsa_kernel _ZN2at6native12_GLOBAL__N_135GammaBetaBackwardCUDAKernelTemplateIN3c108BFloat16EfLj64ELj16ELj256ELb0ELb0ELb1EEEvllPKT_S7_PKT0_SA_PS5_SB_
		.amdhsa_group_segment_fixed_size 0
		.amdhsa_private_segment_fixed_size 168
		.amdhsa_kernarg_size 320
		.amdhsa_user_sgpr_count 6
		.amdhsa_user_sgpr_private_segment_buffer 1
		.amdhsa_user_sgpr_dispatch_ptr 0
		.amdhsa_user_sgpr_queue_ptr 0
		.amdhsa_user_sgpr_kernarg_segment_ptr 1
		.amdhsa_user_sgpr_dispatch_id 0
		.amdhsa_user_sgpr_flat_scratch_init 0
		.amdhsa_user_sgpr_private_segment_size 0
		.amdhsa_wavefront_size32 1
		.amdhsa_uses_dynamic_stack 0
		.amdhsa_system_sgpr_private_segment_wavefront_offset 1
		.amdhsa_system_sgpr_workgroup_id_x 1
		.amdhsa_system_sgpr_workgroup_id_y 1
		.amdhsa_system_sgpr_workgroup_id_z 0
		.amdhsa_system_sgpr_workgroup_info 0
		.amdhsa_system_vgpr_workitem_id 1
		.amdhsa_next_free_vgpr 128
		.amdhsa_next_free_sgpr 40
		.amdhsa_reserve_vcc 1
		.amdhsa_reserve_flat_scratch 0
		.amdhsa_float_round_mode_32 0
		.amdhsa_float_round_mode_16_64 0
		.amdhsa_float_denorm_mode_32 3
		.amdhsa_float_denorm_mode_16_64 3
		.amdhsa_dx10_clamp 1
		.amdhsa_ieee_mode 1
		.amdhsa_fp16_overflow 0
		.amdhsa_workgroup_processor_mode 1
		.amdhsa_memory_ordered 1
		.amdhsa_forward_progress 1
		.amdhsa_shared_vgpr_count 0
		.amdhsa_exception_fp_ieee_invalid_op 0
		.amdhsa_exception_fp_denorm_src 0
		.amdhsa_exception_fp_ieee_div_zero 0
		.amdhsa_exception_fp_ieee_overflow 0
		.amdhsa_exception_fp_ieee_underflow 0
		.amdhsa_exception_fp_ieee_inexact 0
		.amdhsa_exception_int_div_zero 0
	.end_amdhsa_kernel
	.section	.text._ZN2at6native12_GLOBAL__N_135GammaBetaBackwardCUDAKernelTemplateIN3c108BFloat16EfLj64ELj16ELj256ELb0ELb0ELb1EEEvllPKT_S7_PKT0_SA_PS5_SB_,"axG",@progbits,_ZN2at6native12_GLOBAL__N_135GammaBetaBackwardCUDAKernelTemplateIN3c108BFloat16EfLj64ELj16ELj256ELb0ELb0ELb1EEEvllPKT_S7_PKT0_SA_PS5_SB_,comdat
.Lfunc_end197:
	.size	_ZN2at6native12_GLOBAL__N_135GammaBetaBackwardCUDAKernelTemplateIN3c108BFloat16EfLj64ELj16ELj256ELb0ELb0ELb1EEEvllPKT_S7_PKT0_SA_PS5_SB_, .Lfunc_end197-_ZN2at6native12_GLOBAL__N_135GammaBetaBackwardCUDAKernelTemplateIN3c108BFloat16EfLj64ELj16ELj256ELb0ELb0ELb1EEEvllPKT_S7_PKT0_SA_PS5_SB_
                                        ; -- End function
	.set _ZN2at6native12_GLOBAL__N_135GammaBetaBackwardCUDAKernelTemplateIN3c108BFloat16EfLj64ELj16ELj256ELb0ELb0ELb1EEEvllPKT_S7_PKT0_SA_PS5_SB_.num_vgpr, 128
	.set _ZN2at6native12_GLOBAL__N_135GammaBetaBackwardCUDAKernelTemplateIN3c108BFloat16EfLj64ELj16ELj256ELb0ELb0ELb1EEEvllPKT_S7_PKT0_SA_PS5_SB_.num_agpr, 0
	.set _ZN2at6native12_GLOBAL__N_135GammaBetaBackwardCUDAKernelTemplateIN3c108BFloat16EfLj64ELj16ELj256ELb0ELb0ELb1EEEvllPKT_S7_PKT0_SA_PS5_SB_.numbered_sgpr, 40
	.set _ZN2at6native12_GLOBAL__N_135GammaBetaBackwardCUDAKernelTemplateIN3c108BFloat16EfLj64ELj16ELj256ELb0ELb0ELb1EEEvllPKT_S7_PKT0_SA_PS5_SB_.num_named_barrier, 0
	.set _ZN2at6native12_GLOBAL__N_135GammaBetaBackwardCUDAKernelTemplateIN3c108BFloat16EfLj64ELj16ELj256ELb0ELb0ELb1EEEvllPKT_S7_PKT0_SA_PS5_SB_.private_seg_size, 168
	.set _ZN2at6native12_GLOBAL__N_135GammaBetaBackwardCUDAKernelTemplateIN3c108BFloat16EfLj64ELj16ELj256ELb0ELb0ELb1EEEvllPKT_S7_PKT0_SA_PS5_SB_.uses_vcc, 1
	.set _ZN2at6native12_GLOBAL__N_135GammaBetaBackwardCUDAKernelTemplateIN3c108BFloat16EfLj64ELj16ELj256ELb0ELb0ELb1EEEvllPKT_S7_PKT0_SA_PS5_SB_.uses_flat_scratch, 0
	.set _ZN2at6native12_GLOBAL__N_135GammaBetaBackwardCUDAKernelTemplateIN3c108BFloat16EfLj64ELj16ELj256ELb0ELb0ELb1EEEvllPKT_S7_PKT0_SA_PS5_SB_.has_dyn_sized_stack, 0
	.set _ZN2at6native12_GLOBAL__N_135GammaBetaBackwardCUDAKernelTemplateIN3c108BFloat16EfLj64ELj16ELj256ELb0ELb0ELb1EEEvllPKT_S7_PKT0_SA_PS5_SB_.has_recursion, 0
	.set _ZN2at6native12_GLOBAL__N_135GammaBetaBackwardCUDAKernelTemplateIN3c108BFloat16EfLj64ELj16ELj256ELb0ELb0ELb1EEEvllPKT_S7_PKT0_SA_PS5_SB_.has_indirect_call, 0
	.section	.AMDGPU.csdata,"",@progbits
; Kernel info:
; codeLenInByte = 16652
; TotalNumSgprs: 42
; NumVgprs: 128
; ScratchSize: 168
; MemoryBound: 0
; FloatMode: 240
; IeeeMode: 1
; LDSByteSize: 0 bytes/workgroup (compile time only)
; SGPRBlocks: 0
; VGPRBlocks: 15
; NumSGPRsForWavesPerEU: 42
; NumVGPRsForWavesPerEU: 128
; Occupancy: 8
; WaveLimiterHint : 0
; COMPUTE_PGM_RSRC2:SCRATCH_EN: 1
; COMPUTE_PGM_RSRC2:USER_SGPR: 6
; COMPUTE_PGM_RSRC2:TRAP_HANDLER: 0
; COMPUTE_PGM_RSRC2:TGID_X_EN: 1
; COMPUTE_PGM_RSRC2:TGID_Y_EN: 1
; COMPUTE_PGM_RSRC2:TGID_Z_EN: 0
; COMPUTE_PGM_RSRC2:TIDIG_COMP_CNT: 1
	.section	.text._ZN2at6native12_GLOBAL__N_135GammaBetaBackwardCUDAKernelTemplateIN3c108BFloat16EfLj32ELj1ELj32ELb1ELb1ELb1EEEvllPKT_S7_PKT0_SA_PS5_SB_,"axG",@progbits,_ZN2at6native12_GLOBAL__N_135GammaBetaBackwardCUDAKernelTemplateIN3c108BFloat16EfLj32ELj1ELj32ELb1ELb1ELb1EEEvllPKT_S7_PKT0_SA_PS5_SB_,comdat
	.globl	_ZN2at6native12_GLOBAL__N_135GammaBetaBackwardCUDAKernelTemplateIN3c108BFloat16EfLj32ELj1ELj32ELb1ELb1ELb1EEEvllPKT_S7_PKT0_SA_PS5_SB_ ; -- Begin function _ZN2at6native12_GLOBAL__N_135GammaBetaBackwardCUDAKernelTemplateIN3c108BFloat16EfLj32ELj1ELj32ELb1ELb1ELb1EEEvllPKT_S7_PKT0_SA_PS5_SB_
	.p2align	8
	.type	_ZN2at6native12_GLOBAL__N_135GammaBetaBackwardCUDAKernelTemplateIN3c108BFloat16EfLj32ELj1ELj32ELb1ELb1ELb1EEEvllPKT_S7_PKT0_SA_PS5_SB_,@function
_ZN2at6native12_GLOBAL__N_135GammaBetaBackwardCUDAKernelTemplateIN3c108BFloat16EfLj32ELj1ELj32ELb1ELb1ELb1EEEvllPKT_S7_PKT0_SA_PS5_SB_: ; @_ZN2at6native12_GLOBAL__N_135GammaBetaBackwardCUDAKernelTemplateIN3c108BFloat16EfLj32ELj1ELj32ELb1ELb1ELb1EEEvllPKT_S7_PKT0_SA_PS5_SB_
; %bb.0:
	s_clause 0x1
	s_load_dwordx4 s[0:3], s[4:5], 0x0
	s_load_dwordx2 s[12:13], s[4:5], 0x30
	s_lshl_b32 s14, s7, 5
	s_mov_b32 s15, 0
	v_mov_b32_e32 v29, 0
	s_waitcnt lgkmcnt(0)
	v_cmp_le_i64_e64 s8, s[0:1], s[14:15]
	s_and_b32 vcc_lo, exec_lo, s8
	s_cbranch_vccnz .LBB198_5
; %bb.1:
	s_clause 0x3
	s_load_dword s16, s[4:5], 0x4c
	s_load_dword s17, s[4:5], 0x44
	s_load_dwordx4 s[8:11], s[4:5], 0x10
	s_load_dwordx2 s[18:19], s[4:5], 0x28
	v_lshlrev_b32_e32 v4, 5, v1
	v_mov_b32_e32 v3, 0
	v_lshl_or_b32 v2, s6, 5, v0
	v_mov_b32_e32 v8, 4
	v_mov_b32_e32 v9, 8
	;; [unrolled: 1-line block ×13, first 2 shown]
	s_waitcnt lgkmcnt(0)
	s_and_b32 s16, s16, 0xffff
	v_mov_b32_e32 v21, 56
	v_mad_u32_u24 v5, v1, s16, v0
	v_add_co_u32 v40, s16, v4, s14
	v_add_co_ci_u32_e64 v41, null, 0, 0, s16
	v_and_b32_e32 v29, 31, v5
	v_mul_lo_u32 v6, s3, v40
	v_mad_u64_u32 v[4:5], null, s2, v40, 0
	v_mul_lo_u32 v7, s2, v41
	s_lshl_b32 s16, s17, 5
	v_mov_b32_e32 v22, 60
	s_mul_i32 s20, s3, s16
	s_mul_hi_u32 s21, s2, s16
	v_mov_b32_e32 v23, 64
	v_mov_b32_e32 v24, 0x44
	;; [unrolled: 1-line block ×3, first 2 shown]
	v_add3_u32 v5, v5, v7, v6
	v_mov_b32_e32 v26, 0x4c
	v_mov_b32_e32 v27, 0x50
	;; [unrolled: 1-line block ×4, first 2 shown]
	v_lshlrev_b64 v[6:7], 1, v[4:5]
	v_add_co_u32 v4, vcc_lo, v40, v29
	v_add_co_ci_u32_e64 v5, null, 0, v41, vcc_lo
	v_lshlrev_b64 v[40:41], 1, v[2:3]
	v_mov_b32_e32 v31, 0x5c
	v_mov_b32_e32 v32, 0x60
	v_lshlrev_b64 v[42:43], 2, v[4:5]
	v_mov_b32_e32 v33, 0x64
	v_mov_b32_e32 v34, 0x68
	v_add_co_u32 v2, vcc_lo, v6, v40
	v_add_co_ci_u32_e64 v40, null, v7, v41, vcc_lo
	v_add_co_u32 v6, vcc_lo, s18, v42
	v_mov_b32_e32 v35, 0x6c
	v_mov_b32_e32 v36, 0x70
	;; [unrolled: 1-line block ×5, first 2 shown]
	v_add_co_ci_u32_e64 v7, null, s19, v43, vcc_lo
	v_mov_b32_e32 v29, 0
	s_mov_b32 s17, s15
	s_add_i32 s21, s21, s20
	s_mul_i32 s20, s2, s16
	s_lshl_b64 s[22:23], s[2:3], 1
	s_lshl_b64 s[18:19], s[20:21], 1
	;; [unrolled: 1-line block ×3, first 2 shown]
	s_branch .LBB198_3
.LBB198_2:                              ;   in Loop: Header=BB198_3 Depth=1
	s_or_b32 exec_lo, exec_lo, s17
	v_add_co_u32 v42, vcc_lo, s8, v2
	v_add_co_ci_u32_e64 v43, null, s9, v40, vcc_lo
	v_add_co_u32 v44, vcc_lo, s10, v2
	v_add_co_ci_u32_e64 v45, null, s11, v40, vcc_lo
	global_load_ushort v48, v[42:43], off
	global_load_ushort v49, v[44:45], off
	v_add_co_u32 v42, vcc_lo, v42, s22
	v_add_co_ci_u32_e64 v43, null, s23, v43, vcc_lo
	v_add_co_u32 v44, vcc_lo, v44, s22
	v_add_co_ci_u32_e64 v45, null, s23, v45, vcc_lo
	global_load_ushort v50, v[42:43], off
	global_load_ushort v51, v[44:45], off
	;; [unrolled: 6-line block ×6, first 2 shown]
	v_add_co_u32 v42, vcc_lo, v42, s22
	v_add_co_ci_u32_e64 v43, null, s23, v43, vcc_lo
	v_add_co_u32 v44, vcc_lo, v44, s22
	v_add_co_ci_u32_e64 v45, null, s23, v45, vcc_lo
	global_load_ushort v60, v[42:43], off
	v_add_co_u32 v42, vcc_lo, v42, s22
	global_load_ushort v61, v[44:45], off
	v_add_co_ci_u32_e64 v43, null, s23, v43, vcc_lo
	v_add_co_u32 v46, vcc_lo, v44, s22
	v_add_co_ci_u32_e64 v47, null, s23, v45, vcc_lo
	v_add_co_u32 v44, vcc_lo, v42, s22
	global_load_ushort v62, v[42:43], off
	v_add_co_ci_u32_e64 v45, null, s23, v43, vcc_lo
	s_add_u32 s14, s14, s16
	s_addc_u32 s15, s15, 0
	v_cmp_lt_i64_e64 s17, s[14:15], s[0:1]
	s_waitcnt vmcnt(14)
	v_lshlrev_b32_e32 v42, 16, v48
	global_load_ushort v48, v[46:47], off
	s_waitcnt vmcnt(14)
	v_lshlrev_b32_e32 v43, 16, v49
	global_load_ushort v49, v[44:45], off
	v_mul_f32_e32 v42, v42, v43
	ds_bpermute_b32 v43, v3, v41
	s_waitcnt lgkmcnt(0)
	v_fmac_f32_e32 v29, v42, v43
	v_add_co_u32 v42, vcc_lo, v46, s22
	v_add_co_ci_u32_e64 v43, null, s23, v47, vcc_lo
	v_add_co_u32 v46, vcc_lo, v44, s22
	v_add_co_ci_u32_e64 v47, null, s23, v45, vcc_lo
	s_waitcnt vmcnt(14)
	v_lshlrev_b32_e32 v44, 16, v50
	s_waitcnt vmcnt(13)
	v_lshlrev_b32_e32 v45, 16, v51
	global_load_ushort v50, v[42:43], off
	global_load_ushort v51, v[46:47], off
	v_mul_f32_e32 v44, v44, v45
	ds_bpermute_b32 v45, v8, v41
	s_waitcnt lgkmcnt(0)
	v_fmac_f32_e32 v29, v44, v45
	v_add_co_u32 v44, vcc_lo, v42, s22
	v_add_co_ci_u32_e64 v45, null, s23, v43, vcc_lo
	v_add_co_u32 v42, vcc_lo, v46, s22
	v_add_co_ci_u32_e64 v43, null, s23, v47, vcc_lo
	s_waitcnt vmcnt(14)
	v_lshlrev_b32_e32 v46, 16, v52
	s_waitcnt vmcnt(13)
	v_lshlrev_b32_e32 v47, 16, v53
	global_load_ushort v52, v[44:45], off
	;; [unrolled: 14-line block ×6, first 2 shown]
	global_load_ushort v61, v[44:45], off
	v_mul_f32_e32 v42, v42, v43
	ds_bpermute_b32 v43, v13, v41
	s_waitcnt lgkmcnt(0)
	v_fmac_f32_e32 v29, v42, v43
	v_add_co_u32 v42, vcc_lo, v46, s22
	v_add_co_ci_u32_e64 v43, null, s23, v47, vcc_lo
	v_add_co_u32 v46, vcc_lo, v44, s22
	v_add_co_ci_u32_e64 v47, null, s23, v45, vcc_lo
	s_waitcnt vmcnt(14)
	v_lshlrev_b32_e32 v44, 16, v62
	global_load_ushort v62, v[46:47], off
	s_waitcnt vmcnt(14)
	v_lshlrev_b32_e32 v45, 16, v48
	global_load_ushort v48, v[42:43], off
	v_mul_f32_e32 v44, v44, v45
	ds_bpermute_b32 v45, v14, v41
	s_waitcnt lgkmcnt(0)
	v_fmac_f32_e32 v29, v44, v45
	v_add_co_u32 v44, vcc_lo, v42, s22
	v_add_co_ci_u32_e64 v45, null, s23, v43, vcc_lo
	v_add_co_u32 v42, vcc_lo, v46, s22
	s_waitcnt vmcnt(14)
	v_lshlrev_b32_e32 v46, 16, v49
	global_load_ushort v49, v[44:45], off
	v_add_co_ci_u32_e64 v43, null, s23, v47, vcc_lo
	s_waitcnt vmcnt(14)
	v_lshlrev_b32_e32 v47, 16, v50
	global_load_ushort v50, v[42:43], off
	v_mul_f32_e32 v46, v46, v47
	ds_bpermute_b32 v47, v15, v41
	s_waitcnt lgkmcnt(0)
	v_fmac_f32_e32 v29, v46, v47
	v_add_co_u32 v46, vcc_lo, v44, s22
	v_add_co_ci_u32_e64 v47, null, s23, v45, vcc_lo
	v_add_co_u32 v44, vcc_lo, v42, s22
	v_add_co_ci_u32_e64 v45, null, s23, v43, vcc_lo
	s_waitcnt vmcnt(14)
	v_lshlrev_b32_e32 v42, 16, v51
	s_waitcnt vmcnt(13)
	v_lshlrev_b32_e32 v43, 16, v52
	global_load_ushort v51, v[46:47], off
	global_load_ushort v52, v[44:45], off
	v_mul_f32_e32 v42, v42, v43
	ds_bpermute_b32 v43, v16, v41
	s_waitcnt lgkmcnt(0)
	v_fmac_f32_e32 v29, v42, v43
	v_add_co_u32 v42, vcc_lo, v46, s22
	v_add_co_ci_u32_e64 v43, null, s23, v47, vcc_lo
	v_add_co_u32 v46, vcc_lo, v44, s22
	v_add_co_ci_u32_e64 v47, null, s23, v45, vcc_lo
	s_waitcnt vmcnt(14)
	v_lshlrev_b32_e32 v44, 16, v53
	s_waitcnt vmcnt(13)
	v_lshlrev_b32_e32 v45, 16, v54
	global_load_ushort v53, v[42:43], off
	;; [unrolled: 14-line block ×6, first 2 shown]
	v_mul_f32_e32 v46, v46, v47
	ds_bpermute_b32 v47, v21, v41
	s_waitcnt lgkmcnt(0)
	v_fmac_f32_e32 v29, v46, v47
	v_add_co_u32 v46, vcc_lo, v44, s22
	v_add_co_ci_u32_e64 v47, null, s23, v45, vcc_lo
	v_add_co_u32 v44, vcc_lo, v46, s22
	v_add_co_ci_u32_e64 v45, null, s23, v47, vcc_lo
	global_load_ushort v61, v[46:47], off
	s_waitcnt vmcnt(13)
	v_lshlrev_b32_e32 v47, 16, v49
	global_load_ushort v49, v[42:43], off
	v_lshlrev_b32_e32 v46, 16, v62
	v_mul_f32_e32 v46, v46, v47
	ds_bpermute_b32 v47, v22, v41
	s_waitcnt lgkmcnt(0)
	v_fmac_f32_e32 v29, v46, v47
	v_add_co_u32 v46, vcc_lo, v42, s22
	v_add_co_ci_u32_e64 v47, null, s23, v43, vcc_lo
	v_add_co_u32 v42, vcc_lo, v46, s22
	v_add_co_ci_u32_e64 v43, null, s23, v47, vcc_lo
	global_load_ushort v62, v[46:47], off
	s_waitcnt vmcnt(14)
	v_lshlrev_b32_e32 v46, 16, v50
	s_waitcnt vmcnt(13)
	v_lshlrev_b32_e32 v47, 16, v51
	global_load_ushort v50, v[44:45], off
	global_load_ushort v51, v[42:43], off
	v_mul_f32_e32 v46, v46, v47
	ds_bpermute_b32 v47, v23, v41
	s_waitcnt lgkmcnt(0)
	v_fmac_f32_e32 v29, v46, v47
	v_add_co_u32 v46, vcc_lo, v44, s22
	v_add_co_ci_u32_e64 v47, null, s23, v45, vcc_lo
	v_add_co_u32 v44, vcc_lo, v42, s22
	v_add_co_ci_u32_e64 v45, null, s23, v43, vcc_lo
	s_waitcnt vmcnt(14)
	v_lshlrev_b32_e32 v42, 16, v52
	s_waitcnt vmcnt(13)
	v_lshlrev_b32_e32 v43, 16, v53
	global_load_ushort v52, v[46:47], off
	global_load_ushort v53, v[44:45], off
	v_mul_f32_e32 v42, v42, v43
	ds_bpermute_b32 v43, v24, v41
	s_waitcnt lgkmcnt(0)
	v_fmac_f32_e32 v29, v42, v43
	v_add_co_u32 v42, vcc_lo, v46, s22
	v_add_co_ci_u32_e64 v43, null, s23, v47, vcc_lo
	v_add_co_u32 v46, vcc_lo, v44, s22
	v_add_co_ci_u32_e64 v47, null, s23, v45, vcc_lo
	;; [unrolled: 14-line block ×5, first 2 shown]
	s_waitcnt vmcnt(14)
	v_lshlrev_b32_e32 v44, 16, v60
	global_load_ushort v60, v[46:47], off
	s_waitcnt vmcnt(14)
	v_lshlrev_b32_e32 v45, 16, v48
	global_load_ushort v48, v[42:43], off
	v_mul_f32_e32 v44, v44, v45
	ds_bpermute_b32 v45, v28, v41
	s_waitcnt lgkmcnt(0)
	v_fmac_f32_e32 v29, v44, v45
	v_add_co_u32 v44, vcc_lo, v42, s22
	v_add_co_ci_u32_e64 v45, null, s23, v43, vcc_lo
	v_add_co_u32 v42, vcc_lo, v46, s22
	v_add_co_ci_u32_e64 v43, null, s23, v47, vcc_lo
	s_waitcnt vmcnt(14)
	v_lshlrev_b32_e32 v46, 16, v61
	s_waitcnt vmcnt(13)
	v_lshlrev_b32_e32 v47, 16, v49
	global_load_ushort v49, v[44:45], off
	v_mul_f32_e32 v46, v47, v46
	ds_bpermute_b32 v47, v30, v41
	s_waitcnt lgkmcnt(0)
	v_fmac_f32_e32 v29, v46, v47
	v_add_co_u32 v46, vcc_lo, v44, s22
	v_add_co_ci_u32_e64 v47, null, s23, v45, vcc_lo
	v_add_co_u32 v44, vcc_lo, v46, s22
	v_add_co_ci_u32_e64 v45, null, s23, v47, vcc_lo
	global_load_ushort v61, v[46:47], off
	v_add_co_u32 v46, vcc_lo, v42, s22
	v_add_co_ci_u32_e64 v47, null, s23, v43, vcc_lo
	global_load_ushort v42, v[42:43], off
	global_load_ushort v43, v[44:45], off
	global_load_ushort v44, v[46:47], off
	ds_bpermute_b32 v45, v31, v41
	s_waitcnt vmcnt(16)
	v_lshlrev_b32_e32 v46, 16, v50
	v_lshlrev_b32_e32 v47, 16, v62
	s_waitcnt vmcnt(15)
	v_lshlrev_b32_e32 v50, 16, v51
	ds_bpermute_b32 v51, v34, v41
	v_add_co_u32 v2, vcc_lo, v2, s18
	v_mul_f32_e32 v46, v47, v46
	ds_bpermute_b32 v47, v32, v41
	v_add_co_ci_u32_e64 v40, null, s19, v40, vcc_lo
	v_add_co_u32 v6, vcc_lo, v6, s20
	v_add_co_ci_u32_e64 v7, null, s21, v7, vcc_lo
	v_add_co_u32 v4, vcc_lo, v4, s16
	v_add_co_ci_u32_e64 v5, null, 0, v5, vcc_lo
	s_and_b32 vcc_lo, exec_lo, s17
	s_waitcnt lgkmcnt(2)
	v_fmac_f32_e32 v29, v46, v45
	ds_bpermute_b32 v45, v33, v41
	s_waitcnt vmcnt(14)
	v_lshlrev_b32_e32 v46, 16, v52
	v_mul_f32_e32 v46, v50, v46
	s_waitcnt vmcnt(13)
	v_lshlrev_b32_e32 v50, 16, v53
	ds_bpermute_b32 v53, v35, v41
	s_waitcnt lgkmcnt(2)
	v_fmac_f32_e32 v29, v46, v47
	s_waitcnt vmcnt(12)
	v_lshlrev_b32_e32 v52, 16, v54
	s_waitcnt vmcnt(11)
	v_lshlrev_b32_e32 v47, 16, v55
	v_mul_f32_e32 v46, v50, v52
	ds_bpermute_b32 v50, v36, v41
	s_waitcnt lgkmcnt(2)
	v_fmac_f32_e32 v29, v46, v45
	s_waitcnt vmcnt(10)
	v_lshlrev_b32_e32 v54, 16, v56
	s_waitcnt vmcnt(9)
	v_lshlrev_b32_e32 v46, 16, v57
	v_mul_f32_e32 v45, v47, v54
	ds_bpermute_b32 v47, v37, v41
	v_fmac_f32_e32 v29, v45, v51
	ds_bpermute_b32 v51, v38, v41
	ds_bpermute_b32 v41, v39, v41
	s_waitcnt vmcnt(8)
	v_lshlrev_b32_e32 v52, 16, v58
	v_mul_f32_e32 v45, v46, v52
	s_waitcnt vmcnt(7)
	v_lshlrev_b32_e32 v46, 16, v59
	s_waitcnt lgkmcnt(4)
	v_fmac_f32_e32 v29, v45, v53
	s_waitcnt vmcnt(5)
	v_lshlrev_b32_e32 v48, 16, v48
	v_mul_f32_e32 v45, v46, v48
	v_lshlrev_b32_e32 v46, 16, v60
	s_waitcnt lgkmcnt(3)
	v_fmac_f32_e32 v29, v45, v50
	s_waitcnt vmcnt(4)
	v_lshlrev_b32_e32 v49, 16, v49
	v_mul_f32_e32 v45, v46, v49
	s_waitcnt lgkmcnt(2)
	v_fmac_f32_e32 v29, v45, v47
	s_waitcnt vmcnt(3)
	v_lshlrev_b32_e32 v48, 16, v61
	s_waitcnt vmcnt(2)
	v_lshlrev_b32_e32 v42, 16, v42
	;; [unrolled: 2-line block ×4, first 2 shown]
	v_mul_f32_e32 v42, v42, v48
	s_waitcnt lgkmcnt(1)
	v_fmac_f32_e32 v29, v42, v51
	v_mul_f32_e32 v42, v44, v43
	s_waitcnt lgkmcnt(0)
	v_fmac_f32_e32 v29, v42, v41
	s_cbranch_vccz .LBB198_5
.LBB198_3:                              ; =>This Inner Loop Header: Depth=1
	v_mov_b32_e32 v41, 0
	s_mov_b32 s17, exec_lo
	v_cmpx_gt_i64_e64 s[0:1], v[4:5]
	s_cbranch_execz .LBB198_2
; %bb.4:                                ;   in Loop: Header=BB198_3 Depth=1
	global_load_dword v41, v[6:7], off
	s_branch .LBB198_2
.LBB198_5:
	s_cmp_eq_u64 s[12:13], 0
	s_cbranch_scc1 .LBB198_7
; %bb.6:
	s_load_dword s0, s[4:5], 0x4c
	v_mov_b32_e32 v2, 0
	v_lshlrev_b32_e32 v0, 1, v0
	s_waitcnt lgkmcnt(0)
	s_lshr_b32 s0, s0, 16
	v_mad_u64_u32 v[1:2], null, s0, s7, v[1:2]
	s_mov_b32 s7, 0
	s_lshl_b64 s[0:1], s[6:7], 6
	v_mul_lo_u32 v3, v2, s2
	v_mul_lo_u32 v4, v1, s3
	v_mad_u64_u32 v[1:2], null, v1, s2, 0
	v_add3_u32 v2, v2, v4, v3
	v_bfe_u32 v3, v29, 16, 1
	v_lshlrev_b64 v[1:2], 1, v[1:2]
	v_add3_u32 v3, v29, v3, 0x7fff
	v_lshrrev_b32_e32 v3, 16, v3
	v_add_co_u32 v1, vcc_lo, s12, v1
	v_add_co_ci_u32_e64 v2, null, s13, v2, vcc_lo
	v_add_co_u32 v1, vcc_lo, v1, s0
	v_add_co_ci_u32_e64 v2, null, s1, v2, vcc_lo
	v_cmp_o_f32_e32 vcc_lo, v29, v29
	v_cndmask_b32_e32 v3, 0x7fc0, v3, vcc_lo
	v_add_co_u32 v0, vcc_lo, v1, v0
	v_add_co_ci_u32_e64 v1, null, 0, v2, vcc_lo
	global_store_short v[0:1], v3, off
.LBB198_7:
	s_endpgm
	.section	.rodata,"a",@progbits
	.p2align	6, 0x0
	.amdhsa_kernel _ZN2at6native12_GLOBAL__N_135GammaBetaBackwardCUDAKernelTemplateIN3c108BFloat16EfLj32ELj1ELj32ELb1ELb1ELb1EEEvllPKT_S7_PKT0_SA_PS5_SB_
		.amdhsa_group_segment_fixed_size 0
		.amdhsa_private_segment_fixed_size 0
		.amdhsa_kernarg_size 320
		.amdhsa_user_sgpr_count 6
		.amdhsa_user_sgpr_private_segment_buffer 1
		.amdhsa_user_sgpr_dispatch_ptr 0
		.amdhsa_user_sgpr_queue_ptr 0
		.amdhsa_user_sgpr_kernarg_segment_ptr 1
		.amdhsa_user_sgpr_dispatch_id 0
		.amdhsa_user_sgpr_flat_scratch_init 0
		.amdhsa_user_sgpr_private_segment_size 0
		.amdhsa_wavefront_size32 1
		.amdhsa_uses_dynamic_stack 0
		.amdhsa_system_sgpr_private_segment_wavefront_offset 0
		.amdhsa_system_sgpr_workgroup_id_x 1
		.amdhsa_system_sgpr_workgroup_id_y 1
		.amdhsa_system_sgpr_workgroup_id_z 0
		.amdhsa_system_sgpr_workgroup_info 0
		.amdhsa_system_vgpr_workitem_id 1
		.amdhsa_next_free_vgpr 63
		.amdhsa_next_free_sgpr 24
		.amdhsa_reserve_vcc 1
		.amdhsa_reserve_flat_scratch 0
		.amdhsa_float_round_mode_32 0
		.amdhsa_float_round_mode_16_64 0
		.amdhsa_float_denorm_mode_32 3
		.amdhsa_float_denorm_mode_16_64 3
		.amdhsa_dx10_clamp 1
		.amdhsa_ieee_mode 1
		.amdhsa_fp16_overflow 0
		.amdhsa_workgroup_processor_mode 1
		.amdhsa_memory_ordered 1
		.amdhsa_forward_progress 1
		.amdhsa_shared_vgpr_count 0
		.amdhsa_exception_fp_ieee_invalid_op 0
		.amdhsa_exception_fp_denorm_src 0
		.amdhsa_exception_fp_ieee_div_zero 0
		.amdhsa_exception_fp_ieee_overflow 0
		.amdhsa_exception_fp_ieee_underflow 0
		.amdhsa_exception_fp_ieee_inexact 0
		.amdhsa_exception_int_div_zero 0
	.end_amdhsa_kernel
	.section	.text._ZN2at6native12_GLOBAL__N_135GammaBetaBackwardCUDAKernelTemplateIN3c108BFloat16EfLj32ELj1ELj32ELb1ELb1ELb1EEEvllPKT_S7_PKT0_SA_PS5_SB_,"axG",@progbits,_ZN2at6native12_GLOBAL__N_135GammaBetaBackwardCUDAKernelTemplateIN3c108BFloat16EfLj32ELj1ELj32ELb1ELb1ELb1EEEvllPKT_S7_PKT0_SA_PS5_SB_,comdat
.Lfunc_end198:
	.size	_ZN2at6native12_GLOBAL__N_135GammaBetaBackwardCUDAKernelTemplateIN3c108BFloat16EfLj32ELj1ELj32ELb1ELb1ELb1EEEvllPKT_S7_PKT0_SA_PS5_SB_, .Lfunc_end198-_ZN2at6native12_GLOBAL__N_135GammaBetaBackwardCUDAKernelTemplateIN3c108BFloat16EfLj32ELj1ELj32ELb1ELb1ELb1EEEvllPKT_S7_PKT0_SA_PS5_SB_
                                        ; -- End function
	.set _ZN2at6native12_GLOBAL__N_135GammaBetaBackwardCUDAKernelTemplateIN3c108BFloat16EfLj32ELj1ELj32ELb1ELb1ELb1EEEvllPKT_S7_PKT0_SA_PS5_SB_.num_vgpr, 63
	.set _ZN2at6native12_GLOBAL__N_135GammaBetaBackwardCUDAKernelTemplateIN3c108BFloat16EfLj32ELj1ELj32ELb1ELb1ELb1EEEvllPKT_S7_PKT0_SA_PS5_SB_.num_agpr, 0
	.set _ZN2at6native12_GLOBAL__N_135GammaBetaBackwardCUDAKernelTemplateIN3c108BFloat16EfLj32ELj1ELj32ELb1ELb1ELb1EEEvllPKT_S7_PKT0_SA_PS5_SB_.numbered_sgpr, 24
	.set _ZN2at6native12_GLOBAL__N_135GammaBetaBackwardCUDAKernelTemplateIN3c108BFloat16EfLj32ELj1ELj32ELb1ELb1ELb1EEEvllPKT_S7_PKT0_SA_PS5_SB_.num_named_barrier, 0
	.set _ZN2at6native12_GLOBAL__N_135GammaBetaBackwardCUDAKernelTemplateIN3c108BFloat16EfLj32ELj1ELj32ELb1ELb1ELb1EEEvllPKT_S7_PKT0_SA_PS5_SB_.private_seg_size, 0
	.set _ZN2at6native12_GLOBAL__N_135GammaBetaBackwardCUDAKernelTemplateIN3c108BFloat16EfLj32ELj1ELj32ELb1ELb1ELb1EEEvllPKT_S7_PKT0_SA_PS5_SB_.uses_vcc, 1
	.set _ZN2at6native12_GLOBAL__N_135GammaBetaBackwardCUDAKernelTemplateIN3c108BFloat16EfLj32ELj1ELj32ELb1ELb1ELb1EEEvllPKT_S7_PKT0_SA_PS5_SB_.uses_flat_scratch, 0
	.set _ZN2at6native12_GLOBAL__N_135GammaBetaBackwardCUDAKernelTemplateIN3c108BFloat16EfLj32ELj1ELj32ELb1ELb1ELb1EEEvllPKT_S7_PKT0_SA_PS5_SB_.has_dyn_sized_stack, 0
	.set _ZN2at6native12_GLOBAL__N_135GammaBetaBackwardCUDAKernelTemplateIN3c108BFloat16EfLj32ELj1ELj32ELb1ELb1ELb1EEEvllPKT_S7_PKT0_SA_PS5_SB_.has_recursion, 0
	.set _ZN2at6native12_GLOBAL__N_135GammaBetaBackwardCUDAKernelTemplateIN3c108BFloat16EfLj32ELj1ELj32ELb1ELb1ELb1EEEvllPKT_S7_PKT0_SA_PS5_SB_.has_indirect_call, 0
	.section	.AMDGPU.csdata,"",@progbits
; Kernel info:
; codeLenInByte = 3440
; TotalNumSgprs: 26
; NumVgprs: 63
; ScratchSize: 0
; MemoryBound: 0
; FloatMode: 240
; IeeeMode: 1
; LDSByteSize: 0 bytes/workgroup (compile time only)
; SGPRBlocks: 0
; VGPRBlocks: 7
; NumSGPRsForWavesPerEU: 26
; NumVGPRsForWavesPerEU: 63
; Occupancy: 16
; WaveLimiterHint : 0
; COMPUTE_PGM_RSRC2:SCRATCH_EN: 0
; COMPUTE_PGM_RSRC2:USER_SGPR: 6
; COMPUTE_PGM_RSRC2:TRAP_HANDLER: 0
; COMPUTE_PGM_RSRC2:TGID_X_EN: 1
; COMPUTE_PGM_RSRC2:TGID_Y_EN: 1
; COMPUTE_PGM_RSRC2:TGID_Z_EN: 0
; COMPUTE_PGM_RSRC2:TIDIG_COMP_CNT: 1
	.section	.text._ZN2at6native12_GLOBAL__N_135GammaBetaBackwardCUDAKernelTemplateIN3c108BFloat16EfLj32ELj1ELj32ELb1ELb0ELb1EEEvllPKT_S7_PKT0_SA_PS5_SB_,"axG",@progbits,_ZN2at6native12_GLOBAL__N_135GammaBetaBackwardCUDAKernelTemplateIN3c108BFloat16EfLj32ELj1ELj32ELb1ELb0ELb1EEEvllPKT_S7_PKT0_SA_PS5_SB_,comdat
	.globl	_ZN2at6native12_GLOBAL__N_135GammaBetaBackwardCUDAKernelTemplateIN3c108BFloat16EfLj32ELj1ELj32ELb1ELb0ELb1EEEvllPKT_S7_PKT0_SA_PS5_SB_ ; -- Begin function _ZN2at6native12_GLOBAL__N_135GammaBetaBackwardCUDAKernelTemplateIN3c108BFloat16EfLj32ELj1ELj32ELb1ELb0ELb1EEEvllPKT_S7_PKT0_SA_PS5_SB_
	.p2align	8
	.type	_ZN2at6native12_GLOBAL__N_135GammaBetaBackwardCUDAKernelTemplateIN3c108BFloat16EfLj32ELj1ELj32ELb1ELb0ELb1EEEvllPKT_S7_PKT0_SA_PS5_SB_,@function
_ZN2at6native12_GLOBAL__N_135GammaBetaBackwardCUDAKernelTemplateIN3c108BFloat16EfLj32ELj1ELj32ELb1ELb0ELb1EEEvllPKT_S7_PKT0_SA_PS5_SB_: ; @_ZN2at6native12_GLOBAL__N_135GammaBetaBackwardCUDAKernelTemplateIN3c108BFloat16EfLj32ELj1ELj32ELb1ELb0ELb1EEEvllPKT_S7_PKT0_SA_PS5_SB_
; %bb.0:
	s_mov_b64 s[38:39], s[2:3]
	s_mov_b64 s[36:37], s[0:1]
	s_mov_b32 s0, s7
	s_add_u32 s36, s36, s8
	s_clause 0x1
	s_load_dwordx8 s[8:15], s[4:5], 0x0
	s_load_dwordx2 s[16:17], s[4:5], 0x28
	s_addc_u32 s37, s37, 0
	s_lshl_b32 s7, s6, 5
	s_mov_b32 s19, 0
	s_or_b32 s18, s7, 31
	v_mov_b32_e32 v224, v0
	v_mov_b32_e32 v223, v1
	s_waitcnt lgkmcnt(0)
	v_cmp_le_i64_e64 s1, s[10:11], s[18:19]
	s_lshl_b32 s18, s0, 5
	v_cmp_gt_i64_e64 s26, s[8:9], s[18:19]
	s_and_b32 vcc_lo, exec_lo, s1
	v_cndmask_b32_e64 v0, 0, 1, s26
	v_cmp_ne_u32_e64 s1, 1, v0
	s_cbranch_vccz .LBB199_141
; %bb.1:
	v_mov_b32_e32 v202, 0
	s_and_b32 vcc_lo, exec_lo, s1
	s_cbranch_vccnz .LBB199_142
; %bb.2:
	v_lshlrev_b32_e32 v39, 5, v223
	v_mov_b32_e32 v2, 0
	v_add_nc_u32_e32 v0, s7, v224
	s_load_dword s2, s[4:5], 0x44
	s_add_u32 s20, s4, 64
	v_add_co_u32 v5, s1, v39, s18
	v_add_co_ci_u32_e64 v6, null, 0, 0, s1
	v_mov_b32_e32 v1, v2
	v_mul_lo_u32 v7, s11, v5
	v_mad_u64_u32 v[3:4], null, s10, v5, 0
	v_mul_lo_u32 v8, s10, v6
	v_cmp_gt_i64_e64 s1, s[10:11], v[0:1]
	v_lshlrev_b64 v[35:36], 1, v[0:1]
	s_addc_u32 s21, s5, 0
	v_mov_b32_e32 v40, v2
	v_mov_b32_e32 v167, 0
	s_mov_b64 s[24:25], s[18:19]
	v_add3_u32 v4, v4, v8, v7
	v_add_co_u32 v7, vcc_lo, v5, 31
	v_add_co_ci_u32_e64 v8, null, 0, v6, vcc_lo
	v_add_co_u32 v9, vcc_lo, v5, 30
	v_add_co_ci_u32_e64 v10, null, 0, v6, vcc_lo
	v_lshlrev_b64 v[0:1], 1, v[3:4]
	v_mul_lo_u32 v11, s11, v7
	v_mul_lo_u32 v12, s10, v8
	v_mad_u64_u32 v[7:8], null, s10, v7, 0
	v_mul_lo_u32 v13, s11, v9
	v_mul_lo_u32 v14, s10, v10
	v_mad_u64_u32 v[9:10], null, s10, v9, 0
	v_add_co_u32 v41, vcc_lo, s12, v0
	v_add_co_ci_u32_e64 v42, null, s13, v1, vcc_lo
	v_add_co_u32 v43, vcc_lo, s14, v0
	v_add3_u32 v8, v8, v12, v11
	v_add_co_ci_u32_e64 v44, null, s15, v1, vcc_lo
	v_add_co_u32 v11, vcc_lo, v5, 29
	v_add3_u32 v10, v10, v14, v13
	v_add_co_ci_u32_e64 v12, null, 0, v6, vcc_lo
	v_lshlrev_b64 v[0:1], 1, v[7:8]
	v_mul_lo_u32 v13, s11, v11
	v_lshlrev_b64 v[7:8], 1, v[9:10]
	v_mul_lo_u32 v12, s10, v12
	v_mad_u64_u32 v[9:10], null, s10, v11, 0
	v_add_co_u32 v45, vcc_lo, s12, v0
	v_add_co_ci_u32_e64 v46, null, s13, v1, vcc_lo
	v_add_co_u32 v47, vcc_lo, s14, v0
	v_add3_u32 v10, v10, v12, v13
	s_waitcnt lgkmcnt(0)
	s_lshl_b32 s27, s2, 5
	v_add_co_ci_u32_e64 v48, null, s15, v1, vcc_lo
	v_add_co_u32 v49, vcc_lo, s12, v7
	s_mul_i32 s2, s11, s27
	s_mul_hi_u32 s3, s10, s27
	v_add_co_ci_u32_e64 v50, null, s13, v8, vcc_lo
	v_add_co_u32 v11, vcc_lo, v5, 28
	s_add_i32 s23, s3, s2
	v_add_co_u32 v51, s2, s14, v7
	v_lshlrev_b64 v[0:1], 1, v[9:10]
	v_add_co_ci_u32_e64 v7, null, 0, v6, vcc_lo
	v_add_co_u32 v9, vcc_lo, v5, 27
	v_add_co_ci_u32_e64 v10, null, 0, v6, vcc_lo
	v_add_co_ci_u32_e64 v52, null, s15, v8, s2
	v_mul_lo_u32 v12, s11, v11
	v_mul_lo_u32 v13, s10, v7
	v_mad_u64_u32 v[7:8], null, s10, v11, 0
	v_mul_lo_u32 v11, s11, v9
	v_mul_lo_u32 v14, s10, v10
	v_mad_u64_u32 v[9:10], null, s10, v9, 0
	v_add_co_u32 v53, vcc_lo, s12, v0
	v_add_co_ci_u32_e64 v54, null, s13, v1, vcc_lo
	v_add_co_u32 v55, vcc_lo, s14, v0
	v_add_co_ci_u32_e64 v56, null, s15, v1, vcc_lo
	v_add3_u32 v10, v10, v14, v11
	v_add_co_u32 v11, vcc_lo, v5, 26
	v_add3_u32 v8, v8, v13, v12
	v_add_co_ci_u32_e64 v12, null, 0, v6, vcc_lo
	v_mul_lo_u32 v13, s11, v11
	s_mul_i32 s22, s10, s27
	v_lshlrev_b64 v[0:1], 1, v[7:8]
	v_lshlrev_b64 v[7:8], 1, v[9:10]
	v_mul_lo_u32 v12, s10, v12
	v_mad_u64_u32 v[9:10], null, s10, v11, 0
	v_add_co_u32 v57, vcc_lo, s12, v0
	v_add_co_ci_u32_e64 v58, null, s13, v1, vcc_lo
	v_add_co_u32 v59, vcc_lo, s14, v0
	v_add3_u32 v10, v10, v12, v13
	v_add_co_ci_u32_e64 v60, null, s15, v1, vcc_lo
	v_add_co_u32 v61, vcc_lo, s12, v7
	v_add_co_ci_u32_e64 v62, null, s13, v8, vcc_lo
	v_add_co_u32 v11, vcc_lo, v5, 25
	v_add_co_u32 v63, s2, s14, v7
	v_lshlrev_b64 v[0:1], 1, v[9:10]
	v_add_co_ci_u32_e64 v7, null, 0, v6, vcc_lo
	v_add_co_u32 v9, vcc_lo, v5, 24
	v_add_co_ci_u32_e64 v10, null, 0, v6, vcc_lo
	v_add_co_ci_u32_e64 v64, null, s15, v8, s2
	v_mul_lo_u32 v12, s11, v11
	v_mul_lo_u32 v13, s10, v7
	v_mad_u64_u32 v[7:8], null, s10, v11, 0
	v_mul_lo_u32 v11, s11, v9
	v_mul_lo_u32 v14, s10, v10
	v_mad_u64_u32 v[9:10], null, s10, v9, 0
	v_add_co_u32 v65, vcc_lo, s12, v0
	v_add_co_ci_u32_e64 v66, null, s13, v1, vcc_lo
	v_add_co_u32 v67, vcc_lo, s14, v0
	v_add_co_ci_u32_e64 v68, null, s15, v1, vcc_lo
	v_add3_u32 v10, v10, v14, v11
	v_add_co_u32 v11, vcc_lo, v5, 23
	v_add3_u32 v8, v8, v13, v12
	v_add_co_ci_u32_e64 v12, null, 0, v6, vcc_lo
	v_mul_lo_u32 v13, s11, v11
	v_lshlrev_b64 v[0:1], 1, v[7:8]
	v_lshlrev_b64 v[7:8], 1, v[9:10]
	v_mul_lo_u32 v12, s10, v12
	v_mad_u64_u32 v[9:10], null, s10, v11, 0
	v_add_co_u32 v69, vcc_lo, s12, v0
	v_add_co_ci_u32_e64 v70, null, s13, v1, vcc_lo
	v_add_co_u32 v71, vcc_lo, s14, v0
	v_add3_u32 v10, v10, v12, v13
	v_add_co_ci_u32_e64 v72, null, s15, v1, vcc_lo
	v_add_co_u32 v73, vcc_lo, s12, v7
	v_add_co_ci_u32_e64 v74, null, s13, v8, vcc_lo
	v_add_co_u32 v11, vcc_lo, v5, 22
	v_add_co_u32 v75, s2, s14, v7
	v_lshlrev_b64 v[0:1], 1, v[9:10]
	v_add_co_ci_u32_e64 v7, null, 0, v6, vcc_lo
	v_add_co_u32 v9, vcc_lo, v5, 21
	v_add_co_ci_u32_e64 v10, null, 0, v6, vcc_lo
	v_add_co_ci_u32_e64 v76, null, s15, v8, s2
	v_mul_lo_u32 v12, s11, v11
	v_mul_lo_u32 v13, s10, v7
	v_mad_u64_u32 v[7:8], null, s10, v11, 0
	v_mul_lo_u32 v11, s11, v9
	v_mul_lo_u32 v14, s10, v10
	v_mad_u64_u32 v[9:10], null, s10, v9, 0
	v_add_co_u32 v77, vcc_lo, s12, v0
	v_add_co_ci_u32_e64 v78, null, s13, v1, vcc_lo
	v_add_co_u32 v79, vcc_lo, s14, v0
	v_add_co_ci_u32_e64 v80, null, s15, v1, vcc_lo
	v_add3_u32 v10, v10, v14, v11
	v_add_co_u32 v11, vcc_lo, v5, 20
	v_add3_u32 v8, v8, v13, v12
	v_add_co_ci_u32_e64 v12, null, 0, v6, vcc_lo
	v_mul_lo_u32 v13, s11, v11
	;; [unrolled: 33-line block ×3, first 2 shown]
	v_lshlrev_b64 v[0:1], 1, v[7:8]
	v_lshlrev_b64 v[7:8], 1, v[9:10]
	v_mul_lo_u32 v12, s10, v12
	v_mad_u64_u32 v[9:10], null, s10, v11, 0
	v_add_co_u32 v93, vcc_lo, s12, v0
	v_add_co_ci_u32_e64 v94, null, s13, v1, vcc_lo
	v_add_co_u32 v95, vcc_lo, s14, v0
	v_add3_u32 v10, v10, v12, v13
	v_add_co_ci_u32_e64 v96, null, s15, v1, vcc_lo
	v_add_co_u32 v97, vcc_lo, s12, v7
	v_add_co_ci_u32_e64 v98, null, s13, v8, vcc_lo
	v_add_co_u32 v11, vcc_lo, v5, 16
	v_add_co_u32 v99, s2, s14, v7
	v_lshlrev_b64 v[0:1], 1, v[9:10]
	v_add_co_ci_u32_e64 v7, null, 0, v6, vcc_lo
	v_add_co_u32 v9, vcc_lo, v5, 15
	v_add_co_ci_u32_e64 v10, null, 0, v6, vcc_lo
	v_add_co_ci_u32_e64 v100, null, s15, v8, s2
	v_mul_lo_u32 v12, s11, v11
	v_mul_lo_u32 v13, s10, v7
	v_mad_u64_u32 v[7:8], null, s10, v11, 0
	v_mul_lo_u32 v11, s11, v9
	v_mul_lo_u32 v14, s10, v10
	v_mad_u64_u32 v[9:10], null, s10, v9, 0
	v_add_co_u32 v101, vcc_lo, s12, v0
	v_add_co_ci_u32_e64 v102, null, s13, v1, vcc_lo
	v_add3_u32 v8, v8, v13, v12
	v_add_co_u32 v103, vcc_lo, s14, v0
	v_add_co_ci_u32_e64 v104, null, s15, v1, vcc_lo
	v_add3_u32 v10, v10, v14, v11
	v_add_co_u32 v11, vcc_lo, v5, 14
	v_add_co_ci_u32_e64 v12, null, 0, v6, vcc_lo
	v_lshlrev_b64 v[0:1], 1, v[7:8]
	v_lshlrev_b64 v[7:8], 1, v[9:10]
	v_mul_lo_u32 v13, s11, v11
	v_mul_lo_u32 v12, s10, v12
	v_mad_u64_u32 v[9:10], null, s10, v11, 0
	v_add_co_u32 v105, vcc_lo, s12, v0
	v_add_co_ci_u32_e64 v106, null, s13, v1, vcc_lo
	v_add_co_u32 v107, vcc_lo, s14, v0
	v_add_co_ci_u32_e64 v108, null, s15, v1, vcc_lo
	;; [unrolled: 2-line block ×3, first 2 shown]
	v_add3_u32 v10, v10, v12, v13
	v_add_co_u32 v0, vcc_lo, v5, 13
	v_add_co_ci_u32_e64 v1, null, 0, v6, vcc_lo
	v_add_co_u32 v11, vcc_lo, v5, 12
	v_add_co_u32 v111, s2, s14, v7
	v_add_co_ci_u32_e64 v12, null, 0, v6, vcc_lo
	v_add_co_ci_u32_e64 v112, null, s15, v8, s2
	v_lshlrev_b64 v[7:8], 1, v[9:10]
	v_mul_lo_u32 v13, s11, v0
	v_mul_lo_u32 v14, s10, v1
	v_mad_u64_u32 v[9:10], null, s10, v0, 0
	v_mul_lo_u32 v15, s11, v11
	v_mul_lo_u32 v16, s10, v12
	v_mad_u64_u32 v[11:12], null, s10, v11, 0
	v_add_co_u32 v0, vcc_lo, s12, v7
	v_add_co_ci_u32_e64 v1, null, s13, v8, vcc_lo
	v_add_co_u32 v113, vcc_lo, s14, v7
	v_add3_u32 v10, v10, v14, v13
	v_add_co_ci_u32_e64 v114, null, s15, v8, vcc_lo
	v_add_co_u32 v13, vcc_lo, v5, 11
	v_add3_u32 v12, v12, v16, v15
	v_add_co_ci_u32_e64 v14, null, 0, v6, vcc_lo
	v_lshlrev_b64 v[7:8], 1, v[9:10]
	v_mul_lo_u32 v15, s11, v13
	v_lshlrev_b64 v[9:10], 1, v[11:12]
	v_mul_lo_u32 v14, s10, v14
	v_mad_u64_u32 v[11:12], null, s10, v13, 0
	v_add_co_u32 v115, vcc_lo, s12, v7
	v_add_co_ci_u32_e64 v116, null, s13, v8, vcc_lo
	v_add_co_u32 v117, vcc_lo, s14, v7
	v_add3_u32 v12, v12, v14, v15
	v_add_co_ci_u32_e64 v118, null, s15, v8, vcc_lo
	v_add_co_u32 v119, vcc_lo, s12, v9
	v_add_co_ci_u32_e64 v120, null, s13, v10, vcc_lo
	v_add_co_u32 v13, vcc_lo, v5, 10
	v_add_co_u32 v121, s2, s14, v9
	v_lshlrev_b64 v[7:8], 1, v[11:12]
	v_add_co_ci_u32_e64 v9, null, 0, v6, vcc_lo
	v_add_co_u32 v11, vcc_lo, v5, 9
	v_add_co_ci_u32_e64 v12, null, 0, v6, vcc_lo
	v_add_co_ci_u32_e64 v122, null, s15, v10, s2
	v_mul_lo_u32 v14, s11, v13
	v_mul_lo_u32 v15, s10, v9
	v_mad_u64_u32 v[9:10], null, s10, v13, 0
	v_mul_lo_u32 v13, s11, v11
	v_mul_lo_u32 v16, s10, v12
	v_mad_u64_u32 v[11:12], null, s10, v11, 0
	v_add_co_u32 v123, vcc_lo, s12, v7
	v_add_co_ci_u32_e64 v124, null, s13, v8, vcc_lo
	v_add_co_u32 v125, vcc_lo, s14, v7
	v_add3_u32 v10, v10, v15, v14
	v_add_co_ci_u32_e64 v126, null, s15, v8, vcc_lo
	v_add3_u32 v12, v12, v16, v13
	v_add_co_u32 v13, vcc_lo, v5, 8
	v_add_co_ci_u32_e64 v14, null, 0, v6, vcc_lo
	v_lshlrev_b64 v[7:8], 1, v[9:10]
	v_lshlrev_b64 v[9:10], 1, v[11:12]
	v_mul_lo_u32 v15, s11, v13
	v_mul_lo_u32 v14, s10, v14
	v_mad_u64_u32 v[11:12], null, s10, v13, 0
	v_add_co_u32 v127, vcc_lo, s12, v7
	v_add_co_ci_u32_e64 v128, null, s13, v8, vcc_lo
	v_add_co_u32 v129, vcc_lo, s14, v7
	v_add_co_ci_u32_e64 v130, null, s15, v8, vcc_lo
	v_add_co_u32 v131, vcc_lo, s12, v9
	v_add3_u32 v12, v12, v14, v15
	v_add_co_ci_u32_e64 v132, null, s13, v10, vcc_lo
	v_add_co_u32 v13, vcc_lo, v5, 7
	v_add_co_u32 v133, s2, s14, v9
	v_add_co_ci_u32_e64 v9, null, 0, v6, vcc_lo
	v_lshlrev_b64 v[7:8], 1, v[11:12]
	v_add_co_u32 v11, vcc_lo, v5, 6
	v_add_co_ci_u32_e64 v12, null, 0, v6, vcc_lo
	v_add_co_ci_u32_e64 v134, null, s15, v10, s2
	v_mul_lo_u32 v14, s11, v13
	v_mul_lo_u32 v15, s10, v9
	v_mad_u64_u32 v[9:10], null, s10, v13, 0
	v_mul_lo_u32 v13, s11, v11
	v_mul_lo_u32 v16, s10, v12
	v_mad_u64_u32 v[11:12], null, s10, v11, 0
	v_add_co_u32 v135, vcc_lo, s12, v7
	v_add3_u32 v10, v10, v15, v14
	v_add_co_ci_u32_e64 v136, null, s13, v8, vcc_lo
	v_add_co_u32 v137, vcc_lo, s14, v7
	v_add_co_ci_u32_e64 v138, null, s15, v8, vcc_lo
	v_add3_u32 v12, v12, v16, v13
	v_add_co_u32 v13, vcc_lo, v5, 5
	v_lshlrev_b64 v[7:8], 1, v[9:10]
	v_add_co_ci_u32_e64 v14, null, 0, v6, vcc_lo
	v_lshlrev_b64 v[9:10], 1, v[11:12]
	v_mul_lo_u32 v15, s11, v13
	v_mad_u64_u32 v[11:12], null, s10, v13, 0
	v_add_co_u32 v139, vcc_lo, s12, v7
	v_mul_lo_u32 v14, s10, v14
	v_add_co_ci_u32_e64 v140, null, s13, v8, vcc_lo
	v_add_co_u32 v141, vcc_lo, s14, v7
	v_add_co_ci_u32_e64 v142, null, s15, v8, vcc_lo
	v_add_co_u32 v143, vcc_lo, s12, v9
	v_add_co_ci_u32_e64 v144, null, s13, v10, vcc_lo
	v_add_co_u32 v13, vcc_lo, v5, 4
	v_add3_u32 v12, v12, v14, v15
	v_add_co_u32 v145, s2, s14, v9
	v_add_co_ci_u32_e64 v9, null, 0, v6, vcc_lo
	v_add_co_ci_u32_e64 v146, null, s15, v10, s2
	v_lshlrev_b64 v[7:8], 1, v[11:12]
	v_mul_lo_u32 v14, s11, v13
	v_add_co_u32 v11, vcc_lo, v5, 3
	v_mul_lo_u32 v15, s10, v9
	v_mad_u64_u32 v[9:10], null, s10, v13, 0
	v_add_co_ci_u32_e64 v12, null, 0, v6, vcc_lo
	v_mul_lo_u32 v13, s11, v11
	v_add_co_u32 v147, vcc_lo, s12, v7
	v_mul_lo_u32 v16, s10, v12
	v_mad_u64_u32 v[11:12], null, s10, v11, 0
	v_add3_u32 v10, v10, v15, v14
	v_add_co_ci_u32_e64 v148, null, s13, v8, vcc_lo
	v_add_co_u32 v149, vcc_lo, s14, v7
	v_add_co_ci_u32_e64 v150, null, s15, v8, vcc_lo
	v_lshlrev_b64 v[7:8], 1, v[9:10]
	v_add_co_u32 v9, vcc_lo, v5, 2
	v_add3_u32 v12, v12, v16, v13
	v_add_co_ci_u32_e64 v10, null, 0, v6, vcc_lo
	v_add_co_u32 v151, vcc_lo, s12, v7
	v_lshlrev_b64 v[5:6], 1, v[11:12]
	v_mul_lo_u32 v11, s11, v9
	v_mul_lo_u32 v12, s10, v10
	v_mad_u64_u32 v[9:10], null, s10, v9, 0
	v_add_co_ci_u32_e64 v152, null, s13, v8, vcc_lo
	v_add_co_u32 v153, vcc_lo, s14, v7
	v_add_co_ci_u32_e64 v154, null, s15, v8, vcc_lo
	v_add_co_u32 v155, vcc_lo, s12, v5
	v_add_co_ci_u32_e64 v156, null, s13, v6, vcc_lo
	v_add3_u32 v10, v10, v12, v11
	v_add_co_u32 v157, vcc_lo, s14, v5
	v_add_co_ci_u32_e64 v158, null, s15, v6, vcc_lo
	v_add_co_u32 v3, vcc_lo, v3, s10
	v_add_co_ci_u32_e64 v4, null, s11, v4, vcc_lo
	v_lshlrev_b64 v[5:6], 1, v[9:10]
	s_lshl_b64 s[2:3], s[22:23], 1
	s_mov_b64 s[22:23], 31
	v_lshlrev_b64 v[3:4], 1, v[3:4]
	v_add_co_u32 v159, vcc_lo, s12, v5
	v_add_co_ci_u32_e64 v160, null, s13, v6, vcc_lo
	v_add_co_u32 v161, vcc_lo, s14, v5
	v_add_co_ci_u32_e64 v162, null, s15, v6, vcc_lo
	;; [unrolled: 2-line block ×4, first 2 shown]
.LBB199_3:                              ; =>This Inner Loop Header: Depth=1
	s_add_u32 s28, s18, s22
	s_addc_u32 s29, 0, s23
	v_add_co_u32 v37, vcc_lo, s18, v39
	v_cmp_ge_i64_e64 s28, s[28:29], s[8:9]
	v_add_co_ci_u32_e64 v38, null, 0, v40, vcc_lo
                                        ; implicit-def: $vgpr3_vgpr4_vgpr5_vgpr6_vgpr7_vgpr8_vgpr9_vgpr10_vgpr11_vgpr12_vgpr13_vgpr14_vgpr15_vgpr16_vgpr17_vgpr18_vgpr19_vgpr20_vgpr21_vgpr22_vgpr23_vgpr24_vgpr25_vgpr26_vgpr27_vgpr28_vgpr29_vgpr30_vgpr31_vgpr32_vgpr33_vgpr34
                                        ; implicit-def: $vgpr202
                                        ; implicit-def: $vgpr194
                                        ; implicit-def: $vgpr3
	s_and_b32 vcc_lo, exec_lo, s28
	s_mov_b32 s28, -1
	s_cbranch_vccz .LBB199_71
; %bb.4:                                ;   in Loop: Header=BB199_3 Depth=1
	s_load_dword s28, s[20:21], 0xc
	v_mov_b32_e32 v169, 0
	v_mov_b32_e32 v168, 0
	s_waitcnt lgkmcnt(0)
	s_and_b32 s28, s28, 0xffff
	v_mad_u32_u24 v3, v223, s28, v224
	s_mov_b32 s28, exec_lo
	v_and_b32_e32 v3, 31, v3
	v_add_co_u32 v3, vcc_lo, v37, v3
	v_add_co_ci_u32_e64 v4, null, 0, v38, vcc_lo
	v_cmpx_gt_i64_e64 s[8:9], v[3:4]
	s_cbranch_execz .LBB199_6
; %bb.5:                                ;   in Loop: Header=BB199_3 Depth=1
	v_lshlrev_b64 v[3:4], 2, v[3:4]
	v_add_co_u32 v3, vcc_lo, s16, v3
	v_add_co_ci_u32_e64 v4, null, s17, v4, vcc_lo
	global_load_dword v168, v[3:4], off
.LBB199_6:                              ;   in Loop: Header=BB199_3 Depth=1
	s_or_b32 exec_lo, exec_lo, s28
	v_mov_b32_e32 v33, v2
	v_cmp_gt_i64_e32 vcc_lo, s[8:9], v[37:38]
	v_mov_b32_e32 v3, v2
	v_mov_b32_e32 v4, v2
	;; [unrolled: 1-line block ×62, first 2 shown]
	s_and_b32 s29, s1, vcc_lo
	s_and_saveexec_b32 s28, s29
	s_cbranch_execz .LBB199_8
; %bb.7:                                ;   in Loop: Header=BB199_3 Depth=1
	v_add_co_u32 v3, vcc_lo, v41, v35
	v_add_co_ci_u32_e64 v4, null, v42, v36, vcc_lo
	v_add_co_u32 v5, vcc_lo, v43, v35
	v_add_co_ci_u32_e64 v6, null, v44, v36, vcc_lo
	global_load_ushort v3, v[3:4], off
	global_load_ushort v169, v[5:6], off
	v_mov_b32_e32 v4, v2
	v_mov_b32_e32 v5, v2
	;; [unrolled: 1-line block ×31, first 2 shown]
	s_waitcnt vmcnt(1)
	v_lshlrev_b32_e32 v3, 16, v3
	s_waitcnt vmcnt(0)
	v_lshlrev_b32_e32 v169, 16, v169
.LBB199_8:                              ;   in Loop: Header=BB199_3 Depth=1
	s_or_b32 exec_lo, exec_lo, s28
	v_add_co_u32 v170, vcc_lo, v37, 1
	v_add_co_ci_u32_e64 v171, null, 0, v38, vcc_lo
	v_cmp_gt_i64_e32 vcc_lo, s[8:9], v[170:171]
	v_mov_b32_e32 v170, 0
	v_mov_b32_e32 v171, 0
	s_and_b32 s29, s1, vcc_lo
	s_and_saveexec_b32 s28, s29
	s_cbranch_execz .LBB199_10
; %bb.9:                                ;   in Loop: Header=BB199_3 Depth=1
	v_add_co_u32 v171, vcc_lo, v163, v35
	v_add_co_ci_u32_e64 v172, null, v164, v36, vcc_lo
	v_add_co_u32 v173, vcc_lo, v165, v35
	v_add_co_ci_u32_e64 v174, null, v166, v36, vcc_lo
	global_load_ushort v4, v[171:172], off
	global_load_ushort v171, v[173:174], off
	s_waitcnt vmcnt(1)
	v_lshlrev_b32_e32 v4, 16, v4
	s_waitcnt vmcnt(0)
	v_lshlrev_b32_e32 v171, 16, v171
.LBB199_10:                             ;   in Loop: Header=BB199_3 Depth=1
	s_or_b32 exec_lo, exec_lo, s28
	v_add_co_u32 v172, vcc_lo, v37, 2
	v_add_co_ci_u32_e64 v173, null, 0, v38, vcc_lo
	v_cmp_gt_i64_e32 vcc_lo, s[8:9], v[172:173]
	s_and_b32 s29, s1, vcc_lo
	s_and_saveexec_b32 s28, s29
	s_cbranch_execz .LBB199_12
; %bb.11:                               ;   in Loop: Header=BB199_3 Depth=1
	v_add_co_u32 v172, vcc_lo, v159, v35
	v_add_co_ci_u32_e64 v173, null, v160, v36, vcc_lo
	v_add_co_u32 v174, vcc_lo, v161, v35
	v_add_co_ci_u32_e64 v175, null, v162, v36, vcc_lo
	global_load_ushort v5, v[172:173], off
	global_load_ushort v170, v[174:175], off
	s_waitcnt vmcnt(1)
	v_lshlrev_b32_e32 v5, 16, v5
	s_waitcnt vmcnt(0)
	v_lshlrev_b32_e32 v170, 16, v170
.LBB199_12:                             ;   in Loop: Header=BB199_3 Depth=1
	s_or_b32 exec_lo, exec_lo, s28
	v_add_co_u32 v172, vcc_lo, v37, 3
	v_add_co_ci_u32_e64 v173, null, 0, v38, vcc_lo
	v_cmp_gt_i64_e32 vcc_lo, s[8:9], v[172:173]
	v_mov_b32_e32 v172, 0
	v_mov_b32_e32 v173, 0
	s_and_b32 s29, s1, vcc_lo
	s_and_saveexec_b32 s28, s29
	s_cbranch_execz .LBB199_14
; %bb.13:                               ;   in Loop: Header=BB199_3 Depth=1
	v_add_co_u32 v173, vcc_lo, v155, v35
	v_add_co_ci_u32_e64 v174, null, v156, v36, vcc_lo
	v_add_co_u32 v175, vcc_lo, v157, v35
	v_add_co_ci_u32_e64 v176, null, v158, v36, vcc_lo
	global_load_ushort v6, v[173:174], off
	global_load_ushort v173, v[175:176], off
	s_waitcnt vmcnt(1)
	v_lshlrev_b32_e32 v6, 16, v6
	s_waitcnt vmcnt(0)
	v_lshlrev_b32_e32 v173, 16, v173
.LBB199_14:                             ;   in Loop: Header=BB199_3 Depth=1
	s_or_b32 exec_lo, exec_lo, s28
	v_add_co_u32 v174, vcc_lo, v37, 4
	v_add_co_ci_u32_e64 v175, null, 0, v38, vcc_lo
	v_cmp_gt_i64_e32 vcc_lo, s[8:9], v[174:175]
	s_and_b32 s29, s1, vcc_lo
	s_and_saveexec_b32 s28, s29
	s_cbranch_execz .LBB199_16
; %bb.15:                               ;   in Loop: Header=BB199_3 Depth=1
	v_add_co_u32 v174, vcc_lo, v151, v35
	v_add_co_ci_u32_e64 v175, null, v152, v36, vcc_lo
	v_add_co_u32 v176, vcc_lo, v153, v35
	v_add_co_ci_u32_e64 v177, null, v154, v36, vcc_lo
	global_load_ushort v7, v[174:175], off
	global_load_ushort v172, v[176:177], off
	s_waitcnt vmcnt(1)
	v_lshlrev_b32_e32 v7, 16, v7
	s_waitcnt vmcnt(0)
	v_lshlrev_b32_e32 v172, 16, v172
.LBB199_16:                             ;   in Loop: Header=BB199_3 Depth=1
	s_or_b32 exec_lo, exec_lo, s28
	v_add_co_u32 v174, vcc_lo, v37, 5
	v_add_co_ci_u32_e64 v175, null, 0, v38, vcc_lo
	v_cmp_gt_i64_e32 vcc_lo, s[8:9], v[174:175]
	v_mov_b32_e32 v174, 0
	v_mov_b32_e32 v175, 0
	s_and_b32 s29, s1, vcc_lo
	s_and_saveexec_b32 s28, s29
	s_cbranch_execz .LBB199_18
; %bb.17:                               ;   in Loop: Header=BB199_3 Depth=1
	v_add_co_u32 v175, vcc_lo, v147, v35
	v_add_co_ci_u32_e64 v176, null, v148, v36, vcc_lo
	v_add_co_u32 v177, vcc_lo, v149, v35
	v_add_co_ci_u32_e64 v178, null, v150, v36, vcc_lo
	global_load_ushort v8, v[175:176], off
	global_load_ushort v175, v[177:178], off
	s_waitcnt vmcnt(1)
	v_lshlrev_b32_e32 v8, 16, v8
	s_waitcnt vmcnt(0)
	v_lshlrev_b32_e32 v175, 16, v175
.LBB199_18:                             ;   in Loop: Header=BB199_3 Depth=1
	;; [unrolled: 40-line block ×11, first 2 shown]
	s_or_b32 exec_lo, exec_lo, s28
	v_add_co_u32 v194, vcc_lo, v37, 24
	v_add_co_ci_u32_e64 v195, null, 0, v38, vcc_lo
	v_cmp_gt_i64_e32 vcc_lo, s[8:9], v[194:195]
	s_and_b32 s29, s1, vcc_lo
	s_and_saveexec_b32 s28, s29
	s_cbranch_execz .LBB199_56
; %bb.55:                               ;   in Loop: Header=BB199_3 Depth=1
	v_add_co_u32 v194, vcc_lo, v73, v35
	v_add_co_ci_u32_e64 v195, null, v74, v36, vcc_lo
	v_add_co_u32 v196, vcc_lo, v75, v35
	v_add_co_ci_u32_e64 v197, null, v76, v36, vcc_lo
	global_load_ushort v27, v[194:195], off
	global_load_ushort v192, v[196:197], off
	s_waitcnt vmcnt(1)
	v_lshlrev_b32_e32 v27, 16, v27
	s_waitcnt vmcnt(0)
	v_lshlrev_b32_e32 v192, 16, v192
.LBB199_56:                             ;   in Loop: Header=BB199_3 Depth=1
	s_or_b32 exec_lo, exec_lo, s28
	v_add_co_u32 v194, vcc_lo, v37, 25
	v_add_co_ci_u32_e64 v195, null, 0, v38, vcc_lo
	v_mov_b32_e32 v196, 0
	v_cmp_gt_i64_e32 vcc_lo, s[8:9], v[194:195]
	v_mov_b32_e32 v195, 0
	s_and_b32 s29, s1, vcc_lo
	s_and_saveexec_b32 s28, s29
	s_cbranch_execz .LBB199_58
; %bb.57:                               ;   in Loop: Header=BB199_3 Depth=1
	v_add_co_u32 v196, vcc_lo, v69, v35
	v_add_co_ci_u32_e64 v197, null, v70, v36, vcc_lo
	v_add_co_u32 v198, vcc_lo, v71, v35
	v_add_co_ci_u32_e64 v199, null, v72, v36, vcc_lo
	global_load_ushort v28, v[196:197], off
	global_load_ushort v194, v[198:199], off
	s_waitcnt vmcnt(1)
	v_lshlrev_b32_e32 v28, 16, v28
	s_waitcnt vmcnt(0)
	v_lshlrev_b32_e32 v196, 16, v194
.LBB199_58:                             ;   in Loop: Header=BB199_3 Depth=1
	s_or_b32 exec_lo, exec_lo, s28
	v_add_co_u32 v197, vcc_lo, v37, 26
	v_add_co_ci_u32_e64 v198, null, 0, v38, vcc_lo
	v_cmp_gt_i64_e32 vcc_lo, s[8:9], v[197:198]
	s_and_b32 s29, s1, vcc_lo
	s_and_saveexec_b32 s28, s29
	s_cbranch_execz .LBB199_60
; %bb.59:                               ;   in Loop: Header=BB199_3 Depth=1
	v_add_co_u32 v194, vcc_lo, v65, v35
	v_add_co_ci_u32_e64 v195, null, v66, v36, vcc_lo
	v_add_co_u32 v197, vcc_lo, v67, v35
	v_add_co_ci_u32_e64 v198, null, v68, v36, vcc_lo
	global_load_ushort v29, v[194:195], off
	global_load_ushort v194, v[197:198], off
	s_waitcnt vmcnt(1)
	v_lshlrev_b32_e32 v29, 16, v29
	s_waitcnt vmcnt(0)
	v_lshlrev_b32_e32 v195, 16, v194
.LBB199_60:                             ;   in Loop: Header=BB199_3 Depth=1
	s_or_b32 exec_lo, exec_lo, s28
	v_add_co_u32 v197, vcc_lo, v37, 27
	v_add_co_ci_u32_e64 v198, null, 0, v38, vcc_lo
	v_cmp_gt_i64_e32 vcc_lo, s[8:9], v[197:198]
	v_mov_b32_e32 v197, 0
	v_mov_b32_e32 v198, 0
	s_and_b32 s29, s1, vcc_lo
	s_and_saveexec_b32 s28, s29
	s_cbranch_execz .LBB199_62
; %bb.61:                               ;   in Loop: Header=BB199_3 Depth=1
	v_add_co_u32 v198, vcc_lo, v61, v35
	v_add_co_ci_u32_e64 v199, null, v62, v36, vcc_lo
	v_add_co_u32 v200, vcc_lo, v63, v35
	v_add_co_ci_u32_e64 v201, null, v64, v36, vcc_lo
	global_load_ushort v30, v[198:199], off
	global_load_ushort v194, v[200:201], off
	s_waitcnt vmcnt(1)
	v_lshlrev_b32_e32 v30, 16, v30
	s_waitcnt vmcnt(0)
	v_lshlrev_b32_e32 v198, 16, v194
.LBB199_62:                             ;   in Loop: Header=BB199_3 Depth=1
	s_or_b32 exec_lo, exec_lo, s28
	v_add_co_u32 v199, vcc_lo, v37, 28
	v_add_co_ci_u32_e64 v200, null, 0, v38, vcc_lo
	v_cmp_gt_i64_e32 vcc_lo, s[8:9], v[199:200]
	s_and_b32 s29, s1, vcc_lo
	s_and_saveexec_b32 s28, s29
	s_cbranch_execz .LBB199_64
; %bb.63:                               ;   in Loop: Header=BB199_3 Depth=1
	v_add_co_u32 v199, vcc_lo, v57, v35
	v_add_co_ci_u32_e64 v200, null, v58, v36, vcc_lo
	v_add_co_u32 v201, vcc_lo, v59, v35
	v_add_co_ci_u32_e64 v202, null, v60, v36, vcc_lo
	global_load_ushort v31, v[199:200], off
	global_load_ushort v194, v[201:202], off
	s_waitcnt vmcnt(1)
	v_lshlrev_b32_e32 v31, 16, v31
	s_waitcnt vmcnt(0)
	v_lshlrev_b32_e32 v197, 16, v194
.LBB199_64:                             ;   in Loop: Header=BB199_3 Depth=1
	s_or_b32 exec_lo, exec_lo, s28
	v_add_co_u32 v199, vcc_lo, v37, 29
	v_add_co_ci_u32_e64 v200, null, 0, v38, vcc_lo
	v_cmp_gt_i64_e32 vcc_lo, s[8:9], v[199:200]
	v_mov_b32_e32 v199, 0
	v_mov_b32_e32 v200, 0
	s_and_b32 s29, s1, vcc_lo
	s_and_saveexec_b32 s28, s29
	s_cbranch_execz .LBB199_66
; %bb.65:                               ;   in Loop: Header=BB199_3 Depth=1
	v_add_co_u32 v200, vcc_lo, v53, v35
	v_add_co_ci_u32_e64 v201, null, v54, v36, vcc_lo
	v_add_co_u32 v202, vcc_lo, v55, v35
	v_add_co_ci_u32_e64 v203, null, v56, v36, vcc_lo
	global_load_ushort v32, v[200:201], off
	global_load_ushort v194, v[202:203], off
	s_waitcnt vmcnt(1)
	v_lshlrev_b32_e32 v32, 16, v32
	s_waitcnt vmcnt(0)
	v_lshlrev_b32_e32 v200, 16, v194
.LBB199_66:                             ;   in Loop: Header=BB199_3 Depth=1
	s_or_b32 exec_lo, exec_lo, s28
	v_add_co_u32 v201, vcc_lo, v37, 30
	v_add_co_ci_u32_e64 v202, null, 0, v38, vcc_lo
	v_cmp_gt_i64_e32 vcc_lo, s[8:9], v[201:202]
	s_and_b32 s29, s1, vcc_lo
	s_and_saveexec_b32 s28, s29
	s_cbranch_execz .LBB199_68
; %bb.67:                               ;   in Loop: Header=BB199_3 Depth=1
	v_add_co_u32 v201, vcc_lo, v49, v35
	v_add_co_ci_u32_e64 v202, null, v50, v36, vcc_lo
	v_add_co_u32 v203, vcc_lo, v51, v35
	v_add_co_ci_u32_e64 v204, null, v52, v36, vcc_lo
	global_load_ushort v33, v[201:202], off
	global_load_ushort v194, v[203:204], off
	s_waitcnt vmcnt(1)
	v_lshlrev_b32_e32 v33, 16, v33
	s_waitcnt vmcnt(0)
	v_lshlrev_b32_e32 v199, 16, v194
.LBB199_68:                             ;   in Loop: Header=BB199_3 Depth=1
	s_or_b32 exec_lo, exec_lo, s28
	v_add_co_u32 v201, vcc_lo, v37, 31
	v_add_co_ci_u32_e64 v202, null, 0, v38, vcc_lo
	v_mov_b32_e32 v194, 0
	v_cmp_gt_i64_e32 vcc_lo, s[8:9], v[201:202]
	s_and_b32 s29, s1, vcc_lo
	s_and_saveexec_b32 s28, s29
	s_cbranch_execz .LBB199_70
; %bb.69:                               ;   in Loop: Header=BB199_3 Depth=1
	v_add_co_u32 v201, vcc_lo, v45, v35
	v_add_co_ci_u32_e64 v202, null, v46, v36, vcc_lo
	v_add_co_u32 v203, vcc_lo, v47, v35
	v_add_co_ci_u32_e64 v204, null, v48, v36, vcc_lo
	global_load_ushort v34, v[201:202], off
	global_load_ushort v194, v[203:204], off
	s_waitcnt vmcnt(1)
	v_lshlrev_b32_e32 v34, 16, v34
	s_waitcnt vmcnt(0)
	v_lshlrev_b32_e32 v194, 16, v194
.LBB199_70:                             ;   in Loop: Header=BB199_3 Depth=1
	s_or_b32 exec_lo, exec_lo, s28
	s_waitcnt vmcnt(0)
	ds_bpermute_b32 v201, v2, v168
	ds_bpermute_b32 v203, v2, v168 offset:4
	ds_bpermute_b32 v204, v2, v168 offset:8
	v_mul_f32_e32 v3, v169, v3
	ds_bpermute_b32 v169, v2, v168 offset:12
	v_mul_f32_e32 v4, v171, v4
	ds_bpermute_b32 v171, v2, v168 offset:16
	s_mov_b32 s28, 0
	s_waitcnt lgkmcnt(4)
	v_fma_f32 v202, v3, v201, v167
	v_mul_f32_e32 v3, v170, v5
	ds_bpermute_b32 v5, v2, v168 offset:20
	s_waitcnt lgkmcnt(4)
	v_fmac_f32_e32 v202, v4, v203
	v_mul_f32_e32 v4, v173, v6
	ds_bpermute_b32 v6, v2, v168 offset:24
	s_waitcnt lgkmcnt(4)
	v_fmac_f32_e32 v202, v3, v204
	;; [unrolled: 4-line block ×27, first 2 shown]
	v_mul_f32_e32 v4, v200, v32
	s_waitcnt lgkmcnt(3)
	v_fmac_f32_e32 v202, v6, v8
	s_waitcnt lgkmcnt(2)
	v_fmac_f32_e32 v202, v4, v9
	v_mul_f32_e32 v4, v199, v33
	s_waitcnt lgkmcnt(1)
	v_fmac_f32_e32 v202, v4, v5
.LBB199_71:                             ;   in Loop: Header=BB199_3 Depth=1
	s_and_b32 vcc_lo, exec_lo, s28
	s_cbranch_vccz .LBB199_137
; %bb.72:                               ;   in Loop: Header=BB199_3 Depth=1
	s_load_dword s28, s[20:21], 0x0
	s_waitcnt lgkmcnt(0)
	s_cmp_lt_u32 s6, s28
	s_cselect_b32 s28, 12, 18
	s_add_u32 s28, s20, s28
	s_addc_u32 s29, s21, 0
	global_load_ushort v3, v2, s[28:29]
	s_mov_b32 s28, exec_lo
	s_waitcnt vmcnt(0)
	v_mad_u32_u24 v3, v223, v3, v224
	v_and_b32_e32 v3, 31, v3
	v_add_co_u32 v3, vcc_lo, v37, v3
	v_add_co_ci_u32_e64 v4, null, 0, v38, vcc_lo
	v_mov_b32_e32 v38, 0
	v_mov_b32_e32 v37, 0
	v_cmpx_gt_i64_e64 s[8:9], v[3:4]
	s_cbranch_execz .LBB199_74
; %bb.73:                               ;   in Loop: Header=BB199_3 Depth=1
	v_lshlrev_b64 v[3:4], 2, v[3:4]
	v_add_co_u32 v3, vcc_lo, s16, v3
	v_add_co_ci_u32_e64 v4, null, s17, v4, vcc_lo
	global_load_dword v37, v[3:4], off
.LBB199_74:                             ;   in Loop: Header=BB199_3 Depth=1
	s_or_b32 exec_lo, exec_lo, s28
	v_mov_b32_e32 v33, v2
	v_mov_b32_e32 v3, v2
	;; [unrolled: 1-line block ×63, first 2 shown]
	s_and_saveexec_b32 s28, s1
	s_cbranch_execz .LBB199_76
; %bb.75:                               ;   in Loop: Header=BB199_3 Depth=1
	v_add_co_u32 v3, vcc_lo, v41, v35
	v_add_co_ci_u32_e64 v4, null, v42, v36, vcc_lo
	v_add_co_u32 v5, vcc_lo, v43, v35
	v_add_co_ci_u32_e64 v6, null, v44, v36, vcc_lo
	global_load_ushort v3, v[3:4], off
	global_load_ushort v38, v[5:6], off
	v_mov_b32_e32 v4, v2
	v_mov_b32_e32 v5, v2
	;; [unrolled: 1-line block ×31, first 2 shown]
	s_waitcnt vmcnt(1)
	v_lshlrev_b32_e32 v3, 16, v3
	s_waitcnt vmcnt(0)
	v_lshlrev_b32_e32 v38, 16, v38
.LBB199_76:                             ;   in Loop: Header=BB199_3 Depth=1
	s_or_b32 exec_lo, exec_lo, s28
	v_mov_b32_e32 v168, 0
	v_mov_b32_e32 v169, 0
	s_and_saveexec_b32 s28, s1
	s_cbranch_execz .LBB199_78
; %bb.77:                               ;   in Loop: Header=BB199_3 Depth=1
	v_add_co_u32 v169, vcc_lo, v163, v35
	v_add_co_ci_u32_e64 v170, null, v164, v36, vcc_lo
	v_add_co_u32 v171, vcc_lo, v165, v35
	v_add_co_ci_u32_e64 v172, null, v166, v36, vcc_lo
	global_load_ushort v4, v[169:170], off
	global_load_ushort v169, v[171:172], off
	s_waitcnt vmcnt(1)
	v_lshlrev_b32_e32 v4, 16, v4
	s_waitcnt vmcnt(0)
	v_lshlrev_b32_e32 v169, 16, v169
.LBB199_78:                             ;   in Loop: Header=BB199_3 Depth=1
	s_or_b32 exec_lo, exec_lo, s28
	s_and_saveexec_b32 s28, s1
	s_cbranch_execz .LBB199_80
; %bb.79:                               ;   in Loop: Header=BB199_3 Depth=1
	v_add_co_u32 v170, vcc_lo, v159, v35
	v_add_co_ci_u32_e64 v171, null, v160, v36, vcc_lo
	v_add_co_u32 v172, vcc_lo, v161, v35
	v_add_co_ci_u32_e64 v173, null, v162, v36, vcc_lo
	global_load_ushort v5, v[170:171], off
	global_load_ushort v168, v[172:173], off
	s_waitcnt vmcnt(1)
	v_lshlrev_b32_e32 v5, 16, v5
	s_waitcnt vmcnt(0)
	v_lshlrev_b32_e32 v168, 16, v168
.LBB199_80:                             ;   in Loop: Header=BB199_3 Depth=1
	s_or_b32 exec_lo, exec_lo, s28
	v_mov_b32_e32 v170, 0
	v_mov_b32_e32 v171, 0
	s_and_saveexec_b32 s28, s1
	s_cbranch_execz .LBB199_82
; %bb.81:                               ;   in Loop: Header=BB199_3 Depth=1
	v_add_co_u32 v171, vcc_lo, v155, v35
	v_add_co_ci_u32_e64 v172, null, v156, v36, vcc_lo
	v_add_co_u32 v173, vcc_lo, v157, v35
	v_add_co_ci_u32_e64 v174, null, v158, v36, vcc_lo
	global_load_ushort v6, v[171:172], off
	global_load_ushort v171, v[173:174], off
	s_waitcnt vmcnt(1)
	v_lshlrev_b32_e32 v6, 16, v6
	s_waitcnt vmcnt(0)
	v_lshlrev_b32_e32 v171, 16, v171
.LBB199_82:                             ;   in Loop: Header=BB199_3 Depth=1
	s_or_b32 exec_lo, exec_lo, s28
	s_and_saveexec_b32 s28, s1
	s_cbranch_execz .LBB199_84
; %bb.83:                               ;   in Loop: Header=BB199_3 Depth=1
	v_add_co_u32 v172, vcc_lo, v151, v35
	v_add_co_ci_u32_e64 v173, null, v152, v36, vcc_lo
	v_add_co_u32 v174, vcc_lo, v153, v35
	v_add_co_ci_u32_e64 v175, null, v154, v36, vcc_lo
	global_load_ushort v7, v[172:173], off
	global_load_ushort v170, v[174:175], off
	s_waitcnt vmcnt(1)
	v_lshlrev_b32_e32 v7, 16, v7
	s_waitcnt vmcnt(0)
	v_lshlrev_b32_e32 v170, 16, v170
.LBB199_84:                             ;   in Loop: Header=BB199_3 Depth=1
	;; [unrolled: 32-line block ×5, first 2 shown]
	s_or_b32 exec_lo, exec_lo, s28
	v_mov_b32_e32 v178, 0
	v_mov_b32_e32 v179, 0
	s_and_saveexec_b32 s28, s1
	s_cbranch_execz .LBB199_98
; %bb.97:                               ;   in Loop: Header=BB199_3 Depth=1
	v_add_co_u32 v179, vcc_lo, v123, v35
	v_add_co_ci_u32_e64 v180, null, v124, v36, vcc_lo
	v_add_co_u32 v181, vcc_lo, v125, v35
	v_add_co_ci_u32_e64 v182, null, v126, v36, vcc_lo
	global_load_ushort v14, v[179:180], off
	global_load_ushort v179, v[181:182], off
	s_waitcnt vmcnt(1)
	v_lshlrev_b32_e32 v14, 16, v14
	s_waitcnt vmcnt(0)
	v_lshlrev_b32_e32 v179, 16, v179
.LBB199_98:                             ;   in Loop: Header=BB199_3 Depth=1
	s_or_b32 exec_lo, exec_lo, s28
	s_and_saveexec_b32 s28, s1
	s_cbranch_execz .LBB199_100
; %bb.99:                               ;   in Loop: Header=BB199_3 Depth=1
	v_add_co_u32 v180, vcc_lo, v119, v35
	v_add_co_ci_u32_e64 v181, null, v120, v36, vcc_lo
	v_add_co_u32 v182, vcc_lo, v121, v35
	v_add_co_ci_u32_e64 v183, null, v122, v36, vcc_lo
	global_load_ushort v15, v[180:181], off
	global_load_ushort v178, v[182:183], off
	s_waitcnt vmcnt(1)
	v_lshlrev_b32_e32 v15, 16, v15
	s_waitcnt vmcnt(0)
	v_lshlrev_b32_e32 v178, 16, v178
.LBB199_100:                            ;   in Loop: Header=BB199_3 Depth=1
	s_or_b32 exec_lo, exec_lo, s28
	v_mov_b32_e32 v180, 0
	v_mov_b32_e32 v181, 0
	s_and_saveexec_b32 s28, s1
	s_cbranch_execz .LBB199_102
; %bb.101:                              ;   in Loop: Header=BB199_3 Depth=1
	v_add_co_u32 v181, vcc_lo, v115, v35
	v_add_co_ci_u32_e64 v182, null, v116, v36, vcc_lo
	v_add_co_u32 v183, vcc_lo, v117, v35
	v_add_co_ci_u32_e64 v184, null, v118, v36, vcc_lo
	global_load_ushort v16, v[181:182], off
	global_load_ushort v181, v[183:184], off
	s_waitcnt vmcnt(1)
	v_lshlrev_b32_e32 v16, 16, v16
	s_waitcnt vmcnt(0)
	v_lshlrev_b32_e32 v181, 16, v181
.LBB199_102:                            ;   in Loop: Header=BB199_3 Depth=1
	s_or_b32 exec_lo, exec_lo, s28
	s_and_saveexec_b32 s28, s1
	s_cbranch_execz .LBB199_104
; %bb.103:                              ;   in Loop: Header=BB199_3 Depth=1
	v_add_co_u32 v182, vcc_lo, v0, v35
	v_add_co_ci_u32_e64 v183, null, v1, v36, vcc_lo
	v_add_co_u32 v184, vcc_lo, v113, v35
	v_add_co_ci_u32_e64 v185, null, v114, v36, vcc_lo
	global_load_ushort v17, v[182:183], off
	global_load_ushort v180, v[184:185], off
	s_waitcnt vmcnt(1)
	v_lshlrev_b32_e32 v17, 16, v17
	s_waitcnt vmcnt(0)
	v_lshlrev_b32_e32 v180, 16, v180
.LBB199_104:                            ;   in Loop: Header=BB199_3 Depth=1
	s_or_b32 exec_lo, exec_lo, s28
	v_mov_b32_e32 v182, 0
	v_mov_b32_e32 v183, 0
	s_and_saveexec_b32 s28, s1
	s_cbranch_execz .LBB199_106
; %bb.105:                              ;   in Loop: Header=BB199_3 Depth=1
	v_add_co_u32 v183, vcc_lo, v109, v35
	v_add_co_ci_u32_e64 v184, null, v110, v36, vcc_lo
	v_add_co_u32 v185, vcc_lo, v111, v35
	v_add_co_ci_u32_e64 v186, null, v112, v36, vcc_lo
	global_load_ushort v18, v[183:184], off
	global_load_ushort v183, v[185:186], off
	s_waitcnt vmcnt(1)
	v_lshlrev_b32_e32 v18, 16, v18
	s_waitcnt vmcnt(0)
	v_lshlrev_b32_e32 v183, 16, v183
.LBB199_106:                            ;   in Loop: Header=BB199_3 Depth=1
	s_or_b32 exec_lo, exec_lo, s28
	s_and_saveexec_b32 s28, s1
	s_cbranch_execz .LBB199_108
; %bb.107:                              ;   in Loop: Header=BB199_3 Depth=1
	v_add_co_u32 v184, vcc_lo, v105, v35
	v_add_co_ci_u32_e64 v185, null, v106, v36, vcc_lo
	v_add_co_u32 v186, vcc_lo, v107, v35
	v_add_co_ci_u32_e64 v187, null, v108, v36, vcc_lo
	global_load_ushort v19, v[184:185], off
	global_load_ushort v182, v[186:187], off
	s_waitcnt vmcnt(1)
	v_lshlrev_b32_e32 v19, 16, v19
	s_waitcnt vmcnt(0)
	v_lshlrev_b32_e32 v182, 16, v182
.LBB199_108:                            ;   in Loop: Header=BB199_3 Depth=1
	;; [unrolled: 32-line block ×8, first 2 shown]
	s_or_b32 exec_lo, exec_lo, s28
	v_mov_b32_e32 v197, 0
	v_mov_b32_e32 v198, 0
	s_and_saveexec_b32 s28, s1
	s_cbranch_execnz .LBB199_139
; %bb.133:                              ;   in Loop: Header=BB199_3 Depth=1
	s_or_b32 exec_lo, exec_lo, s28
	s_and_saveexec_b32 s28, s1
	s_cbranch_execnz .LBB199_140
.LBB199_134:                            ;   in Loop: Header=BB199_3 Depth=1
	s_or_b32 exec_lo, exec_lo, s28
	v_mov_b32_e32 v194, 0
	s_and_saveexec_b32 s28, s1
	s_cbranch_execz .LBB199_136
.LBB199_135:                            ;   in Loop: Header=BB199_3 Depth=1
	v_add_co_u32 v199, vcc_lo, v45, v35
	v_add_co_ci_u32_e64 v200, null, v46, v36, vcc_lo
	v_add_co_u32 v201, vcc_lo, v47, v35
	v_add_co_ci_u32_e64 v202, null, v48, v36, vcc_lo
	global_load_ushort v34, v[199:200], off
	global_load_ushort v194, v[201:202], off
	s_waitcnt vmcnt(1)
	v_lshlrev_b32_e32 v34, 16, v34
	s_waitcnt vmcnt(0)
	v_lshlrev_b32_e32 v194, 16, v194
.LBB199_136:                            ;   in Loop: Header=BB199_3 Depth=1
	s_or_b32 exec_lo, exec_lo, s28
	s_waitcnt vmcnt(0)
	ds_bpermute_b32 v199, v2, v37
	ds_bpermute_b32 v200, v2, v37 offset:4
	ds_bpermute_b32 v201, v2, v37 offset:8
	v_mul_f32_e32 v3, v38, v3
	ds_bpermute_b32 v38, v2, v37 offset:12
	v_mul_f32_e32 v4, v169, v4
	ds_bpermute_b32 v169, v2, v37 offset:16
	s_waitcnt lgkmcnt(4)
	v_fmac_f32_e32 v167, v3, v199
	v_mul_f32_e32 v3, v168, v5
	ds_bpermute_b32 v5, v2, v37 offset:20
	s_waitcnt lgkmcnt(4)
	v_fmac_f32_e32 v167, v4, v200
	;; [unrolled: 4-line block ×27, first 2 shown]
	v_mul_f32_e32 v3, v195, v31
	s_waitcnt lgkmcnt(3)
	v_fmac_f32_e32 v167, v4, v7
	v_mul_f32_e32 v4, v198, v32
	s_waitcnt lgkmcnt(2)
	v_fmac_f32_e32 v167, v3, v8
	ds_bpermute_b32 v3, v2, v37 offset:124
	s_waitcnt lgkmcnt(2)
	v_fmac_f32_e32 v167, v4, v9
	v_mul_f32_e32 v4, v197, v33
	s_waitcnt lgkmcnt(1)
	v_fmac_f32_e32 v167, v4, v5
	v_mov_b32_e32 v202, v167
.LBB199_137:                            ;   in Loop: Header=BB199_3 Depth=1
	v_add_co_u32 v41, vcc_lo, v41, s2
	v_add_co_ci_u32_e64 v42, null, s3, v42, vcc_lo
	v_add_co_u32 v43, vcc_lo, v43, s2
	v_add_co_ci_u32_e64 v44, null, s3, v44, vcc_lo
	;; [unrolled: 2-line block ×61, first 2 shown]
	v_add_co_u32 v161, vcc_lo, v161, s2
	s_add_u32 s24, s24, s27
	v_add_co_ci_u32_e64 v162, null, s3, v162, vcc_lo
	v_add_co_u32 v163, vcc_lo, v163, s2
	v_mul_f32_e32 v4, v194, v34
	s_addc_u32 s25, s25, 0
	v_add_co_ci_u32_e64 v164, null, s3, v164, vcc_lo
	v_add_co_u32 v165, vcc_lo, v165, s2
	v_cmp_lt_i64_e64 s28, s[24:25], s[8:9]
	v_add_co_ci_u32_e64 v166, null, s3, v166, vcc_lo
	v_add_co_u32 v39, vcc_lo, v39, s27
	s_waitcnt lgkmcnt(0)
	v_fmac_f32_e32 v202, v4, v3
	v_add_co_ci_u32_e64 v40, null, 0, v40, vcc_lo
	s_add_u32 s22, s22, s27
	s_addc_u32 s23, 0, s23
	s_and_b32 vcc_lo, exec_lo, s28
	s_cbranch_vccz .LBB199_142
; %bb.138:                              ;   in Loop: Header=BB199_3 Depth=1
	v_mov_b32_e32 v167, v202
	s_branch .LBB199_3
.LBB199_139:                            ;   in Loop: Header=BB199_3 Depth=1
	v_add_co_u32 v198, vcc_lo, v53, v35
	v_add_co_ci_u32_e64 v199, null, v54, v36, vcc_lo
	v_add_co_u32 v200, vcc_lo, v55, v35
	v_add_co_ci_u32_e64 v201, null, v56, v36, vcc_lo
	global_load_ushort v32, v[198:199], off
	global_load_ushort v194, v[200:201], off
	s_waitcnt vmcnt(1)
	v_lshlrev_b32_e32 v32, 16, v32
	s_waitcnt vmcnt(0)
	v_lshlrev_b32_e32 v198, 16, v194
	s_or_b32 exec_lo, exec_lo, s28
	s_and_saveexec_b32 s28, s1
	s_cbranch_execz .LBB199_134
.LBB199_140:                            ;   in Loop: Header=BB199_3 Depth=1
	v_add_co_u32 v199, vcc_lo, v49, v35
	v_add_co_ci_u32_e64 v200, null, v50, v36, vcc_lo
	v_add_co_u32 v201, vcc_lo, v51, v35
	v_add_co_ci_u32_e64 v202, null, v52, v36, vcc_lo
	global_load_ushort v33, v[199:200], off
	global_load_ushort v194, v[201:202], off
	s_waitcnt vmcnt(1)
	v_lshlrev_b32_e32 v33, 16, v33
	s_waitcnt vmcnt(0)
	v_lshlrev_b32_e32 v197, 16, v194
	s_or_b32 exec_lo, exec_lo, s28
	v_mov_b32_e32 v194, 0
	s_and_saveexec_b32 s28, s1
	s_cbranch_execnz .LBB199_135
	s_branch .LBB199_136
.LBB199_141:
                                        ; implicit-def: $vgpr202
	s_load_dwordx2 s[2:3], s[4:5], 0x30
	s_branch .LBB199_143
.LBB199_142:
	s_load_dwordx2 s[2:3], s[4:5], 0x30
	s_cbranch_execnz .LBB199_219
.LBB199_143:
	v_mov_b32_e32 v202, 0
	s_andn2_b32 vcc_lo, exec_lo, s26
	s_cbranch_vccnz .LBB199_219
; %bb.144:
	v_lshlrev_b32_e32 v192, 5, v223
	v_lshlrev_b32_e32 v2, 6, v223
	s_add_u32 s20, s4, 64
	s_addc_u32 s21, s5, 0
	s_lshl_b64 s[22:23], s[18:19], 1
	v_add_co_u32 v0, s1, v192, s18
	v_add_co_ci_u32_e64 v1, null, 0, 0, s1
	v_add_co_u32 v4, s1, v2, s22
	v_add_co_ci_u32_e64 v5, null, 0, s23, s1
	v_mul_lo_u32 v6, s11, v0
	v_add_co_u32 v8, vcc_lo, v4, 2
	v_mul_lo_u32 v7, s10, v1
	v_add_co_ci_u32_e64 v9, null, 0, v5, vcc_lo
	v_mad_u64_u32 v[2:3], null, s10, v0, 0
	v_add_co_u32 v10, vcc_lo, v4, 4
	v_add_co_ci_u32_e64 v12, null, 0, v5, vcc_lo
	v_add_co_u32 v13, vcc_lo, v4, 6
	v_add_co_ci_u32_e64 v14, null, 0, v5, vcc_lo
	;; [unrolled: 2-line block ×4, first 2 shown]
	v_add3_u32 v3, v3, v7, v6
	v_add_co_u32 v6, vcc_lo, v4, 12
	v_mad_u64_u32 v[35:36], null, s10, v8, s[12:13]
	v_mul_lo_u32 v9, s10, v9
	v_mul_lo_u32 v11, s11, v8
	v_mad_u64_u32 v[49:50], null, s10, v8, s[14:15]
	v_add_co_ci_u32_e64 v7, null, 0, v5, vcc_lo
	v_add_co_u32 v23, vcc_lo, v4, 14
	v_mad_u64_u32 v[37:38], null, s10, v10, s[12:13]
	v_mul_lo_u32 v12, s10, v12
	v_mul_lo_u32 v15, s11, v10
	v_mad_u64_u32 v[53:54], null, s10, v10, s[14:15]
	v_add_co_ci_u32_e64 v24, null, 0, v5, vcc_lo
	v_add_co_u32 v26, vcc_lo, v4, 16
	v_add_co_ci_u32_e64 v27, null, 0, v5, vcc_lo
	v_mad_u64_u32 v[45:46], null, s10, v6, s[12:13]
	v_mul_lo_u32 v7, s10, v7
	v_mul_lo_u32 v25, s11, v6
	v_mad_u64_u32 v[63:64], null, s10, v6, s[14:15]
	v_add3_u32 v36, v11, v36, v9
	v_mad_u64_u32 v[47:48], null, s10, v23, s[12:13]
	v_mul_lo_u32 v24, s10, v24
	v_mul_lo_u32 v8, s11, v23
	v_add3_u32 v50, v11, v50, v9
	v_add_co_u32 v9, vcc_lo, v4, 18
	v_mad_u64_u32 v[65:66], null, s10, v23, s[14:15]
	v_add3_u32 v38, v15, v38, v12
	v_mad_u64_u32 v[51:52], null, s10, v26, s[12:13]
	v_add_co_ci_u32_e64 v10, null, 0, v5, vcc_lo
	v_mul_lo_u32 v11, s10, v27
	v_add3_u32 v54, v15, v54, v12
	v_mul_lo_u32 v12, s11, v26
	v_mad_u64_u32 v[67:68], null, s10, v26, s[14:15]
	v_add3_u32 v46, v25, v46, v7
	v_add3_u32 v64, v25, v64, v7
	v_add_co_u32 v7, vcc_lo, v4, 20
	v_mad_u64_u32 v[59:60], null, s10, v9, s[12:13]
	v_mul_lo_u32 v10, s10, v10
	v_mul_lo_u32 v6, s11, v9
	v_mad_u64_u32 v[69:70], null, s10, v9, s[14:15]
	v_add3_u32 v48, v8, v48, v24
	v_add3_u32 v66, v8, v66, v24
	v_add_co_ci_u32_e64 v8, null, 0, v5, vcc_lo
	v_add_co_u32 v9, vcc_lo, v4, 22
	v_add3_u32 v52, v12, v52, v11
	v_add3_u32 v68, v12, v68, v11
	v_add_co_ci_u32_e64 v11, null, 0, v5, vcc_lo
	v_mad_u64_u32 v[71:72], null, s10, v7, s[12:13]
	v_mul_lo_u32 v8, s10, v8
	v_mul_lo_u32 v12, s11, v7
	v_mad_u64_u32 v[73:74], null, s10, v7, s[14:15]
	v_add3_u32 v60, v6, v60, v10
	v_add3_u32 v70, v6, v70, v10
	v_mul_lo_u32 v6, s10, v11
	v_mul_lo_u32 v7, s11, v9
	v_mad_u64_u32 v[75:76], null, s10, v9, s[12:13]
	v_mad_u64_u32 v[77:78], null, s10, v9, s[14:15]
	v_add_co_u32 v9, vcc_lo, v4, 24
	v_add_co_ci_u32_e64 v10, null, 0, v5, vcc_lo
	v_add3_u32 v72, v12, v72, v8
	v_add3_u32 v74, v12, v74, v8
	v_add_co_u32 v8, vcc_lo, v4, 26
	v_add3_u32 v76, v7, v76, v6
	v_add3_u32 v78, v7, v78, v6
	v_mul_lo_u32 v6, s10, v10
	v_add_co_ci_u32_e64 v10, null, 0, v5, vcc_lo
	v_mul_lo_u32 v7, s11, v9
	v_mad_u64_u32 v[79:80], null, s10, v9, s[12:13]
	v_mad_u64_u32 v[81:82], null, s10, v9, s[14:15]
	v_mul_lo_u32 v9, s10, v10
	v_mul_lo_u32 v10, s11, v8
	v_mad_u64_u32 v[83:84], null, s10, v8, s[12:13]
	v_mad_u64_u32 v[85:86], null, s10, v8, s[14:15]
	v_add_co_u32 v8, vcc_lo, v4, 28
	v_add_co_ci_u32_e64 v11, null, 0, v5, vcc_lo
	v_add3_u32 v84, v10, v84, v9
	v_add3_u32 v80, v7, v80, v6
	;; [unrolled: 1-line block ×3, first 2 shown]
	v_add_co_u32 v9, vcc_lo, v4, 30
	v_add_co_ci_u32_e64 v10, null, 0, v5, vcc_lo
	v_add3_u32 v82, v7, v82, v6
	v_mul_lo_u32 v6, s10, v11
	v_mul_lo_u32 v7, s11, v8
	v_mad_u64_u32 v[87:88], null, s10, v8, s[12:13]
	v_mad_u64_u32 v[89:90], null, s10, v8, s[14:15]
	v_mul_lo_u32 v8, s10, v10
	v_mul_lo_u32 v10, s11, v9
	v_mad_u64_u32 v[91:92], null, s10, v9, s[12:13]
	v_mad_u64_u32 v[93:94], null, s10, v9, s[14:15]
	v_add_co_u32 v9, vcc_lo, v4, 32
	v_add_co_ci_u32_e64 v11, null, 0, v5, vcc_lo
	v_add3_u32 v88, v7, v88, v6
	v_add3_u32 v90, v7, v90, v6
	v_mul_lo_u32 v7, s11, v9
	v_mul_lo_u32 v6, s10, v11
	v_mad_u64_u32 v[95:96], null, s10, v9, s[12:13]
	v_mad_u64_u32 v[97:98], null, s10, v9, s[14:15]
	v_add3_u32 v92, v10, v92, v8
	v_add3_u32 v94, v10, v94, v8
	v_mad_u64_u32 v[39:40], null, s10, v13, s[12:13]
	v_add3_u32 v96, v7, v96, v6
	v_mul_lo_u32 v17, s11, v13
	v_add3_u32 v98, v7, v98, v6
	v_add_co_u32 v6, vcc_lo, v4, 34
	v_add_co_ci_u32_e64 v7, null, 0, v5, vcc_lo
	v_mad_u64_u32 v[55:56], null, s10, v13, s[14:15]
	v_mul_lo_u32 v8, s11, v6
	v_mul_lo_u32 v7, s10, v7
	v_mad_u64_u32 v[99:100], null, s10, v6, s[12:13]
	v_mad_u64_u32 v[101:102], null, s10, v6, s[14:15]
	v_add_co_u32 v6, vcc_lo, v4, 36
	v_mul_lo_u32 v14, s10, v14
	v_mad_u64_u32 v[41:42], null, s10, v16, s[12:13]
	v_add3_u32 v100, v8, v100, v7
	v_add3_u32 v102, v8, v102, v7
	v_add_co_ci_u32_e64 v7, null, 0, v5, vcc_lo
	v_mul_lo_u32 v8, s11, v6
	v_mad_u64_u32 v[103:104], null, s10, v6, s[12:13]
	v_mul_lo_u32 v7, s10, v7
	v_mad_u64_u32 v[105:106], null, s10, v6, s[14:15]
	v_add_co_u32 v6, vcc_lo, v4, 38
	v_add3_u32 v40, v17, v40, v14
	v_add3_u32 v56, v17, v56, v14
	v_mul_lo_u32 v21, s11, v16
	v_add3_u32 v104, v8, v104, v7
	v_add3_u32 v106, v8, v106, v7
	v_add_co_ci_u32_e64 v7, null, 0, v5, vcc_lo
	v_mul_lo_u32 v8, s11, v6
	v_mad_u64_u32 v[107:108], null, s10, v6, s[12:13]
	v_mul_lo_u32 v7, s10, v7
	v_mad_u64_u32 v[109:110], null, s10, v6, s[14:15]
	v_add_co_u32 v6, vcc_lo, v4, 40
	v_mad_u64_u32 v[57:58], null, s10, v16, s[14:15]
	v_mul_lo_u32 v18, s10, v18
	v_add3_u32 v108, v8, v108, v7
	v_add3_u32 v110, v8, v110, v7
	v_add_co_ci_u32_e64 v7, null, 0, v5, vcc_lo
	v_mul_lo_u32 v8, s11, v6
	v_mad_u64_u32 v[111:112], null, s10, v6, s[12:13]
	v_mul_lo_u32 v7, s10, v7
	v_mad_u64_u32 v[113:114], null, s10, v6, s[14:15]
	v_add_co_u32 v6, vcc_lo, v4, 42
	v_mad_u64_u32 v[43:44], null, s10, v19, s[12:13]
	v_mul_lo_u32 v22, s11, v19
	v_add3_u32 v112, v8, v112, v7
	v_add3_u32 v114, v8, v114, v7
	v_add_co_ci_u32_e64 v7, null, 0, v5, vcc_lo
	v_mul_lo_u32 v8, s11, v6
	v_mad_u64_u32 v[115:116], null, s10, v6, s[12:13]
	v_mul_lo_u32 v7, s10, v7
	v_mad_u64_u32 v[117:118], null, s10, v6, s[14:15]
	v_add_co_u32 v6, vcc_lo, v4, 44
	v_add3_u32 v42, v21, v42, v18
	v_mad_u64_u32 v[61:62], null, s10, v19, s[14:15]
	v_add3_u32 v116, v8, v116, v7
	v_add3_u32 v118, v8, v118, v7
	v_add_co_ci_u32_e64 v7, null, 0, v5, vcc_lo
	v_mul_lo_u32 v8, s11, v6
	v_mad_u64_u32 v[119:120], null, s10, v6, s[12:13]
	v_mul_lo_u32 v7, s10, v7
	v_mad_u64_u32 v[121:122], null, s10, v6, s[14:15]
	v_add_co_u32 v6, vcc_lo, v4, 46
	v_add3_u32 v58, v21, v58, v18
	v_mul_lo_u32 v20, s10, v20
	s_load_dword s1, s[4:5], 0x44
	v_add3_u32 v120, v8, v120, v7
	v_add3_u32 v122, v8, v122, v7
	v_add_co_ci_u32_e64 v7, null, 0, v5, vcc_lo
	v_mul_lo_u32 v8, s11, v6
	v_mad_u64_u32 v[123:124], null, s10, v6, s[12:13]
	v_mul_lo_u32 v7, s10, v7
	v_mad_u64_u32 v[125:126], null, s10, v6, s[14:15]
	v_add_co_u32 v6, vcc_lo, v4, 48
	v_add3_u32 v44, v22, v44, v20
	v_add3_u32 v62, v22, v62, v20
	v_mov_b32_e32 v203, 0
	v_add3_u32 v124, v8, v124, v7
	v_add3_u32 v126, v8, v126, v7
	v_add_co_ci_u32_e64 v7, null, 0, v5, vcc_lo
	v_mul_lo_u32 v8, s11, v6
	v_mad_u64_u32 v[127:128], null, s10, v6, s[12:13]
	v_mul_lo_u32 v7, s10, v7
	v_mad_u64_u32 v[129:130], null, s10, v6, s[14:15]
	v_add_co_u32 v6, vcc_lo, v4, 50
	s_waitcnt lgkmcnt(0)
	s_lshl_b32 s1, s1, 5
	s_mov_b64 s[22:23], s[18:19]
	v_add3_u32 v128, v8, v128, v7
	v_add3_u32 v130, v8, v130, v7
	v_add_co_ci_u32_e64 v7, null, 0, v5, vcc_lo
	v_mul_lo_u32 v8, s11, v6
	v_mad_u64_u32 v[131:132], null, s10, v6, s[12:13]
	v_mul_lo_u32 v7, s10, v7
	v_mad_u64_u32 v[133:134], null, s10, v6, s[14:15]
	v_add_co_u32 v6, vcc_lo, v4, 52
	v_add3_u32 v132, v8, v132, v7
	v_add3_u32 v134, v8, v134, v7
	v_add_co_ci_u32_e64 v7, null, 0, v5, vcc_lo
	v_mul_lo_u32 v8, s11, v6
	v_mad_u64_u32 v[135:136], null, s10, v6, s[12:13]
	v_mul_lo_u32 v7, s10, v7
	v_mad_u64_u32 v[137:138], null, s10, v6, s[14:15]
	v_add_co_u32 v6, vcc_lo, v4, 54
	;; [unrolled: 8-line block ×5, first 2 shown]
	v_add3_u32 v148, v8, v148, v7
	v_add3_u32 v150, v8, v150, v7
	v_add_co_ci_u32_e64 v7, null, 0, v5, vcc_lo
	v_add_co_u32 v4, vcc_lo, v4, 62
	v_add_co_ci_u32_e64 v5, null, 0, v5, vcc_lo
	v_mul_lo_u32 v8, s11, v6
	v_mad_u64_u32 v[151:152], null, s10, v6, s[12:13]
	v_mad_u64_u32 v[153:154], null, s10, v6, s[14:15]
	v_mul_lo_u32 v5, s10, v5
	v_mul_lo_u32 v6, s11, v4
	v_mad_u64_u32 v[155:156], null, s10, v4, s[12:13]
	v_mad_u64_u32 v[157:158], null, s10, v4, s[14:15]
	v_mul_lo_u32 v7, s10, v7
	v_add_co_u32 v4, vcc_lo, v0, 31
	v_add3_u32 v156, v6, v156, v5
	v_add3_u32 v158, v6, v158, v5
	v_add_co_ci_u32_e64 v5, null, 0, v1, vcc_lo
	v_add3_u32 v152, v8, v152, v7
	v_add3_u32 v154, v8, v154, v7
	v_mul_lo_u32 v7, s11, v4
	v_mul_lo_u32 v6, s10, v5
	v_mad_u64_u32 v[4:5], null, s10, v4, 0
	v_add3_u32 v5, v5, v6, v7
	v_add_co_u32 v6, vcc_lo, v0, 30
	v_add_co_ci_u32_e64 v7, null, 0, v1, vcc_lo
	v_mul_lo_u32 v9, s11, v6
	v_mul_lo_u32 v8, s10, v7
	v_mad_u64_u32 v[6:7], null, s10, v6, 0
	v_add3_u32 v7, v7, v8, v9
	v_add_co_u32 v8, vcc_lo, v0, 29
	v_add_co_ci_u32_e64 v9, null, 0, v1, vcc_lo
	;; [unrolled: 6-line block ×15, first 2 shown]
	v_mul_lo_u32 v162, s11, v34
	v_mul_lo_u32 v161, s10, v159
	v_mad_u64_u32 v[159:160], null, s10, v34, 0
	v_add_co_u32 v34, vcc_lo, v0, 15
	v_mul_lo_u32 v164, s11, v34
	v_add3_u32 v160, v160, v161, v162
	v_add_co_ci_u32_e64 v161, null, 0, v1, vcc_lo
	v_mul_lo_u32 v163, s10, v161
	v_mad_u64_u32 v[161:162], null, s10, v34, 0
	v_add_co_u32 v34, vcc_lo, v0, 14
	v_mad_u64_u32 v[168:169], null, s10, v34, 0
	v_add3_u32 v162, v162, v163, v164
	v_add_co_ci_u32_e64 v163, null, 0, v1, vcc_lo
	v_mul_lo_u32 v164, s11, v34
	v_add_co_u32 v34, vcc_lo, v0, 13
	v_mul_lo_u32 v163, s10, v163
	v_mad_u64_u32 v[170:171], null, s10, v34, 0
	v_add3_u32 v169, v169, v163, v164
	v_add_co_ci_u32_e64 v163, null, 0, v1, vcc_lo
	v_mul_lo_u32 v164, s11, v34
	v_add_co_u32 v34, vcc_lo, v0, 12
	v_mul_lo_u32 v163, s10, v163
	;; [unrolled: 6-line block ×11, first 2 shown]
	v_mad_u64_u32 v[190:191], null, s10, v34, 0
	v_add3_u32 v189, v189, v163, v164
	v_add_co_ci_u32_e64 v163, null, 0, v1, vcc_lo
	v_add_co_u32 v0, vcc_lo, v0, 2
	v_add_co_ci_u32_e64 v1, null, 0, v1, vcc_lo
	v_mul_lo_u32 v164, s11, v34
	v_mul_lo_u32 v34, s11, v0
	v_mad_u64_u32 v[193:194], null, s10, v0, 0
	v_mul_lo_u32 v1, s10, v1
	v_mul_lo_u32 v163, s10, v163
	v_add_co_u32 v197, vcc_lo, v2, s10
	v_add_co_ci_u32_e64 v198, null, s11, v3, vcc_lo
	v_add3_u32 v194, v194, v1, v34
	v_lshlrev_b64 v[0:1], 1, v[2:3]
	v_add3_u32 v191, v191, v163, v164
	v_add_co_u32 v164, vcc_lo, s12, v0
	v_add_co_ci_u32_e64 v165, null, s13, v1, vcc_lo
	v_add_co_u32 v166, vcc_lo, s14, v0
	v_add_co_ci_u32_e64 v167, null, s15, v1, vcc_lo
	v_lshlrev_b64 v[0:1], 1, v[4:5]
	v_mov_b32_e32 v5, v192
	v_add_co_u32 v2, vcc_lo, s12, v0
	buffer_store_dword v2, off, s[36:39], 0 ; 4-byte Folded Spill
	v_add_co_ci_u32_e64 v2, null, s13, v1, vcc_lo
	v_add_co_u32 v0, vcc_lo, s14, v0
	buffer_store_dword v2, off, s[36:39], 0 offset:4 ; 4-byte Folded Spill
	buffer_store_dword v0, off, s[36:39], 0 offset:8 ; 4-byte Folded Spill
	v_add_co_ci_u32_e64 v0, null, s15, v1, vcc_lo
	buffer_store_dword v0, off, s[36:39], 0 offset:12 ; 4-byte Folded Spill
	v_lshlrev_b64 v[0:1], 1, v[6:7]
	v_add_co_u32 v2, vcc_lo, s12, v0
	buffer_store_dword v2, off, s[36:39], 0 offset:16 ; 4-byte Folded Spill
	v_add_co_ci_u32_e64 v2, null, s13, v1, vcc_lo
	v_add_co_u32 v0, vcc_lo, s14, v0
	buffer_store_dword v2, off, s[36:39], 0 offset:20 ; 4-byte Folded Spill
	buffer_store_dword v0, off, s[36:39], 0 offset:24 ; 4-byte Folded Spill
	v_add_co_ci_u32_e64 v0, null, s15, v1, vcc_lo
	buffer_store_dword v0, off, s[36:39], 0 offset:28 ; 4-byte Folded Spill
	v_lshlrev_b64 v[0:1], 1, v[8:9]
	v_add_co_u32 v2, vcc_lo, s12, v0
	buffer_store_dword v2, off, s[36:39], 0 offset:32 ; 4-byte Folded Spill
	;; [unrolled: 9-line block ×13, first 2 shown]
	v_add_co_ci_u32_e64 v2, null, s13, v1, vcc_lo
	v_add_co_u32 v0, vcc_lo, s14, v0
	buffer_store_dword v2, off, s[36:39], 0 offset:212 ; 4-byte Folded Spill
	buffer_store_dword v0, off, s[36:39], 0 offset:216 ; 4-byte Folded Spill
	v_add_co_ci_u32_e64 v0, null, s15, v1, vcc_lo
	buffer_store_dword v0, off, s[36:39], 0 offset:220 ; 4-byte Folded Spill
	v_lshlrev_b64 v[0:1], 1, v[32:33]
	v_add_co_u32 v2, vcc_lo, s12, v0
	v_add_co_ci_u32_e64 v225, null, s13, v1, vcc_lo
	v_add_co_u32 v226, vcc_lo, s14, v0
	v_add_co_ci_u32_e64 v227, null, s15, v1, vcc_lo
	v_lshlrev_b64 v[0:1], 1, v[159:160]
	buffer_store_dword v2, off, s[36:39], 0 offset:224 ; 4-byte Folded Spill
	v_add_co_u32 v228, vcc_lo, s12, v0
	v_add_co_ci_u32_e64 v229, null, s13, v1, vcc_lo
	v_add_co_u32 v230, vcc_lo, s14, v0
	v_add_co_ci_u32_e64 v231, null, s15, v1, vcc_lo
	v_lshlrev_b64 v[0:1], 1, v[161:162]
	v_add_co_u32 v232, vcc_lo, s12, v0
	v_add_co_ci_u32_e64 v233, null, s13, v1, vcc_lo
	v_add_co_u32 v234, vcc_lo, s14, v0
	v_add_co_ci_u32_e64 v235, null, s15, v1, vcc_lo
	v_lshlrev_b64 v[0:1], 1, v[168:169]
	v_add_co_u32 v236, vcc_lo, s12, v0
	v_add_co_ci_u32_e64 v237, null, s13, v1, vcc_lo
	v_add_co_u32 v238, vcc_lo, s14, v0
	v_add_co_ci_u32_e64 v239, null, s15, v1, vcc_lo
	v_lshlrev_b64 v[0:1], 1, v[170:171]
	v_add_co_u32 v240, vcc_lo, s12, v0
	v_add_co_ci_u32_e64 v241, null, s13, v1, vcc_lo
	v_add_co_u32 v242, vcc_lo, s14, v0
	v_add_co_ci_u32_e64 v243, null, s15, v1, vcc_lo
	v_lshlrev_b64 v[0:1], 1, v[172:173]
	v_add_co_u32 v244, vcc_lo, s12, v0
	v_add_co_ci_u32_e64 v245, null, s13, v1, vcc_lo
	v_add_co_u32 v246, vcc_lo, s14, v0
	v_add_co_ci_u32_e64 v247, null, s15, v1, vcc_lo
	v_lshlrev_b64 v[0:1], 1, v[174:175]
	v_add_co_u32 v248, vcc_lo, s12, v0
	v_add_co_ci_u32_e64 v249, null, s13, v1, vcc_lo
	v_add_co_u32 v250, vcc_lo, s14, v0
	v_add_co_ci_u32_e64 v251, null, s15, v1, vcc_lo
	v_lshlrev_b64 v[0:1], 1, v[176:177]
	v_add_co_u32 v252, vcc_lo, s12, v0
	v_add_co_ci_u32_e64 v253, null, s13, v1, vcc_lo
	v_add_co_u32 v254, vcc_lo, s14, v0
	v_add_co_ci_u32_e64 v255, null, s15, v1, vcc_lo
	v_lshlrev_b64 v[1:2], 1, v[178:179]
	v_add_co_u32 v163, vcc_lo, s12, v1
	v_add_co_ci_u32_e64 v0, null, s13, v2, vcc_lo
	v_add_co_u32 v1, vcc_lo, s14, v1
	v_add_co_ci_u32_e64 v168, null, s15, v2, vcc_lo
	v_lshlrev_b64 v[2:3], 1, v[180:181]
	v_add_co_u32 v169, vcc_lo, s12, v2
	v_add_co_ci_u32_e64 v170, null, s13, v3, vcc_lo
	v_add_co_u32 v171, vcc_lo, s14, v2
	v_add_co_ci_u32_e64 v172, null, s15, v3, vcc_lo
	v_lshlrev_b64 v[2:3], 1, v[182:183]
	v_add_co_u32 v173, vcc_lo, s12, v2
	v_add_co_ci_u32_e64 v174, null, s13, v3, vcc_lo
	v_add_co_u32 v175, vcc_lo, s14, v2
	v_add_co_ci_u32_e64 v176, null, s15, v3, vcc_lo
	v_lshlrev_b64 v[2:3], 1, v[184:185]
	v_add_co_u32 v177, vcc_lo, s12, v2
	v_add_co_ci_u32_e64 v178, null, s13, v3, vcc_lo
	v_add_co_u32 v179, vcc_lo, s14, v2
	v_add_co_ci_u32_e64 v180, null, s15, v3, vcc_lo
	v_lshlrev_b64 v[2:3], 1, v[186:187]
	v_add_co_u32 v181, vcc_lo, s12, v2
	v_add_co_ci_u32_e64 v182, null, s13, v3, vcc_lo
	v_add_co_u32 v183, vcc_lo, s14, v2
	v_add_co_ci_u32_e64 v184, null, s15, v3, vcc_lo
	v_lshlrev_b64 v[2:3], 1, v[188:189]
	v_add_co_u32 v185, vcc_lo, s12, v2
	v_add_co_ci_u32_e64 v186, null, s13, v3, vcc_lo
	v_add_co_u32 v187, vcc_lo, s14, v2
	v_add_co_ci_u32_e64 v188, null, s15, v3, vcc_lo
	v_lshlrev_b64 v[2:3], 1, v[190:191]
	v_add_co_u32 v189, vcc_lo, s12, v2
	v_add_co_ci_u32_e64 v190, null, s13, v3, vcc_lo
	v_add_co_u32 v191, vcc_lo, s14, v2
	v_add_co_ci_u32_e64 v192, null, s15, v3, vcc_lo
	v_lshlrev_b64 v[2:3], 1, v[193:194]
	v_add_co_u32 v193, vcc_lo, s12, v2
	v_add_co_ci_u32_e64 v194, null, s13, v3, vcc_lo
	v_add_co_u32 v195, vcc_lo, s14, v2
	v_add_co_ci_u32_e64 v196, null, s15, v3, vcc_lo
	v_lshlrev_b64 v[2:3], 1, v[197:198]
	v_add_co_u32 v197, vcc_lo, s12, v2
	v_add_co_ci_u32_e64 v198, null, s13, v3, vcc_lo
	v_add_co_u32 v199, vcc_lo, s14, v2
	v_mov_b32_e32 v2, 0
	v_add_co_ci_u32_e64 v200, null, s15, v3, vcc_lo
	v_add_nc_u32_e32 v3, s7, v224
	s_mul_i32 s7, s11, s1
	v_mov_b32_e32 v4, v2
	s_mul_hi_u32 s12, s10, s1
	v_mov_b32_e32 v201, v2
	s_add_i32 s13, s12, s7
	s_mul_i32 s12, s10, s1
	v_lshlrev_b64 v[159:160], 1, v[3:4]
	s_lshl_b64 s[12:13], s[12:13], 1
	s_mov_b64 s[14:15], 31
.LBB199_145:                            ; =>This Inner Loop Header: Depth=1
	s_add_u32 s24, s18, s14
	s_addc_u32 s25, 0, s15
	v_add_co_u32 v161, vcc_lo, s18, v5
	v_cmp_ge_i64_e64 s7, s[24:25], s[8:9]
	v_add_co_ci_u32_e64 v162, null, 0, v201, vcc_lo
	buffer_store_dword v5, off, s[36:39], 0 offset:228 ; 4-byte Folded Spill
                                        ; implicit-def: $vgpr202
	s_and_b32 vcc_lo, exec_lo, s7
	s_mov_b32 s7, -1
	s_cbranch_vccz .LBB199_213
; %bb.146:                              ;   in Loop: Header=BB199_145 Depth=1
	s_load_dword s7, s[20:21], 0xc
	v_mov_b32_e32 v202, 0
	v_mov_b32_e32 v204, 0
	s_waitcnt lgkmcnt(0)
	s_and_b32 s7, s7, 0xffff
	v_mad_u32_u24 v3, v223, s7, v224
	s_mov_b32 s7, exec_lo
	v_and_b32_e32 v3, 31, v3
	v_add_co_u32 v3, vcc_lo, v161, v3
	v_add_co_ci_u32_e64 v4, null, 0, v162, vcc_lo
	v_cmpx_gt_i64_e64 s[8:9], v[3:4]
	s_cbranch_execz .LBB199_148
; %bb.147:                              ;   in Loop: Header=BB199_145 Depth=1
	v_lshlrev_b64 v[3:4], 2, v[3:4]
	v_add_co_u32 v3, vcc_lo, s16, v3
	v_add_co_ci_u32_e64 v4, null, s17, v4, vcc_lo
	global_load_dword v204, v[3:4], off
.LBB199_148:                            ;   in Loop: Header=BB199_145 Depth=1
	s_or_b32 exec_lo, exec_lo, s7
	v_mov_b32_e32 v33, v2
	v_mov_b32_e32 v3, v2
	;; [unrolled: 1-line block ×63, first 2 shown]
	s_mov_b32 s7, exec_lo
	v_cmpx_gt_i64_e64 s[8:9], v[161:162]
	s_cbranch_execz .LBB199_150
; %bb.149:                              ;   in Loop: Header=BB199_145 Depth=1
	v_add_co_u32 v3, vcc_lo, v164, v159
	v_add_co_ci_u32_e64 v4, null, v165, v160, vcc_lo
	v_add_co_u32 v5, vcc_lo, v166, v159
	v_add_co_ci_u32_e64 v6, null, v167, v160, vcc_lo
	global_load_ushort v3, v[3:4], off
	global_load_ushort v202, v[5:6], off
	v_mov_b32_e32 v4, v2
	v_mov_b32_e32 v5, v2
	;; [unrolled: 1-line block ×31, first 2 shown]
	s_waitcnt vmcnt(1)
	v_lshlrev_b32_e32 v3, 16, v3
	s_waitcnt vmcnt(0)
	v_lshlrev_b32_e32 v202, 16, v202
.LBB199_150:                            ;   in Loop: Header=BB199_145 Depth=1
	s_or_b32 exec_lo, exec_lo, s7
	v_add_co_u32 v205, vcc_lo, v161, 1
	v_add_co_ci_u32_e64 v206, null, 0, v162, vcc_lo
	v_cmp_gt_i64_e32 vcc_lo, s[8:9], v[205:206]
	v_mov_b32_e32 v205, 0
	buffer_store_dword v205, off, s[36:39], 0 offset:232 ; 4-byte Folded Spill
	v_mov_b32_e32 v205, 0
	buffer_store_dword v205, off, s[36:39], 0 offset:236 ; 4-byte Folded Spill
	s_and_saveexec_b32 s7, vcc_lo
	s_cbranch_execz .LBB199_152
; %bb.151:                              ;   in Loop: Header=BB199_145 Depth=1
	v_add_co_u32 v205, vcc_lo, v197, v159
	v_add_co_ci_u32_e64 v206, null, v198, v160, vcc_lo
	v_add_co_u32 v207, vcc_lo, v199, v159
	v_add_co_ci_u32_e64 v208, null, v200, v160, vcc_lo
	global_load_ushort v4, v[205:206], off
	global_load_ushort v205, v[207:208], off
	s_waitcnt vmcnt(1)
	v_lshlrev_b32_e32 v4, 16, v4
	s_waitcnt vmcnt(0)
	v_lshlrev_b32_e32 v205, 16, v205
	buffer_store_dword v205, off, s[36:39], 0 offset:236 ; 4-byte Folded Spill
.LBB199_152:                            ;   in Loop: Header=BB199_145 Depth=1
	s_or_b32 exec_lo, exec_lo, s7
	v_add_co_u32 v205, vcc_lo, v161, 2
	v_add_co_ci_u32_e64 v206, null, 0, v162, vcc_lo
	s_mov_b32 s7, exec_lo
	v_cmpx_gt_i64_e64 s[8:9], v[205:206]
	s_cbranch_execz .LBB199_154
; %bb.153:                              ;   in Loop: Header=BB199_145 Depth=1
	v_add_co_u32 v205, vcc_lo, v193, v159
	v_add_co_ci_u32_e64 v206, null, v194, v160, vcc_lo
	v_add_co_u32 v207, vcc_lo, v195, v159
	v_add_co_ci_u32_e64 v208, null, v196, v160, vcc_lo
	global_load_ushort v5, v[205:206], off
	global_load_ushort v205, v[207:208], off
	s_waitcnt vmcnt(1)
	v_lshlrev_b32_e32 v5, 16, v5
	s_waitcnt vmcnt(0)
	v_lshlrev_b32_e32 v205, 16, v205
	buffer_store_dword v205, off, s[36:39], 0 offset:232 ; 4-byte Folded Spill
.LBB199_154:                            ;   in Loop: Header=BB199_145 Depth=1
	s_or_b32 exec_lo, exec_lo, s7
	v_add_co_u32 v205, vcc_lo, v161, 3
	v_add_co_ci_u32_e64 v206, null, 0, v162, vcc_lo
	v_cmp_gt_i64_e32 vcc_lo, s[8:9], v[205:206]
	v_mov_b32_e32 v205, 0
	buffer_store_dword v205, off, s[36:39], 0 offset:240 ; 4-byte Folded Spill
	v_mov_b32_e32 v205, 0
	buffer_store_dword v205, off, s[36:39], 0 offset:244 ; 4-byte Folded Spill
	s_and_saveexec_b32 s7, vcc_lo
	s_cbranch_execz .LBB199_156
; %bb.155:                              ;   in Loop: Header=BB199_145 Depth=1
	v_add_co_u32 v205, vcc_lo, v189, v159
	v_add_co_ci_u32_e64 v206, null, v190, v160, vcc_lo
	v_add_co_u32 v207, vcc_lo, v191, v159
	v_add_co_ci_u32_e64 v208, null, v192, v160, vcc_lo
	global_load_ushort v6, v[205:206], off
	global_load_ushort v205, v[207:208], off
	s_waitcnt vmcnt(1)
	v_lshlrev_b32_e32 v6, 16, v6
	s_waitcnt vmcnt(0)
	v_lshlrev_b32_e32 v205, 16, v205
	buffer_store_dword v205, off, s[36:39], 0 offset:244 ; 4-byte Folded Spill
.LBB199_156:                            ;   in Loop: Header=BB199_145 Depth=1
	s_or_b32 exec_lo, exec_lo, s7
	v_add_co_u32 v205, vcc_lo, v161, 4
	v_add_co_ci_u32_e64 v206, null, 0, v162, vcc_lo
	s_mov_b32 s7, exec_lo
	v_cmpx_gt_i64_e64 s[8:9], v[205:206]
	s_cbranch_execz .LBB199_158
; %bb.157:                              ;   in Loop: Header=BB199_145 Depth=1
	v_add_co_u32 v205, vcc_lo, v185, v159
	v_add_co_ci_u32_e64 v206, null, v186, v160, vcc_lo
	v_add_co_u32 v207, vcc_lo, v187, v159
	v_add_co_ci_u32_e64 v208, null, v188, v160, vcc_lo
	global_load_ushort v7, v[205:206], off
	global_load_ushort v205, v[207:208], off
	s_waitcnt vmcnt(1)
	v_lshlrev_b32_e32 v7, 16, v7
	s_waitcnt vmcnt(0)
	v_lshlrev_b32_e32 v205, 16, v205
	buffer_store_dword v205, off, s[36:39], 0 offset:240 ; 4-byte Folded Spill
.LBB199_158:                            ;   in Loop: Header=BB199_145 Depth=1
	;; [unrolled: 42-line block ×8, first 2 shown]
	s_or_b32 exec_lo, exec_lo, s7
	v_add_co_u32 v205, vcc_lo, v161, 17
	v_add_co_ci_u32_e64 v206, null, 0, v162, vcc_lo
	v_cmp_gt_i64_e32 vcc_lo, s[8:9], v[205:206]
	v_mov_b32_e32 v205, 0
	v_mov_b32_e32 v206, 0
	s_and_saveexec_b32 s7, vcc_lo
	s_cbranch_execz .LBB199_184
; %bb.183:                              ;   in Loop: Header=BB199_145 Depth=1
	buffer_load_dword v20, off, s[36:39], 0 offset:224 ; 4-byte Folded Reload
	s_waitcnt vmcnt(0)
	v_add_co_u32 v206, vcc_lo, v20, v159
	v_add_co_ci_u32_e64 v207, null, v225, v160, vcc_lo
	v_add_co_u32 v208, vcc_lo, v226, v159
	v_add_co_ci_u32_e64 v209, null, v227, v160, vcc_lo
	global_load_ushort v20, v[206:207], off
	global_load_ushort v206, v[208:209], off
	s_waitcnt vmcnt(1)
	v_lshlrev_b32_e32 v20, 16, v20
	s_waitcnt vmcnt(0)
	v_lshlrev_b32_e32 v206, 16, v206
.LBB199_184:                            ;   in Loop: Header=BB199_145 Depth=1
	s_or_b32 exec_lo, exec_lo, s7
	v_add_co_u32 v207, vcc_lo, v161, 18
	v_add_co_ci_u32_e64 v208, null, 0, v162, vcc_lo
	s_mov_b32 s7, exec_lo
	v_cmpx_gt_i64_e64 s[8:9], v[207:208]
	s_cbranch_execz .LBB199_186
; %bb.185:                              ;   in Loop: Header=BB199_145 Depth=1
	buffer_load_dword v21, off, s[36:39], 0 offset:208 ; 4-byte Folded Reload
	s_waitcnt vmcnt(0)
	v_add_co_u32 v207, vcc_lo, v21, v159
	buffer_load_dword v21, off, s[36:39], 0 offset:212 ; 4-byte Folded Reload
	s_waitcnt vmcnt(0)
	v_add_co_ci_u32_e64 v208, null, v21, v160, vcc_lo
	buffer_load_dword v21, off, s[36:39], 0 offset:216 ; 4-byte Folded Reload
	s_waitcnt vmcnt(0)
	v_add_co_u32 v209, vcc_lo, v21, v159
	buffer_load_dword v21, off, s[36:39], 0 offset:220 ; 4-byte Folded Reload
	s_waitcnt vmcnt(0)
	v_add_co_ci_u32_e64 v210, null, v21, v160, vcc_lo
	global_load_ushort v21, v[207:208], off
	global_load_ushort v205, v[209:210], off
	s_waitcnt vmcnt(1)
	v_lshlrev_b32_e32 v21, 16, v21
	s_waitcnt vmcnt(0)
	v_lshlrev_b32_e32 v205, 16, v205
.LBB199_186:                            ;   in Loop: Header=BB199_145 Depth=1
	s_or_b32 exec_lo, exec_lo, s7
	v_add_co_u32 v207, vcc_lo, v161, 19
	v_add_co_ci_u32_e64 v208, null, 0, v162, vcc_lo
	v_cmp_gt_i64_e32 vcc_lo, s[8:9], v[207:208]
	v_mov_b32_e32 v207, 0
	v_mov_b32_e32 v208, 0
	s_and_saveexec_b32 s7, vcc_lo
	s_cbranch_execz .LBB199_188
; %bb.187:                              ;   in Loop: Header=BB199_145 Depth=1
	buffer_load_dword v22, off, s[36:39], 0 offset:192 ; 4-byte Folded Reload
	s_waitcnt vmcnt(0)
	v_add_co_u32 v208, vcc_lo, v22, v159
	buffer_load_dword v22, off, s[36:39], 0 offset:196 ; 4-byte Folded Reload
	s_waitcnt vmcnt(0)
	v_add_co_ci_u32_e64 v209, null, v22, v160, vcc_lo
	buffer_load_dword v22, off, s[36:39], 0 offset:200 ; 4-byte Folded Reload
	s_waitcnt vmcnt(0)
	v_add_co_u32 v210, vcc_lo, v22, v159
	buffer_load_dword v22, off, s[36:39], 0 offset:204 ; 4-byte Folded Reload
	s_waitcnt vmcnt(0)
	v_add_co_ci_u32_e64 v211, null, v22, v160, vcc_lo
	global_load_ushort v22, v[208:209], off
	global_load_ushort v208, v[210:211], off
	s_waitcnt vmcnt(1)
	v_lshlrev_b32_e32 v22, 16, v22
	s_waitcnt vmcnt(0)
	v_lshlrev_b32_e32 v208, 16, v208
.LBB199_188:                            ;   in Loop: Header=BB199_145 Depth=1
	s_or_b32 exec_lo, exec_lo, s7
	v_add_co_u32 v209, vcc_lo, v161, 20
	v_add_co_ci_u32_e64 v210, null, 0, v162, vcc_lo
	s_mov_b32 s7, exec_lo
	v_cmpx_gt_i64_e64 s[8:9], v[209:210]
	s_cbranch_execz .LBB199_190
; %bb.189:                              ;   in Loop: Header=BB199_145 Depth=1
	buffer_load_dword v23, off, s[36:39], 0 offset:176 ; 4-byte Folded Reload
	s_waitcnt vmcnt(0)
	v_add_co_u32 v209, vcc_lo, v23, v159
	buffer_load_dword v23, off, s[36:39], 0 offset:180 ; 4-byte Folded Reload
	s_waitcnt vmcnt(0)
	v_add_co_ci_u32_e64 v210, null, v23, v160, vcc_lo
	buffer_load_dword v23, off, s[36:39], 0 offset:184 ; 4-byte Folded Reload
	s_waitcnt vmcnt(0)
	v_add_co_u32 v211, vcc_lo, v23, v159
	buffer_load_dword v23, off, s[36:39], 0 offset:188 ; 4-byte Folded Reload
	s_waitcnt vmcnt(0)
	v_add_co_ci_u32_e64 v212, null, v23, v160, vcc_lo
	global_load_ushort v23, v[209:210], off
	global_load_ushort v207, v[211:212], off
	s_waitcnt vmcnt(1)
	v_lshlrev_b32_e32 v23, 16, v23
	s_waitcnt vmcnt(0)
	v_lshlrev_b32_e32 v207, 16, v207
.LBB199_190:                            ;   in Loop: Header=BB199_145 Depth=1
	s_or_b32 exec_lo, exec_lo, s7
	v_add_co_u32 v209, vcc_lo, v161, 21
	v_add_co_ci_u32_e64 v210, null, 0, v162, vcc_lo
	v_cmp_gt_i64_e32 vcc_lo, s[8:9], v[209:210]
	v_mov_b32_e32 v209, 0
	v_mov_b32_e32 v210, 0
	s_and_saveexec_b32 s7, vcc_lo
	s_cbranch_execz .LBB199_192
; %bb.191:                              ;   in Loop: Header=BB199_145 Depth=1
	buffer_load_dword v24, off, s[36:39], 0 offset:160 ; 4-byte Folded Reload
	s_waitcnt vmcnt(0)
	v_add_co_u32 v210, vcc_lo, v24, v159
	buffer_load_dword v24, off, s[36:39], 0 offset:164 ; 4-byte Folded Reload
	s_waitcnt vmcnt(0)
	v_add_co_ci_u32_e64 v211, null, v24, v160, vcc_lo
	buffer_load_dword v24, off, s[36:39], 0 offset:168 ; 4-byte Folded Reload
	s_waitcnt vmcnt(0)
	v_add_co_u32 v212, vcc_lo, v24, v159
	buffer_load_dword v24, off, s[36:39], 0 offset:172 ; 4-byte Folded Reload
	s_waitcnt vmcnt(0)
	v_add_co_ci_u32_e64 v213, null, v24, v160, vcc_lo
	global_load_ushort v24, v[210:211], off
	global_load_ushort v210, v[212:213], off
	s_waitcnt vmcnt(1)
	v_lshlrev_b32_e32 v24, 16, v24
	s_waitcnt vmcnt(0)
	v_lshlrev_b32_e32 v210, 16, v210
.LBB199_192:                            ;   in Loop: Header=BB199_145 Depth=1
	;; [unrolled: 54-line block ×6, first 2 shown]
	s_or_b32 exec_lo, exec_lo, s7
	v_add_co_u32 v219, vcc_lo, v161, 30
	v_add_co_ci_u32_e64 v220, null, 0, v162, vcc_lo
	s_mov_b32 s7, exec_lo
	v_cmpx_gt_i64_e64 s[8:9], v[219:220]
	s_cbranch_execz .LBB199_210
; %bb.209:                              ;   in Loop: Header=BB199_145 Depth=1
	buffer_load_dword v33, off, s[36:39], 0 offset:16 ; 4-byte Folded Reload
	s_waitcnt vmcnt(0)
	v_add_co_u32 v219, vcc_lo, v33, v159
	buffer_load_dword v33, off, s[36:39], 0 offset:20 ; 4-byte Folded Reload
	s_waitcnt vmcnt(0)
	v_add_co_ci_u32_e64 v220, null, v33, v160, vcc_lo
	buffer_load_dword v33, off, s[36:39], 0 offset:24 ; 4-byte Folded Reload
	s_waitcnt vmcnt(0)
	v_add_co_u32 v221, vcc_lo, v33, v159
	buffer_load_dword v33, off, s[36:39], 0 offset:28 ; 4-byte Folded Reload
	s_waitcnt vmcnt(0)
	v_add_co_ci_u32_e64 v222, null, v33, v160, vcc_lo
	global_load_ushort v33, v[219:220], off
	global_load_ushort v217, v[221:222], off
	s_waitcnt vmcnt(1)
	v_lshlrev_b32_e32 v33, 16, v33
	s_waitcnt vmcnt(0)
	v_lshlrev_b32_e32 v217, 16, v217
.LBB199_210:                            ;   in Loop: Header=BB199_145 Depth=1
	s_or_b32 exec_lo, exec_lo, s7
	v_add_co_u32 v219, vcc_lo, v161, 31
	v_add_co_ci_u32_e64 v220, null, 0, v162, vcc_lo
	v_cmp_gt_i64_e32 vcc_lo, s[8:9], v[219:220]
	v_mov_b32_e32 v219, 0
	s_and_saveexec_b32 s7, vcc_lo
	s_cbranch_execz .LBB199_212
; %bb.211:                              ;   in Loop: Header=BB199_145 Depth=1
	buffer_load_dword v34, off, s[36:39], 0 ; 4-byte Folded Reload
	s_waitcnt vmcnt(0)
	v_add_co_u32 v219, vcc_lo, v34, v159
	buffer_load_dword v34, off, s[36:39], 0 offset:4 ; 4-byte Folded Reload
	s_waitcnt vmcnt(0)
	v_add_co_ci_u32_e64 v220, null, v34, v160, vcc_lo
	buffer_load_dword v34, off, s[36:39], 0 offset:8 ; 4-byte Folded Reload
	s_waitcnt vmcnt(0)
	v_add_co_u32 v221, vcc_lo, v34, v159
	buffer_load_dword v34, off, s[36:39], 0 offset:12 ; 4-byte Folded Reload
	s_waitcnt vmcnt(0)
	v_add_co_ci_u32_e64 v222, null, v34, v160, vcc_lo
	global_load_ushort v34, v[219:220], off
	global_load_ushort v219, v[221:222], off
	s_waitcnt vmcnt(1)
	v_lshlrev_b32_e32 v34, 16, v34
	s_waitcnt vmcnt(0)
	v_lshlrev_b32_e32 v219, 16, v219
.LBB199_212:                            ;   in Loop: Header=BB199_145 Depth=1
	s_or_b32 exec_lo, exec_lo, s7
	v_mul_f32_e32 v3, v202, v3
	s_waitcnt vmcnt(0)
	ds_bpermute_b32 v202, v2, v204
	s_mov_b32 s7, 0
	s_waitcnt lgkmcnt(0)
	v_fma_f32 v202, v3, v202, v203
	buffer_load_dword v3, off, s[36:39], 0 offset:236 ; 4-byte Folded Reload
	s_waitcnt vmcnt(0)
	v_mul_f32_e32 v3, v3, v4
	ds_bpermute_b32 v4, v2, v204 offset:4
	s_waitcnt lgkmcnt(0)
	v_fmac_f32_e32 v202, v3, v4
	buffer_load_dword v3, off, s[36:39], 0 offset:232 ; 4-byte Folded Reload
	ds_bpermute_b32 v4, v2, v204 offset:8
	s_waitcnt vmcnt(0)
	v_mul_f32_e32 v3, v3, v5
	v_mul_f32_e32 v5, v214, v28
	s_waitcnt lgkmcnt(0)
	v_fmac_f32_e32 v202, v3, v4
	buffer_load_dword v3, off, s[36:39], 0 offset:244 ; 4-byte Folded Reload
	ds_bpermute_b32 v4, v2, v204 offset:12
	s_waitcnt vmcnt(0)
	v_mul_f32_e32 v3, v3, v6
	ds_bpermute_b32 v6, v2, v204 offset:112
	s_waitcnt lgkmcnt(1)
	v_fmac_f32_e32 v202, v3, v4
	buffer_load_dword v3, off, s[36:39], 0 offset:240 ; 4-byte Folded Reload
	ds_bpermute_b32 v4, v2, v204 offset:16
	s_waitcnt vmcnt(0)
	v_mul_f32_e32 v3, v3, v7
	ds_bpermute_b32 v7, v2, v204 offset:120
	s_waitcnt lgkmcnt(1)
	v_fmac_f32_e32 v202, v3, v4
	buffer_load_dword v3, off, s[36:39], 0 offset:252 ; 4-byte Folded Reload
	ds_bpermute_b32 v4, v2, v204 offset:20
	s_waitcnt vmcnt(0)
	v_mul_f32_e32 v3, v3, v8
	v_mul_f32_e32 v8, v215, v31
	s_waitcnt lgkmcnt(0)
	v_fmac_f32_e32 v202, v3, v4
	buffer_load_dword v3, off, s[36:39], 0 offset:248 ; 4-byte Folded Reload
	ds_bpermute_b32 v4, v2, v204 offset:24
	s_waitcnt vmcnt(0)
	v_mul_f32_e32 v3, v3, v9
	s_waitcnt lgkmcnt(0)
	v_fmac_f32_e32 v202, v3, v4
	buffer_load_dword v3, off, s[36:39], 0 offset:260 ; 4-byte Folded Reload
	ds_bpermute_b32 v4, v2, v204 offset:28
	s_waitcnt vmcnt(0)
	;; [unrolled: 6-line block ×11, first 2 shown]
	v_mul_f32_e32 v3, v3, v19
	s_waitcnt lgkmcnt(0)
	v_fmac_f32_e32 v202, v3, v4
	ds_bpermute_b32 v4, v2, v204 offset:68
	v_mul_f32_e32 v3, v206, v20
	s_waitcnt lgkmcnt(0)
	v_fmac_f32_e32 v202, v3, v4
	ds_bpermute_b32 v4, v2, v204 offset:72
	v_mul_f32_e32 v3, v205, v21
	s_waitcnt lgkmcnt(0)
	v_fmac_f32_e32 v202, v3, v4
	ds_bpermute_b32 v4, v2, v204 offset:76
	v_mul_f32_e32 v3, v208, v22
	s_waitcnt lgkmcnt(0)
	v_fmac_f32_e32 v202, v3, v4
	ds_bpermute_b32 v4, v2, v204 offset:80
	v_mul_f32_e32 v3, v207, v23
	s_waitcnt lgkmcnt(0)
	v_fmac_f32_e32 v202, v3, v4
	ds_bpermute_b32 v4, v2, v204 offset:84
	v_mul_f32_e32 v3, v210, v24
	s_waitcnt lgkmcnt(0)
	v_fmac_f32_e32 v202, v3, v4
	ds_bpermute_b32 v4, v2, v204 offset:88
	v_mul_f32_e32 v3, v209, v25
	s_waitcnt lgkmcnt(0)
	v_fmac_f32_e32 v202, v3, v4
	ds_bpermute_b32 v4, v2, v204 offset:92
	v_mul_f32_e32 v3, v212, v26
	s_waitcnt lgkmcnt(0)
	v_fmac_f32_e32 v202, v3, v4
	ds_bpermute_b32 v3, v2, v204 offset:96
	v_mul_f32_e32 v4, v211, v27
	s_waitcnt lgkmcnt(0)
	v_fmac_f32_e32 v202, v4, v3
	ds_bpermute_b32 v3, v2, v204 offset:100
	ds_bpermute_b32 v4, v2, v204 offset:104
	s_waitcnt lgkmcnt(1)
	v_fmac_f32_e32 v202, v5, v3
	ds_bpermute_b32 v3, v2, v204 offset:108
	v_mul_f32_e32 v5, v213, v29
	s_waitcnt lgkmcnt(1)
	v_fmac_f32_e32 v202, v5, v4
	ds_bpermute_b32 v4, v2, v204 offset:116
	v_mul_f32_e32 v5, v216, v30
	;; [unrolled: 4-line block ×3, first 2 shown]
	v_fmac_f32_e32 v202, v8, v6
	v_mul_f32_e32 v6, v217, v33
	s_waitcnt lgkmcnt(1)
	v_fmac_f32_e32 v202, v5, v4
	v_mul_f32_e32 v4, v219, v34
	v_fmac_f32_e32 v202, v6, v7
	s_waitcnt lgkmcnt(0)
	v_fmac_f32_e32 v202, v4, v3
.LBB199_213:                            ;   in Loop: Header=BB199_145 Depth=1
	s_and_b32 vcc_lo, exec_lo, s7
	s_cbranch_vccz .LBB199_217
; %bb.214:                              ;   in Loop: Header=BB199_145 Depth=1
	s_load_dword s7, s[20:21], 0x0
	v_mov_b32_e32 v5, 0
	s_waitcnt lgkmcnt(0)
	s_cmp_lt_u32 s6, s7
	s_cselect_b32 s7, 12, 18
	s_add_u32 s24, s20, s7
	s_addc_u32 s25, s21, 0
	s_mov_b32 s7, exec_lo
	global_load_ushort v3, v2, s[24:25]
	s_waitcnt vmcnt(0)
	v_mad_u32_u24 v3, v223, v3, v224
	v_and_b32_e32 v3, 31, v3
	v_add_co_u32 v3, vcc_lo, v161, v3
	v_add_co_ci_u32_e64 v4, null, 0, v162, vcc_lo
	v_cmpx_gt_i64_e64 s[8:9], v[3:4]
	s_cbranch_execz .LBB199_216
; %bb.215:                              ;   in Loop: Header=BB199_145 Depth=1
	v_lshlrev_b64 v[3:4], 2, v[3:4]
	v_add_co_u32 v3, vcc_lo, s16, v3
	v_add_co_ci_u32_e64 v4, null, s17, v4, vcc_lo
	global_load_dword v5, v[3:4], off
.LBB199_216:                            ;   in Loop: Header=BB199_145 Depth=1
	s_or_b32 exec_lo, exec_lo, s7
	v_add_co_u32 v3, vcc_lo, v164, v159
	v_add_co_ci_u32_e64 v4, null, v165, v160, vcc_lo
	global_load_ushort v6, v[3:4], off
	v_add_co_u32 v3, vcc_lo, v166, v159
	v_add_co_ci_u32_e64 v4, null, v167, v160, vcc_lo
	global_load_ushort v3, v[3:4], off
	s_waitcnt vmcnt(1)
	v_lshlrev_b32_e32 v4, 16, v6
	s_waitcnt vmcnt(0)
	v_lshlrev_b32_e32 v3, 16, v3
	v_mul_f32_e32 v3, v4, v3
	ds_bpermute_b32 v4, v2, v5
	s_waitcnt lgkmcnt(0)
	v_fmac_f32_e32 v203, v3, v4
	v_add_co_u32 v3, vcc_lo, v35, v159
	v_add_co_ci_u32_e64 v4, null, v36, v160, vcc_lo
	global_load_ushort v6, v[3:4], off
	v_add_co_u32 v3, vcc_lo, v49, v159
	v_add_co_ci_u32_e64 v4, null, v50, v160, vcc_lo
	global_load_ushort v3, v[3:4], off
	s_waitcnt vmcnt(1)
	v_lshlrev_b32_e32 v4, 16, v6
	s_waitcnt vmcnt(0)
	v_lshlrev_b32_e32 v3, 16, v3
	v_mul_f32_e32 v3, v4, v3
	ds_bpermute_b32 v4, v2, v5 offset:4
	s_waitcnt lgkmcnt(0)
	v_fmac_f32_e32 v203, v3, v4
	v_add_co_u32 v3, vcc_lo, v37, v159
	v_add_co_ci_u32_e64 v4, null, v38, v160, vcc_lo
	global_load_ushort v6, v[3:4], off
	v_add_co_u32 v3, vcc_lo, v53, v159
	v_add_co_ci_u32_e64 v4, null, v54, v160, vcc_lo
	global_load_ushort v3, v[3:4], off
	s_waitcnt vmcnt(1)
	v_lshlrev_b32_e32 v4, 16, v6
	s_waitcnt vmcnt(0)
	v_lshlrev_b32_e32 v3, 16, v3
	v_mul_f32_e32 v3, v4, v3
	ds_bpermute_b32 v4, v2, v5 offset:8
	;; [unrolled: 14-line block ×31, first 2 shown]
	s_waitcnt lgkmcnt(0)
	v_fmac_f32_e32 v203, v3, v4
	v_mov_b32_e32 v202, v203
.LBB199_217:                            ;   in Loop: Header=BB199_145 Depth=1
	s_clause 0x1
	buffer_load_dword v5, off, s[36:39], 0 offset:228
	buffer_load_dword v3, off, s[36:39], 0
	v_add_co_u32 v164, vcc_lo, v164, s12
	v_add_co_ci_u32_e64 v165, null, s13, v165, vcc_lo
	v_add_co_u32 v166, vcc_lo, v166, s12
	v_add_co_ci_u32_e64 v167, null, s13, v167, vcc_lo
	;; [unrolled: 2-line block ×64, first 2 shown]
	s_add_u32 s22, s22, s1
	s_addc_u32 s23, s23, 0
	s_add_u32 s14, s14, s1
	v_cmp_ge_i64_e64 s7, s[22:23], s[8:9]
	s_addc_u32 s15, 0, s15
	s_waitcnt vmcnt(1)
	v_add_co_u32 v5, vcc_lo, v5, s1
	v_add_co_ci_u32_e64 v201, null, 0, v201, vcc_lo
	s_waitcnt vmcnt(0)
	v_add_co_u32 v3, vcc_lo, v3, s12
	buffer_store_dword v3, off, s[36:39], 0 ; 4-byte Folded Spill
	buffer_load_dword v3, off, s[36:39], 0 offset:4 ; 4-byte Folded Reload
	s_waitcnt vmcnt(0)
	v_add_co_ci_u32_e64 v3, null, s13, v3, vcc_lo
	buffer_store_dword v3, off, s[36:39], 0 offset:4 ; 4-byte Folded Spill
	buffer_load_dword v3, off, s[36:39], 0 offset:8 ; 4-byte Folded Reload
	s_waitcnt vmcnt(0)
	v_add_co_u32 v3, vcc_lo, v3, s12
	buffer_store_dword v3, off, s[36:39], 0 offset:8 ; 4-byte Folded Spill
	buffer_load_dword v3, off, s[36:39], 0 offset:12 ; 4-byte Folded Reload
	s_waitcnt vmcnt(0)
	v_add_co_ci_u32_e64 v3, null, s13, v3, vcc_lo
	buffer_store_dword v3, off, s[36:39], 0 offset:12 ; 4-byte Folded Spill
	buffer_load_dword v3, off, s[36:39], 0 offset:16 ; 4-byte Folded Reload
	s_waitcnt vmcnt(0)
	v_add_co_u32 v3, vcc_lo, v3, s12
	buffer_store_dword v3, off, s[36:39], 0 offset:16 ; 4-byte Folded Spill
	;; [unrolled: 8-line block ×27, first 2 shown]
	buffer_load_dword v3, off, s[36:39], 0 offset:220 ; 4-byte Folded Reload
	s_waitcnt vmcnt(0)
	v_add_co_ci_u32_e64 v3, null, s13, v3, vcc_lo
	buffer_store_dword v3, off, s[36:39], 0 offset:220 ; 4-byte Folded Spill
	buffer_load_dword v3, off, s[36:39], 0 offset:224 ; 4-byte Folded Reload
	s_waitcnt vmcnt(0)
	v_add_co_u32 v3, vcc_lo, v3, s12
	v_add_co_ci_u32_e64 v225, null, s13, v225, vcc_lo
	v_add_co_u32 v226, vcc_lo, v226, s12
	v_add_co_ci_u32_e64 v227, null, s13, v227, vcc_lo
	;; [unrolled: 2-line block ×34, first 2 shown]
	s_and_b32 vcc_lo, exec_lo, s7
	buffer_store_dword v3, off, s[36:39], 0 offset:224 ; 4-byte Folded Spill
	s_cbranch_vccnz .LBB199_219
; %bb.218:                              ;   in Loop: Header=BB199_145 Depth=1
	v_mov_b32_e32 v203, v202
	s_branch .LBB199_145
.LBB199_219:
	s_mov_b32 s7, 0
	s_lshl_b64 s[6:7], s[6:7], 5
	s_waitcnt lgkmcnt(0)
	s_cmp_lg_u64 s[2:3], 0
	v_or_b32_e32 v3, s6, v224
	v_mov_b32_e32 v4, s7
	s_cselect_b32 s1, -1, 0
	v_cmp_gt_i64_e32 vcc_lo, s[10:11], v[3:4]
	s_and_b32 s1, vcc_lo, s1
	s_and_saveexec_b32 s6, s1
	s_cbranch_execz .LBB199_221
; %bb.220:
	s_load_dword s1, s[4:5], 0x4c
	v_mov_b32_e32 v224, 0
	v_cmp_o_f32_e32 vcc_lo, v202, v202
	v_mov_b32_e32 v6, 0x7fc0
	s_waitcnt lgkmcnt(0)
	s_lshr_b32 s1, s1, 16
	v_mad_u64_u32 v[0:1], null, s1, s0, v[223:224]
	v_mul_lo_u32 v2, v1, s10
	v_mul_lo_u32 v5, v0, s11
	v_mad_u64_u32 v[0:1], null, v0, s10, 0
	v_add3_u32 v1, v1, v5, v2
	v_bfe_u32 v5, v202, 16, 1
	v_lshlrev_b64 v[2:3], 1, v[3:4]
	v_lshlrev_b64 v[0:1], 1, v[0:1]
	v_add3_u32 v4, v202, v5, 0x7fff
	v_cndmask_b32_sdwa v4, v6, v4, vcc_lo dst_sel:DWORD dst_unused:UNUSED_PAD src0_sel:DWORD src1_sel:WORD_1
	v_add_co_u32 v0, s0, s2, v0
	v_add_co_ci_u32_e64 v1, null, s3, v1, s0
	v_add_co_u32 v0, vcc_lo, v0, v2
	v_add_co_ci_u32_e64 v1, null, v1, v3, vcc_lo
	global_store_short v[0:1], v4, off
.LBB199_221:
	s_endpgm
	.section	.rodata,"a",@progbits
	.p2align	6, 0x0
	.amdhsa_kernel _ZN2at6native12_GLOBAL__N_135GammaBetaBackwardCUDAKernelTemplateIN3c108BFloat16EfLj32ELj1ELj32ELb1ELb0ELb1EEEvllPKT_S7_PKT0_SA_PS5_SB_
		.amdhsa_group_segment_fixed_size 0
		.amdhsa_private_segment_fixed_size 300
		.amdhsa_kernarg_size 320
		.amdhsa_user_sgpr_count 6
		.amdhsa_user_sgpr_private_segment_buffer 1
		.amdhsa_user_sgpr_dispatch_ptr 0
		.amdhsa_user_sgpr_queue_ptr 0
		.amdhsa_user_sgpr_kernarg_segment_ptr 1
		.amdhsa_user_sgpr_dispatch_id 0
		.amdhsa_user_sgpr_flat_scratch_init 0
		.amdhsa_user_sgpr_private_segment_size 0
		.amdhsa_wavefront_size32 1
		.amdhsa_uses_dynamic_stack 0
		.amdhsa_system_sgpr_private_segment_wavefront_offset 1
		.amdhsa_system_sgpr_workgroup_id_x 1
		.amdhsa_system_sgpr_workgroup_id_y 1
		.amdhsa_system_sgpr_workgroup_id_z 0
		.amdhsa_system_sgpr_workgroup_info 0
		.amdhsa_system_vgpr_workitem_id 1
		.amdhsa_next_free_vgpr 256
		.amdhsa_next_free_sgpr 40
		.amdhsa_reserve_vcc 1
		.amdhsa_reserve_flat_scratch 0
		.amdhsa_float_round_mode_32 0
		.amdhsa_float_round_mode_16_64 0
		.amdhsa_float_denorm_mode_32 3
		.amdhsa_float_denorm_mode_16_64 3
		.amdhsa_dx10_clamp 1
		.amdhsa_ieee_mode 1
		.amdhsa_fp16_overflow 0
		.amdhsa_workgroup_processor_mode 1
		.amdhsa_memory_ordered 1
		.amdhsa_forward_progress 1
		.amdhsa_shared_vgpr_count 0
		.amdhsa_exception_fp_ieee_invalid_op 0
		.amdhsa_exception_fp_denorm_src 0
		.amdhsa_exception_fp_ieee_div_zero 0
		.amdhsa_exception_fp_ieee_overflow 0
		.amdhsa_exception_fp_ieee_underflow 0
		.amdhsa_exception_fp_ieee_inexact 0
		.amdhsa_exception_int_div_zero 0
	.end_amdhsa_kernel
	.section	.text._ZN2at6native12_GLOBAL__N_135GammaBetaBackwardCUDAKernelTemplateIN3c108BFloat16EfLj32ELj1ELj32ELb1ELb0ELb1EEEvllPKT_S7_PKT0_SA_PS5_SB_,"axG",@progbits,_ZN2at6native12_GLOBAL__N_135GammaBetaBackwardCUDAKernelTemplateIN3c108BFloat16EfLj32ELj1ELj32ELb1ELb0ELb1EEEvllPKT_S7_PKT0_SA_PS5_SB_,comdat
.Lfunc_end199:
	.size	_ZN2at6native12_GLOBAL__N_135GammaBetaBackwardCUDAKernelTemplateIN3c108BFloat16EfLj32ELj1ELj32ELb1ELb0ELb1EEEvllPKT_S7_PKT0_SA_PS5_SB_, .Lfunc_end199-_ZN2at6native12_GLOBAL__N_135GammaBetaBackwardCUDAKernelTemplateIN3c108BFloat16EfLj32ELj1ELj32ELb1ELb0ELb1EEEvllPKT_S7_PKT0_SA_PS5_SB_
                                        ; -- End function
	.set _ZN2at6native12_GLOBAL__N_135GammaBetaBackwardCUDAKernelTemplateIN3c108BFloat16EfLj32ELj1ELj32ELb1ELb0ELb1EEEvllPKT_S7_PKT0_SA_PS5_SB_.num_vgpr, 256
	.set _ZN2at6native12_GLOBAL__N_135GammaBetaBackwardCUDAKernelTemplateIN3c108BFloat16EfLj32ELj1ELj32ELb1ELb0ELb1EEEvllPKT_S7_PKT0_SA_PS5_SB_.num_agpr, 0
	.set _ZN2at6native12_GLOBAL__N_135GammaBetaBackwardCUDAKernelTemplateIN3c108BFloat16EfLj32ELj1ELj32ELb1ELb0ELb1EEEvllPKT_S7_PKT0_SA_PS5_SB_.numbered_sgpr, 40
	.set _ZN2at6native12_GLOBAL__N_135GammaBetaBackwardCUDAKernelTemplateIN3c108BFloat16EfLj32ELj1ELj32ELb1ELb0ELb1EEEvllPKT_S7_PKT0_SA_PS5_SB_.num_named_barrier, 0
	.set _ZN2at6native12_GLOBAL__N_135GammaBetaBackwardCUDAKernelTemplateIN3c108BFloat16EfLj32ELj1ELj32ELb1ELb0ELb1EEEvllPKT_S7_PKT0_SA_PS5_SB_.private_seg_size, 300
	.set _ZN2at6native12_GLOBAL__N_135GammaBetaBackwardCUDAKernelTemplateIN3c108BFloat16EfLj32ELj1ELj32ELb1ELb0ELb1EEEvllPKT_S7_PKT0_SA_PS5_SB_.uses_vcc, 1
	.set _ZN2at6native12_GLOBAL__N_135GammaBetaBackwardCUDAKernelTemplateIN3c108BFloat16EfLj32ELj1ELj32ELb1ELb0ELb1EEEvllPKT_S7_PKT0_SA_PS5_SB_.uses_flat_scratch, 0
	.set _ZN2at6native12_GLOBAL__N_135GammaBetaBackwardCUDAKernelTemplateIN3c108BFloat16EfLj32ELj1ELj32ELb1ELb0ELb1EEEvllPKT_S7_PKT0_SA_PS5_SB_.has_dyn_sized_stack, 0
	.set _ZN2at6native12_GLOBAL__N_135GammaBetaBackwardCUDAKernelTemplateIN3c108BFloat16EfLj32ELj1ELj32ELb1ELb0ELb1EEEvllPKT_S7_PKT0_SA_PS5_SB_.has_recursion, 0
	.set _ZN2at6native12_GLOBAL__N_135GammaBetaBackwardCUDAKernelTemplateIN3c108BFloat16EfLj32ELj1ELj32ELb1ELb0ELb1EEEvllPKT_S7_PKT0_SA_PS5_SB_.has_indirect_call, 0
	.section	.AMDGPU.csdata,"",@progbits
; Kernel info:
; codeLenInByte = 29484
; TotalNumSgprs: 42
; NumVgprs: 256
; ScratchSize: 300
; MemoryBound: 0
; FloatMode: 240
; IeeeMode: 1
; LDSByteSize: 0 bytes/workgroup (compile time only)
; SGPRBlocks: 0
; VGPRBlocks: 31
; NumSGPRsForWavesPerEU: 42
; NumVGPRsForWavesPerEU: 256
; Occupancy: 4
; WaveLimiterHint : 0
; COMPUTE_PGM_RSRC2:SCRATCH_EN: 1
; COMPUTE_PGM_RSRC2:USER_SGPR: 6
; COMPUTE_PGM_RSRC2:TRAP_HANDLER: 0
; COMPUTE_PGM_RSRC2:TGID_X_EN: 1
; COMPUTE_PGM_RSRC2:TGID_Y_EN: 1
; COMPUTE_PGM_RSRC2:TGID_Z_EN: 0
; COMPUTE_PGM_RSRC2:TIDIG_COMP_CNT: 1
	.section	.text._ZN2at6native12_GLOBAL__N_135GammaBetaBackwardCUDAKernelTemplateIN3c108BFloat16EfLj32ELj1ELj8ELb1ELb1ELb1EEEvllPKT_S7_PKT0_SA_PS5_SB_,"axG",@progbits,_ZN2at6native12_GLOBAL__N_135GammaBetaBackwardCUDAKernelTemplateIN3c108BFloat16EfLj32ELj1ELj8ELb1ELb1ELb1EEEvllPKT_S7_PKT0_SA_PS5_SB_,comdat
	.globl	_ZN2at6native12_GLOBAL__N_135GammaBetaBackwardCUDAKernelTemplateIN3c108BFloat16EfLj32ELj1ELj8ELb1ELb1ELb1EEEvllPKT_S7_PKT0_SA_PS5_SB_ ; -- Begin function _ZN2at6native12_GLOBAL__N_135GammaBetaBackwardCUDAKernelTemplateIN3c108BFloat16EfLj32ELj1ELj8ELb1ELb1ELb1EEEvllPKT_S7_PKT0_SA_PS5_SB_
	.p2align	8
	.type	_ZN2at6native12_GLOBAL__N_135GammaBetaBackwardCUDAKernelTemplateIN3c108BFloat16EfLj32ELj1ELj8ELb1ELb1ELb1EEEvllPKT_S7_PKT0_SA_PS5_SB_,@function
_ZN2at6native12_GLOBAL__N_135GammaBetaBackwardCUDAKernelTemplateIN3c108BFloat16EfLj32ELj1ELj8ELb1ELb1ELb1EEEvllPKT_S7_PKT0_SA_PS5_SB_: ; @_ZN2at6native12_GLOBAL__N_135GammaBetaBackwardCUDAKernelTemplateIN3c108BFloat16EfLj32ELj1ELj8ELb1ELb1ELb1EEEvllPKT_S7_PKT0_SA_PS5_SB_
; %bb.0:
	s_clause 0x1
	s_load_dwordx4 s[8:11], s[4:5], 0x0
	s_load_dwordx2 s[2:3], s[4:5], 0x30
	s_lshl_b32 s16, s7, 3
	s_mov_b32 s17, 0
	v_mov_b32_e32 v12, 0
	s_waitcnt lgkmcnt(0)
	v_cmp_le_i64_e64 s0, s[8:9], s[16:17]
	s_and_b32 vcc_lo, exec_lo, s0
	s_cbranch_vccnz .LBB200_7
; %bb.1:
	s_clause 0x3
	s_load_dword s0, s[4:5], 0x4c
	s_load_dword s1, s[4:5], 0x44
	s_load_dwordx4 s[12:15], s[4:5], 0x10
	s_load_dwordx2 s[20:21], s[4:5], 0x28
	v_lshlrev_b32_e32 v4, 3, v1
	v_mov_b32_e32 v3, 0
	v_lshl_or_b32 v2, s6, 5, v0
	v_mov_b32_e32 v8, 8
	v_mov_b32_e32 v9, 4
	v_add_co_u32 v4, s18, v4, s16
	v_add_co_ci_u32_e64 v5, null, 0, 0, s18
	v_lshlrev_b64 v[16:17], 1, v[2:3]
	v_mul_lo_u32 v12, s11, v4
	v_mov_b32_e32 v10, 12
	v_mul_lo_u32 v18, s10, v5
	v_mov_b32_e32 v11, 16
	v_mov_b32_e32 v13, 20
	;; [unrolled: 1-line block ×3, first 2 shown]
	s_waitcnt lgkmcnt(0)
	s_and_b32 s0, s0, 0xffff
	s_lshl_b32 s18, s1, 3
	v_mad_u32_u24 v6, v1, s0, v0
	s_mul_i32 s1, s11, s18
	s_mul_hi_u32 s22, s10, s18
	v_mov_b32_e32 v15, 28
	s_mov_b32 s19, s17
	v_and_b32_e32 v22, 31, v6
	v_mad_u64_u32 v[6:7], null, s10, v4, 0
	s_add_i32 s23, s22, s1
	s_mul_i32 s22, s10, s18
	v_add_co_u32 v4, vcc_lo, v4, v22
	v_add_co_ci_u32_e64 v5, null, 0, v5, vcc_lo
	v_add3_u32 v7, v7, v18, v12
	v_cmp_gt_u32_e64 s0, 8, v22
	v_mov_b32_e32 v12, 0
	v_lshlrev_b64 v[18:19], 2, v[4:5]
	s_lshl_b64 s[22:23], s[22:23], 1
	v_lshlrev_b64 v[20:21], 1, v[6:7]
	s_lshl_b64 s[24:25], s[10:11], 1
	v_add_co_u32 v6, vcc_lo, s20, v18
	v_add_co_ci_u32_e64 v7, null, s21, v19, vcc_lo
	v_add_co_u32 v2, vcc_lo, v20, v16
	v_add_co_ci_u32_e64 v16, null, v21, v17, vcc_lo
	s_lshl_b64 s[20:21], s[18:19], 2
	s_branch .LBB200_4
.LBB200_2:                              ;   in Loop: Header=BB200_4 Depth=1
	s_or_b32 exec_lo, exec_lo, s19
.LBB200_3:                              ;   in Loop: Header=BB200_4 Depth=1
	s_or_b32 exec_lo, exec_lo, s1
	v_add_co_u32 v18, vcc_lo, s12, v2
	v_add_co_ci_u32_e64 v19, null, s13, v16, vcc_lo
	v_add_co_u32 v20, vcc_lo, s14, v2
	v_add_co_ci_u32_e64 v21, null, s15, v16, vcc_lo
	global_load_ushort v28, v[18:19], off
	v_add_co_u32 v18, vcc_lo, v18, s24
	v_add_co_ci_u32_e64 v19, null, s25, v19, vcc_lo
	v_add_co_u32 v22, vcc_lo, v20, s24
	v_add_co_ci_u32_e64 v23, null, s25, v21, vcc_lo
	;; [unrolled: 2-line block ×4, first 2 shown]
	global_load_ushort v29, v[20:21], off
	global_load_ushort v30, v[18:19], off
	;; [unrolled: 1-line block ×5, first 2 shown]
	v_add_co_u32 v18, vcc_lo, v24, s24
	v_add_co_ci_u32_e64 v19, null, s25, v25, vcc_lo
	v_add_co_u32 v20, vcc_lo, v26, s24
	v_add_co_ci_u32_e64 v21, null, s25, v27, vcc_lo
	global_load_ushort v34, v[18:19], off
	v_add_co_u32 v18, vcc_lo, v18, s24
	v_add_co_ci_u32_e64 v19, null, s25, v19, vcc_lo
	v_add_co_u32 v22, vcc_lo, v20, s24
	v_add_co_ci_u32_e64 v23, null, s25, v21, vcc_lo
	;; [unrolled: 2-line block ×4, first 2 shown]
	global_load_ushort v35, v[20:21], off
	global_load_ushort v36, v[18:19], off
	;; [unrolled: 1-line block ×5, first 2 shown]
	v_add_co_u32 v18, vcc_lo, v26, s24
	v_add_co_ci_u32_e64 v19, null, s25, v27, vcc_lo
	v_add_co_u32 v20, vcc_lo, v24, s24
	v_add_co_ci_u32_e64 v21, null, s25, v25, vcc_lo
	global_load_ushort v24, v[18:19], off
	v_add_co_u32 v18, vcc_lo, v18, s24
	v_add_co_ci_u32_e64 v19, null, s25, v19, vcc_lo
	v_add_co_u32 v22, vcc_lo, v20, s24
	v_add_co_ci_u32_e64 v23, null, s25, v21, vcc_lo
	global_load_ushort v20, v[20:21], off
	global_load_ushort v18, v[18:19], off
	;; [unrolled: 1-line block ×3, first 2 shown]
	s_waitcnt vmcnt(16)
	ds_bpermute_b32 v21, v3, v17
	ds_bpermute_b32 v22, v9, v17
	;; [unrolled: 1-line block ×3, first 2 shown]
	s_add_u32 s16, s16, s18
	v_add_co_u32 v6, vcc_lo, v6, s20
	s_addc_u32 s17, s17, 0
	v_add_co_ci_u32_e64 v7, null, s21, v7, vcc_lo
	v_add_co_u32 v4, vcc_lo, v4, s18
	v_cmp_lt_i64_e64 s1, s[16:17], s[8:9]
	v_add_co_ci_u32_e64 v5, null, 0, v5, vcc_lo
	v_add_co_u32 v2, vcc_lo, v2, s22
	v_add_co_ci_u32_e64 v16, null, s23, v16, vcc_lo
	s_and_b32 vcc_lo, exec_lo, s1
	s_waitcnt vmcnt(15)
	v_lshlrev_b32_e32 v25, 16, v28
	ds_bpermute_b32 v28, v10, v17
	s_waitcnt vmcnt(14)
	v_lshlrev_b32_e32 v23, 16, v29
	s_waitcnt vmcnt(12)
	v_lshlrev_b32_e32 v27, 16, v31
	;; [unrolled: 2-line block ×3, first 2 shown]
	v_mul_f32_e32 v23, v25, v23
	v_lshlrev_b32_e32 v25, 16, v30
	s_waitcnt lgkmcnt(3)
	v_fmac_f32_e32 v12, v23, v21
	v_mul_f32_e32 v21, v25, v27
	v_lshlrev_b32_e32 v23, 16, v32
	ds_bpermute_b32 v25, v11, v17
	ds_bpermute_b32 v27, v13, v17
	s_waitcnt lgkmcnt(4)
	v_fmac_f32_e32 v12, v21, v22
	v_mul_f32_e32 v21, v23, v29
	s_waitcnt vmcnt(9)
	v_lshlrev_b32_e32 v22, 16, v34
	ds_bpermute_b32 v23, v14, v17
	ds_bpermute_b32 v17, v15, v17
	s_waitcnt lgkmcnt(5)
	v_fmac_f32_e32 v12, v21, v26
	s_waitcnt vmcnt(8)
	v_lshlrev_b32_e32 v30, 16, v35
	s_waitcnt vmcnt(6)
	v_lshlrev_b32_e32 v29, 16, v37
	;; [unrolled: 2-line block ×3, first 2 shown]
	v_mul_f32_e32 v21, v22, v30
	v_lshlrev_b32_e32 v22, 16, v36
	v_lshlrev_b32_e32 v30, 16, v38
	s_waitcnt lgkmcnt(4)
	v_fmac_f32_e32 v12, v21, v28
	v_mul_f32_e32 v21, v22, v29
	s_waitcnt vmcnt(3)
	v_lshlrev_b32_e32 v22, 16, v24
	s_waitcnt lgkmcnt(3)
	v_fmac_f32_e32 v12, v21, v25
	v_mul_f32_e32 v21, v30, v26
	s_waitcnt vmcnt(2)
	v_lshlrev_b32_e32 v20, 16, v20
	s_waitcnt vmcnt(1)
	v_lshlrev_b32_e32 v18, 16, v18
	;; [unrolled: 2-line block ×3, first 2 shown]
	s_waitcnt lgkmcnt(2)
	v_fmac_f32_e32 v12, v21, v27
	v_mul_f32_e32 v20, v20, v22
	v_mul_f32_e32 v18, v19, v18
	s_waitcnt lgkmcnt(1)
	v_fmac_f32_e32 v12, v20, v23
	s_waitcnt lgkmcnt(0)
	v_fmac_f32_e32 v12, v18, v17
	s_cbranch_vccz .LBB200_7
.LBB200_4:                              ; =>This Inner Loop Header: Depth=1
	v_mov_b32_e32 v17, 0
	s_and_saveexec_b32 s1, s0
	s_cbranch_execz .LBB200_3
; %bb.5:                                ;   in Loop: Header=BB200_4 Depth=1
	v_mov_b32_e32 v17, 0
	s_mov_b32 s19, exec_lo
	v_cmpx_gt_i64_e64 s[8:9], v[4:5]
	s_cbranch_execz .LBB200_2
; %bb.6:                                ;   in Loop: Header=BB200_4 Depth=1
	global_load_dword v17, v[6:7], off
	s_branch .LBB200_2
.LBB200_7:
	s_cmp_eq_u64 s[2:3], 0
	s_cbranch_scc1 .LBB200_9
; %bb.8:
	s_load_dword s0, s[4:5], 0x4c
	v_mov_b32_e32 v2, 0
	v_lshlrev_b32_e32 v0, 1, v0
	s_waitcnt lgkmcnt(0)
	s_lshr_b32 s0, s0, 16
	v_mad_u64_u32 v[1:2], null, s0, s7, v[1:2]
	s_mov_b32 s7, 0
	s_lshl_b64 s[0:1], s[6:7], 6
	v_mul_lo_u32 v3, v2, s10
	v_mul_lo_u32 v4, v1, s11
	v_mad_u64_u32 v[1:2], null, v1, s10, 0
	v_add3_u32 v2, v2, v4, v3
	v_bfe_u32 v3, v12, 16, 1
	v_lshlrev_b64 v[1:2], 1, v[1:2]
	v_add3_u32 v3, v12, v3, 0x7fff
	v_lshrrev_b32_e32 v3, 16, v3
	v_add_co_u32 v1, vcc_lo, s2, v1
	v_add_co_ci_u32_e64 v2, null, s3, v2, vcc_lo
	v_add_co_u32 v1, vcc_lo, v1, s0
	v_add_co_ci_u32_e64 v2, null, s1, v2, vcc_lo
	v_cmp_o_f32_e32 vcc_lo, v12, v12
	v_cndmask_b32_e32 v3, 0x7fc0, v3, vcc_lo
	v_add_co_u32 v0, vcc_lo, v1, v0
	v_add_co_ci_u32_e64 v1, null, 0, v2, vcc_lo
	global_store_short v[0:1], v3, off
.LBB200_9:
	s_endpgm
	.section	.rodata,"a",@progbits
	.p2align	6, 0x0
	.amdhsa_kernel _ZN2at6native12_GLOBAL__N_135GammaBetaBackwardCUDAKernelTemplateIN3c108BFloat16EfLj32ELj1ELj8ELb1ELb1ELb1EEEvllPKT_S7_PKT0_SA_PS5_SB_
		.amdhsa_group_segment_fixed_size 0
		.amdhsa_private_segment_fixed_size 0
		.amdhsa_kernarg_size 320
		.amdhsa_user_sgpr_count 6
		.amdhsa_user_sgpr_private_segment_buffer 1
		.amdhsa_user_sgpr_dispatch_ptr 0
		.amdhsa_user_sgpr_queue_ptr 0
		.amdhsa_user_sgpr_kernarg_segment_ptr 1
		.amdhsa_user_sgpr_dispatch_id 0
		.amdhsa_user_sgpr_flat_scratch_init 0
		.amdhsa_user_sgpr_private_segment_size 0
		.amdhsa_wavefront_size32 1
		.amdhsa_uses_dynamic_stack 0
		.amdhsa_system_sgpr_private_segment_wavefront_offset 0
		.amdhsa_system_sgpr_workgroup_id_x 1
		.amdhsa_system_sgpr_workgroup_id_y 1
		.amdhsa_system_sgpr_workgroup_id_z 0
		.amdhsa_system_sgpr_workgroup_info 0
		.amdhsa_system_vgpr_workitem_id 1
		.amdhsa_next_free_vgpr 40
		.amdhsa_next_free_sgpr 26
		.amdhsa_reserve_vcc 1
		.amdhsa_reserve_flat_scratch 0
		.amdhsa_float_round_mode_32 0
		.amdhsa_float_round_mode_16_64 0
		.amdhsa_float_denorm_mode_32 3
		.amdhsa_float_denorm_mode_16_64 3
		.amdhsa_dx10_clamp 1
		.amdhsa_ieee_mode 1
		.amdhsa_fp16_overflow 0
		.amdhsa_workgroup_processor_mode 1
		.amdhsa_memory_ordered 1
		.amdhsa_forward_progress 1
		.amdhsa_shared_vgpr_count 0
		.amdhsa_exception_fp_ieee_invalid_op 0
		.amdhsa_exception_fp_denorm_src 0
		.amdhsa_exception_fp_ieee_div_zero 0
		.amdhsa_exception_fp_ieee_overflow 0
		.amdhsa_exception_fp_ieee_underflow 0
		.amdhsa_exception_fp_ieee_inexact 0
		.amdhsa_exception_int_div_zero 0
	.end_amdhsa_kernel
	.section	.text._ZN2at6native12_GLOBAL__N_135GammaBetaBackwardCUDAKernelTemplateIN3c108BFloat16EfLj32ELj1ELj8ELb1ELb1ELb1EEEvllPKT_S7_PKT0_SA_PS5_SB_,"axG",@progbits,_ZN2at6native12_GLOBAL__N_135GammaBetaBackwardCUDAKernelTemplateIN3c108BFloat16EfLj32ELj1ELj8ELb1ELb1ELb1EEEvllPKT_S7_PKT0_SA_PS5_SB_,comdat
.Lfunc_end200:
	.size	_ZN2at6native12_GLOBAL__N_135GammaBetaBackwardCUDAKernelTemplateIN3c108BFloat16EfLj32ELj1ELj8ELb1ELb1ELb1EEEvllPKT_S7_PKT0_SA_PS5_SB_, .Lfunc_end200-_ZN2at6native12_GLOBAL__N_135GammaBetaBackwardCUDAKernelTemplateIN3c108BFloat16EfLj32ELj1ELj8ELb1ELb1ELb1EEEvllPKT_S7_PKT0_SA_PS5_SB_
                                        ; -- End function
	.set _ZN2at6native12_GLOBAL__N_135GammaBetaBackwardCUDAKernelTemplateIN3c108BFloat16EfLj32ELj1ELj8ELb1ELb1ELb1EEEvllPKT_S7_PKT0_SA_PS5_SB_.num_vgpr, 40
	.set _ZN2at6native12_GLOBAL__N_135GammaBetaBackwardCUDAKernelTemplateIN3c108BFloat16EfLj32ELj1ELj8ELb1ELb1ELb1EEEvllPKT_S7_PKT0_SA_PS5_SB_.num_agpr, 0
	.set _ZN2at6native12_GLOBAL__N_135GammaBetaBackwardCUDAKernelTemplateIN3c108BFloat16EfLj32ELj1ELj8ELb1ELb1ELb1EEEvllPKT_S7_PKT0_SA_PS5_SB_.numbered_sgpr, 26
	.set _ZN2at6native12_GLOBAL__N_135GammaBetaBackwardCUDAKernelTemplateIN3c108BFloat16EfLj32ELj1ELj8ELb1ELb1ELb1EEEvllPKT_S7_PKT0_SA_PS5_SB_.num_named_barrier, 0
	.set _ZN2at6native12_GLOBAL__N_135GammaBetaBackwardCUDAKernelTemplateIN3c108BFloat16EfLj32ELj1ELj8ELb1ELb1ELb1EEEvllPKT_S7_PKT0_SA_PS5_SB_.private_seg_size, 0
	.set _ZN2at6native12_GLOBAL__N_135GammaBetaBackwardCUDAKernelTemplateIN3c108BFloat16EfLj32ELj1ELj8ELb1ELb1ELb1EEEvllPKT_S7_PKT0_SA_PS5_SB_.uses_vcc, 1
	.set _ZN2at6native12_GLOBAL__N_135GammaBetaBackwardCUDAKernelTemplateIN3c108BFloat16EfLj32ELj1ELj8ELb1ELb1ELb1EEEvllPKT_S7_PKT0_SA_PS5_SB_.uses_flat_scratch, 0
	.set _ZN2at6native12_GLOBAL__N_135GammaBetaBackwardCUDAKernelTemplateIN3c108BFloat16EfLj32ELj1ELj8ELb1ELb1ELb1EEEvllPKT_S7_PKT0_SA_PS5_SB_.has_dyn_sized_stack, 0
	.set _ZN2at6native12_GLOBAL__N_135GammaBetaBackwardCUDAKernelTemplateIN3c108BFloat16EfLj32ELj1ELj8ELb1ELb1ELb1EEEvllPKT_S7_PKT0_SA_PS5_SB_.has_recursion, 0
	.set _ZN2at6native12_GLOBAL__N_135GammaBetaBackwardCUDAKernelTemplateIN3c108BFloat16EfLj32ELj1ELj8ELb1ELb1ELb1EEEvllPKT_S7_PKT0_SA_PS5_SB_.has_indirect_call, 0
	.section	.AMDGPU.csdata,"",@progbits
; Kernel info:
; codeLenInByte = 1296
; TotalNumSgprs: 28
; NumVgprs: 40
; ScratchSize: 0
; MemoryBound: 0
; FloatMode: 240
; IeeeMode: 1
; LDSByteSize: 0 bytes/workgroup (compile time only)
; SGPRBlocks: 0
; VGPRBlocks: 4
; NumSGPRsForWavesPerEU: 28
; NumVGPRsForWavesPerEU: 40
; Occupancy: 16
; WaveLimiterHint : 0
; COMPUTE_PGM_RSRC2:SCRATCH_EN: 0
; COMPUTE_PGM_RSRC2:USER_SGPR: 6
; COMPUTE_PGM_RSRC2:TRAP_HANDLER: 0
; COMPUTE_PGM_RSRC2:TGID_X_EN: 1
; COMPUTE_PGM_RSRC2:TGID_Y_EN: 1
; COMPUTE_PGM_RSRC2:TGID_Z_EN: 0
; COMPUTE_PGM_RSRC2:TIDIG_COMP_CNT: 1
	.section	.text._ZN2at6native12_GLOBAL__N_135GammaBetaBackwardCUDAKernelTemplateIN3c108BFloat16EfLj32ELj1ELj8ELb1ELb0ELb1EEEvllPKT_S7_PKT0_SA_PS5_SB_,"axG",@progbits,_ZN2at6native12_GLOBAL__N_135GammaBetaBackwardCUDAKernelTemplateIN3c108BFloat16EfLj32ELj1ELj8ELb1ELb0ELb1EEEvllPKT_S7_PKT0_SA_PS5_SB_,comdat
	.globl	_ZN2at6native12_GLOBAL__N_135GammaBetaBackwardCUDAKernelTemplateIN3c108BFloat16EfLj32ELj1ELj8ELb1ELb0ELb1EEEvllPKT_S7_PKT0_SA_PS5_SB_ ; -- Begin function _ZN2at6native12_GLOBAL__N_135GammaBetaBackwardCUDAKernelTemplateIN3c108BFloat16EfLj32ELj1ELj8ELb1ELb0ELb1EEEvllPKT_S7_PKT0_SA_PS5_SB_
	.p2align	8
	.type	_ZN2at6native12_GLOBAL__N_135GammaBetaBackwardCUDAKernelTemplateIN3c108BFloat16EfLj32ELj1ELj8ELb1ELb0ELb1EEEvllPKT_S7_PKT0_SA_PS5_SB_,@function
_ZN2at6native12_GLOBAL__N_135GammaBetaBackwardCUDAKernelTemplateIN3c108BFloat16EfLj32ELj1ELj8ELb1ELb0ELb1EEEvllPKT_S7_PKT0_SA_PS5_SB_: ; @_ZN2at6native12_GLOBAL__N_135GammaBetaBackwardCUDAKernelTemplateIN3c108BFloat16EfLj32ELj1ELj8ELb1ELb0ELb1EEEvllPKT_S7_PKT0_SA_PS5_SB_
; %bb.0:
	s_clause 0x1
	s_load_dwordx8 s[8:15], s[4:5], 0x0
	s_load_dwordx2 s[16:17], s[4:5], 0x28
	s_mov_b32 s0, s7
	s_lshl_b32 s7, s6, 5
	s_mov_b32 s19, 0
	s_or_b32 s18, s7, 31
	s_waitcnt lgkmcnt(0)
	v_cmp_le_i64_e64 s1, s[10:11], s[18:19]
	s_lshl_b32 s18, s0, 3
	v_cmp_gt_i64_e64 s26, s[8:9], s[18:19]
	s_and_b32 vcc_lo, exec_lo, s1
	v_cndmask_b32_e64 v2, 0, 1, s26
	v_cmp_ne_u32_e64 s1, 1, v2
	s_cbranch_vccz .LBB201_49
; %bb.1:
	v_mov_b32_e32 v86, 0
	s_and_b32 vcc_lo, exec_lo, s1
	s_cbranch_vccnz .LBB201_50
; %bb.2:
	v_lshlrev_b32_e32 v23, 3, v1
	v_mov_b32_e32 v2, 0
	v_add_nc_u32_e32 v3, s7, v0
	s_load_dword s2, s[4:5], 0x44
	s_add_u32 s20, s4, 64
	v_add_co_u32 v11, s1, v23, s18
	v_add_co_ci_u32_e64 v12, null, 0, 0, s1
	v_mov_b32_e32 v4, v2
	v_mul_lo_u32 v7, s11, v11
	v_mad_u64_u32 v[5:6], null, s10, v11, 0
	v_mul_lo_u32 v8, s10, v12
	v_cmp_gt_i64_e64 s1, s[10:11], v[3:4]
	v_lshlrev_b64 v[19:20], 1, v[3:4]
	s_addc_u32 s21, s5, 0
	v_mov_b32_e32 v24, v2
	v_mov_b32_e32 v57, 0
	s_mov_b64 s[24:25], s[18:19]
	v_add3_u32 v6, v6, v8, v7
	v_add_co_u32 v7, vcc_lo, v11, 7
	v_add_co_ci_u32_e64 v8, null, 0, v12, vcc_lo
	v_add_co_u32 v9, vcc_lo, v11, 6
	v_add_co_ci_u32_e64 v10, null, 0, v12, vcc_lo
	v_lshlrev_b64 v[3:4], 1, v[5:6]
	v_mul_lo_u32 v13, s11, v7
	v_mul_lo_u32 v14, s10, v8
	v_mad_u64_u32 v[7:8], null, s10, v7, 0
	v_mul_lo_u32 v15, s11, v9
	v_mul_lo_u32 v16, s10, v10
	v_mad_u64_u32 v[9:10], null, s10, v9, 0
	v_add_co_u32 v25, vcc_lo, s12, v3
	v_add_co_ci_u32_e64 v26, null, s13, v4, vcc_lo
	v_add_co_u32 v27, vcc_lo, s14, v3
	v_add3_u32 v8, v8, v14, v13
	v_add_co_ci_u32_e64 v28, null, s15, v4, vcc_lo
	v_add_co_u32 v13, vcc_lo, v11, 5
	v_add3_u32 v10, v10, v16, v15
	v_add_co_ci_u32_e64 v14, null, 0, v12, vcc_lo
	v_lshlrev_b64 v[3:4], 1, v[7:8]
	v_mul_lo_u32 v15, s11, v13
	v_lshlrev_b64 v[7:8], 1, v[9:10]
	v_mul_lo_u32 v14, s10, v14
	v_mad_u64_u32 v[9:10], null, s10, v13, 0
	v_add_co_u32 v29, vcc_lo, s12, v3
	v_add_co_ci_u32_e64 v30, null, s13, v4, vcc_lo
	v_add_co_u32 v31, vcc_lo, s14, v3
	s_waitcnt lgkmcnt(0)
	s_lshl_b32 s27, s2, 3
	v_add_co_ci_u32_e64 v32, null, s15, v4, vcc_lo
	v_add_co_u32 v33, vcc_lo, s12, v7
	v_add3_u32 v10, v10, v14, v15
	s_mul_i32 s2, s11, s27
	s_mul_hi_u32 s3, s10, s27
	v_add_co_ci_u32_e64 v34, null, s13, v8, vcc_lo
	v_add_co_u32 v13, vcc_lo, v11, 4
	s_add_i32 s23, s3, s2
	v_add_co_u32 v35, s2, s14, v7
	v_add_co_ci_u32_e64 v7, null, 0, v12, vcc_lo
	v_lshlrev_b64 v[3:4], 1, v[9:10]
	v_add_co_u32 v9, vcc_lo, v11, 3
	v_add_co_ci_u32_e64 v10, null, 0, v12, vcc_lo
	v_add_co_ci_u32_e64 v36, null, s15, v8, s2
	v_mul_lo_u32 v14, s11, v13
	v_mul_lo_u32 v15, s10, v7
	v_mad_u64_u32 v[7:8], null, s10, v13, 0
	v_mul_lo_u32 v13, s11, v9
	v_mul_lo_u32 v16, s10, v10
	v_mad_u64_u32 v[9:10], null, s10, v9, 0
	v_add_co_u32 v37, vcc_lo, s12, v3
	v_add_co_ci_u32_e64 v38, null, s13, v4, vcc_lo
	v_add3_u32 v8, v8, v15, v14
	v_add_co_u32 v39, vcc_lo, s14, v3
	v_add_co_ci_u32_e64 v40, null, s15, v4, vcc_lo
	v_add_co_u32 v11, vcc_lo, v11, 2
	v_add3_u32 v10, v10, v16, v13
	v_add_co_ci_u32_e64 v12, null, 0, v12, vcc_lo
	v_lshlrev_b64 v[3:4], 1, v[7:8]
	v_mul_lo_u32 v13, s11, v11
	v_lshlrev_b64 v[7:8], 1, v[9:10]
	v_mul_lo_u32 v12, s10, v12
	v_mad_u64_u32 v[9:10], null, s10, v11, 0
	v_add_co_u32 v41, vcc_lo, s12, v3
	v_add_co_ci_u32_e64 v42, null, s13, v4, vcc_lo
	v_add_co_u32 v43, vcc_lo, s14, v3
	v_add_co_ci_u32_e64 v44, null, s15, v4, vcc_lo
	;; [unrolled: 2-line block ×3, first 2 shown]
	v_add3_u32 v10, v10, v12, v13
	v_add_co_u32 v47, vcc_lo, s14, v7
	v_add_co_ci_u32_e64 v48, null, s15, v8, vcc_lo
	v_add_co_u32 v5, vcc_lo, v5, s10
	v_add_co_ci_u32_e64 v6, null, s11, v6, vcc_lo
	v_lshlrev_b64 v[3:4], 1, v[9:10]
	s_mul_i32 s22, s10, s27
	v_lshlrev_b64 v[5:6], 1, v[5:6]
	s_lshl_b64 s[2:3], s[22:23], 1
	s_mov_b64 s[22:23], 7
	v_add_co_u32 v49, vcc_lo, s12, v3
	v_add_co_ci_u32_e64 v50, null, s13, v4, vcc_lo
	v_add_co_u32 v51, vcc_lo, s14, v3
	v_add_co_ci_u32_e64 v52, null, s15, v4, vcc_lo
	v_add_co_u32 v53, vcc_lo, s12, v5
	v_add_co_ci_u32_e64 v54, null, s13, v6, vcc_lo
	v_add_co_u32 v55, vcc_lo, s14, v5
	v_add_co_ci_u32_e64 v56, null, s15, v6, vcc_lo
.LBB201_3:                              ; =>This Inner Loop Header: Depth=1
	s_add_u32 s28, s18, s22
	s_addc_u32 s29, 0, s23
	v_add_co_u32 v21, vcc_lo, s18, v23
	v_cmp_ge_i64_e64 s28, s[28:29], s[8:9]
	v_add_co_ci_u32_e64 v22, null, 0, v24, vcc_lo
                                        ; implicit-def: $vgpr3_vgpr4_vgpr5_vgpr6_vgpr7_vgpr8_vgpr9_vgpr10
                                        ; implicit-def: $vgpr86
                                        ; implicit-def: $vgpr11_vgpr12_vgpr13_vgpr14_vgpr15_vgpr16_vgpr17_vgpr18
                                        ; implicit-def: $vgpr3
	s_and_b32 vcc_lo, exec_lo, s28
	s_mov_b32 s28, -1
	s_cbranch_vccz .LBB201_25
; %bb.4:                                ;   in Loop: Header=BB201_3 Depth=1
	s_load_dword s28, s[20:21], 0xc
	v_mov_b32_e32 v58, 0
	s_waitcnt lgkmcnt(0)
	s_and_b32 s28, s28, 0xffff
	v_mad_u32_u24 v3, v1, s28, v0
	s_mov_b32 s28, exec_lo
	v_and_b32_e32 v3, 31, v3
	v_cmpx_gt_u32_e32 8, v3
	s_cbranch_execz .LBB201_8
; %bb.5:                                ;   in Loop: Header=BB201_3 Depth=1
	v_add_co_u32 v3, vcc_lo, v21, v3
	v_add_co_ci_u32_e64 v4, null, 0, v22, vcc_lo
	v_mov_b32_e32 v58, 0
	s_mov_b32 s29, exec_lo
	v_cmpx_gt_i64_e64 s[8:9], v[3:4]
	s_cbranch_execz .LBB201_7
; %bb.6:                                ;   in Loop: Header=BB201_3 Depth=1
	v_lshlrev_b64 v[3:4], 2, v[3:4]
	v_add_co_u32 v3, vcc_lo, s16, v3
	v_add_co_ci_u32_e64 v4, null, s17, v4, vcc_lo
	global_load_dword v58, v[3:4], off
.LBB201_7:                              ;   in Loop: Header=BB201_3 Depth=1
	s_or_b32 exec_lo, exec_lo, s29
.LBB201_8:                              ;   in Loop: Header=BB201_3 Depth=1
	s_or_b32 exec_lo, exec_lo, s28
	v_mov_b32_e32 v9, v2
	v_mov_b32_e32 v3, v2
	;; [unrolled: 1-line block ×7, first 2 shown]
	v_cmp_gt_i64_e32 vcc_lo, s[8:9], v[21:22]
	v_mov_b32_e32 v18, v9
	v_mov_b32_e32 v15, v6
	;; [unrolled: 1-line block ×16, first 2 shown]
	s_and_b32 s29, s1, vcc_lo
	s_and_saveexec_b32 s28, s29
	s_cbranch_execz .LBB201_10
; %bb.9:                                ;   in Loop: Header=BB201_3 Depth=1
	v_add_co_u32 v3, vcc_lo, v25, v19
	v_add_co_ci_u32_e64 v4, null, v26, v20, vcc_lo
	v_add_co_u32 v5, vcc_lo, v27, v19
	v_add_co_ci_u32_e64 v6, null, v28, v20, vcc_lo
	global_load_ushort v3, v[3:4], off
	global_load_ushort v11, v[5:6], off
	v_mov_b32_e32 v4, v2
	v_mov_b32_e32 v5, v2
	;; [unrolled: 1-line block ×14, first 2 shown]
	s_waitcnt vmcnt(1)
	v_lshlrev_b32_e32 v3, 16, v3
	s_waitcnt vmcnt(0)
	v_lshlrev_b32_e32 v11, 16, v11
.LBB201_10:                             ;   in Loop: Header=BB201_3 Depth=1
	s_or_b32 exec_lo, exec_lo, s28
	v_add_co_u32 v59, vcc_lo, v21, 1
	v_add_co_ci_u32_e64 v60, null, 0, v22, vcc_lo
	v_cmp_gt_i64_e32 vcc_lo, s[8:9], v[59:60]
	s_and_b32 s29, s1, vcc_lo
	s_and_saveexec_b32 s28, s29
	s_cbranch_execz .LBB201_12
; %bb.11:                               ;   in Loop: Header=BB201_3 Depth=1
	v_add_co_u32 v59, vcc_lo, v53, v19
	v_add_co_ci_u32_e64 v60, null, v54, v20, vcc_lo
	v_add_co_u32 v61, vcc_lo, v55, v19
	v_add_co_ci_u32_e64 v62, null, v56, v20, vcc_lo
	global_load_ushort v4, v[59:60], off
	global_load_ushort v12, v[61:62], off
	s_waitcnt vmcnt(1)
	v_lshlrev_b32_e32 v4, 16, v4
	s_waitcnt vmcnt(0)
	v_lshlrev_b32_e32 v12, 16, v12
.LBB201_12:                             ;   in Loop: Header=BB201_3 Depth=1
	s_or_b32 exec_lo, exec_lo, s28
	v_add_co_u32 v59, vcc_lo, v21, 2
	v_add_co_ci_u32_e64 v60, null, 0, v22, vcc_lo
	v_cmp_gt_i64_e32 vcc_lo, s[8:9], v[59:60]
	s_and_b32 s29, s1, vcc_lo
	s_and_saveexec_b32 s28, s29
	s_cbranch_execz .LBB201_14
; %bb.13:                               ;   in Loop: Header=BB201_3 Depth=1
	v_add_co_u32 v59, vcc_lo, v49, v19
	v_add_co_ci_u32_e64 v60, null, v50, v20, vcc_lo
	v_add_co_u32 v61, vcc_lo, v51, v19
	v_add_co_ci_u32_e64 v62, null, v52, v20, vcc_lo
	global_load_ushort v5, v[59:60], off
	global_load_ushort v13, v[61:62], off
	s_waitcnt vmcnt(1)
	v_lshlrev_b32_e32 v5, 16, v5
	s_waitcnt vmcnt(0)
	v_lshlrev_b32_e32 v13, 16, v13
.LBB201_14:                             ;   in Loop: Header=BB201_3 Depth=1
	;; [unrolled: 19-line block ×7, first 2 shown]
	s_or_b32 exec_lo, exec_lo, s28
	s_waitcnt vmcnt(0)
	ds_bpermute_b32 v59, v2, v58
	ds_bpermute_b32 v60, v2, v58 offset:4
	ds_bpermute_b32 v61, v2, v58 offset:8
	v_mul_f32_e32 v3, v11, v3
	ds_bpermute_b32 v11, v2, v58 offset:12
	v_mul_f32_e32 v4, v12, v4
	;; [unrolled: 2-line block ×3, first 2 shown]
	s_mov_b32 s28, 0
	s_waitcnt lgkmcnt(4)
	v_fma_f32 v86, v3, v59, v57
	v_mul_f32_e32 v3, v13, v5
	ds_bpermute_b32 v5, v2, v58 offset:20
	s_waitcnt lgkmcnt(4)
	v_fmac_f32_e32 v86, v4, v60
	v_mul_f32_e32 v4, v14, v6
	ds_bpermute_b32 v6, v2, v58 offset:24
	s_waitcnt lgkmcnt(4)
	v_fmac_f32_e32 v86, v3, v61
	ds_bpermute_b32 v3, v2, v58 offset:28
	s_waitcnt lgkmcnt(4)
	v_fmac_f32_e32 v86, v4, v11
	v_mul_f32_e32 v4, v16, v8
	s_waitcnt lgkmcnt(3)
	v_fmac_f32_e32 v86, v7, v12
	s_waitcnt lgkmcnt(2)
	v_fmac_f32_e32 v86, v4, v5
	v_mul_f32_e32 v4, v17, v9
	s_waitcnt lgkmcnt(1)
	v_fmac_f32_e32 v86, v4, v6
.LBB201_25:                             ;   in Loop: Header=BB201_3 Depth=1
	s_and_b32 vcc_lo, exec_lo, s28
	s_cbranch_vccz .LBB201_40
; %bb.26:                               ;   in Loop: Header=BB201_3 Depth=1
	s_load_dword s28, s[20:21], 0x0
	v_mov_b32_e32 v58, 0
	s_waitcnt lgkmcnt(0)
	s_cmp_lt_u32 s6, s28
	s_cselect_b32 s28, 12, 18
	s_add_u32 s28, s20, s28
	s_addc_u32 s29, s21, 0
	global_load_ushort v3, v2, s[28:29]
	s_mov_b32 s28, exec_lo
	s_waitcnt vmcnt(0)
	v_mad_u32_u24 v3, v1, v3, v0
	v_and_b32_e32 v3, 31, v3
	v_cmpx_gt_u32_e32 8, v3
	s_cbranch_execz .LBB201_30
; %bb.27:                               ;   in Loop: Header=BB201_3 Depth=1
	v_add_co_u32 v3, vcc_lo, v21, v3
	v_add_co_ci_u32_e64 v4, null, 0, v22, vcc_lo
	v_mov_b32_e32 v58, 0
	s_mov_b32 s29, exec_lo
	v_cmpx_gt_i64_e64 s[8:9], v[3:4]
	s_cbranch_execz .LBB201_29
; %bb.28:                               ;   in Loop: Header=BB201_3 Depth=1
	v_lshlrev_b64 v[3:4], 2, v[3:4]
	v_add_co_u32 v3, vcc_lo, s16, v3
	v_add_co_ci_u32_e64 v4, null, s17, v4, vcc_lo
	global_load_dword v58, v[3:4], off
.LBB201_29:                             ;   in Loop: Header=BB201_3 Depth=1
	s_or_b32 exec_lo, exec_lo, s29
.LBB201_30:                             ;   in Loop: Header=BB201_3 Depth=1
	s_or_b32 exec_lo, exec_lo, s28
	v_mov_b32_e32 v9, v2
	v_mov_b32_e32 v3, v2
	;; [unrolled: 1-line block ×23, first 2 shown]
	s_and_saveexec_b32 s28, s1
	s_cbranch_execnz .LBB201_42
; %bb.31:                               ;   in Loop: Header=BB201_3 Depth=1
	s_or_b32 exec_lo, exec_lo, s28
	s_and_saveexec_b32 s28, s1
	s_cbranch_execnz .LBB201_43
.LBB201_32:                             ;   in Loop: Header=BB201_3 Depth=1
	s_or_b32 exec_lo, exec_lo, s28
	s_and_saveexec_b32 s28, s1
	s_cbranch_execnz .LBB201_44
.LBB201_33:                             ;   in Loop: Header=BB201_3 Depth=1
	s_or_b32 exec_lo, exec_lo, s28
	s_and_saveexec_b32 s28, s1
	s_cbranch_execnz .LBB201_45
.LBB201_34:                             ;   in Loop: Header=BB201_3 Depth=1
	s_or_b32 exec_lo, exec_lo, s28
	s_and_saveexec_b32 s28, s1
	s_cbranch_execnz .LBB201_46
.LBB201_35:                             ;   in Loop: Header=BB201_3 Depth=1
	s_or_b32 exec_lo, exec_lo, s28
	s_and_saveexec_b32 s28, s1
	s_cbranch_execnz .LBB201_47
.LBB201_36:                             ;   in Loop: Header=BB201_3 Depth=1
	s_or_b32 exec_lo, exec_lo, s28
	s_and_saveexec_b32 s28, s1
	s_cbranch_execnz .LBB201_48
.LBB201_37:                             ;   in Loop: Header=BB201_3 Depth=1
	s_or_b32 exec_lo, exec_lo, s28
	s_and_saveexec_b32 s28, s1
	s_cbranch_execz .LBB201_39
.LBB201_38:                             ;   in Loop: Header=BB201_3 Depth=1
	v_add_co_u32 v21, vcc_lo, v29, v19
	v_add_co_ci_u32_e64 v22, null, v30, v20, vcc_lo
	v_add_co_u32 v59, vcc_lo, v31, v19
	v_add_co_ci_u32_e64 v60, null, v32, v20, vcc_lo
	global_load_ushort v10, v[21:22], off
	global_load_ushort v18, v[59:60], off
	s_waitcnt vmcnt(1)
	v_lshlrev_b32_e32 v10, 16, v10
	s_waitcnt vmcnt(0)
	v_lshlrev_b32_e32 v18, 16, v18
.LBB201_39:                             ;   in Loop: Header=BB201_3 Depth=1
	s_or_b32 exec_lo, exec_lo, s28
	s_waitcnt vmcnt(0)
	ds_bpermute_b32 v21, v2, v58
	ds_bpermute_b32 v22, v2, v58 offset:4
	ds_bpermute_b32 v59, v2, v58 offset:8
	v_mul_f32_e32 v3, v11, v3
	ds_bpermute_b32 v11, v2, v58 offset:12
	v_mul_f32_e32 v4, v12, v4
	ds_bpermute_b32 v12, v2, v58 offset:16
	s_waitcnt lgkmcnt(4)
	v_fmac_f32_e32 v57, v3, v21
	v_mul_f32_e32 v3, v13, v5
	ds_bpermute_b32 v5, v2, v58 offset:20
	s_waitcnt lgkmcnt(4)
	v_fmac_f32_e32 v57, v4, v22
	;; [unrolled: 4-line block ×3, first 2 shown]
	v_mul_f32_e32 v3, v15, v7
	s_waitcnt lgkmcnt(3)
	v_fmac_f32_e32 v57, v4, v11
	v_mul_f32_e32 v4, v16, v8
	s_waitcnt lgkmcnt(2)
	v_fmac_f32_e32 v57, v3, v12
	ds_bpermute_b32 v3, v2, v58 offset:28
	s_waitcnt lgkmcnt(2)
	v_fmac_f32_e32 v57, v4, v5
	v_mul_f32_e32 v4, v17, v9
	s_waitcnt lgkmcnt(1)
	v_fmac_f32_e32 v57, v4, v6
	v_mov_b32_e32 v86, v57
.LBB201_40:                             ;   in Loop: Header=BB201_3 Depth=1
	v_add_co_u32 v25, vcc_lo, v25, s2
	v_add_co_ci_u32_e64 v26, null, s3, v26, vcc_lo
	v_add_co_u32 v27, vcc_lo, v27, s2
	v_add_co_ci_u32_e64 v28, null, s3, v28, vcc_lo
	;; [unrolled: 2-line block ×13, first 2 shown]
	v_add_co_u32 v51, vcc_lo, v51, s2
	s_add_u32 s24, s24, s27
	v_add_co_ci_u32_e64 v52, null, s3, v52, vcc_lo
	v_add_co_u32 v53, vcc_lo, v53, s2
	v_mul_f32_e32 v4, v10, v18
	s_addc_u32 s25, s25, 0
	v_add_co_ci_u32_e64 v54, null, s3, v54, vcc_lo
	v_add_co_u32 v55, vcc_lo, v55, s2
	v_cmp_lt_i64_e64 s28, s[24:25], s[8:9]
	v_add_co_ci_u32_e64 v56, null, s3, v56, vcc_lo
	v_add_co_u32 v23, vcc_lo, v23, s27
	s_waitcnt lgkmcnt(0)
	v_fmac_f32_e32 v86, v4, v3
	v_add_co_ci_u32_e64 v24, null, 0, v24, vcc_lo
	s_add_u32 s22, s22, s27
	s_addc_u32 s23, 0, s23
	s_and_b32 vcc_lo, exec_lo, s28
	s_cbranch_vccz .LBB201_50
; %bb.41:                               ;   in Loop: Header=BB201_3 Depth=1
	v_mov_b32_e32 v57, v86
	s_branch .LBB201_3
.LBB201_42:                             ;   in Loop: Header=BB201_3 Depth=1
	v_add_co_u32 v3, vcc_lo, v25, v19
	v_add_co_ci_u32_e64 v4, null, v26, v20, vcc_lo
	v_add_co_u32 v5, vcc_lo, v27, v19
	v_add_co_ci_u32_e64 v6, null, v28, v20, vcc_lo
	global_load_ushort v3, v[3:4], off
	global_load_ushort v11, v[5:6], off
	v_mov_b32_e32 v4, v2
	v_mov_b32_e32 v5, v2
	v_mov_b32_e32 v6, v2
	v_mov_b32_e32 v7, v2
	v_mov_b32_e32 v8, v2
	v_mov_b32_e32 v9, v2
	v_mov_b32_e32 v10, v2
	v_mov_b32_e32 v12, v2
	v_mov_b32_e32 v13, v2
	v_mov_b32_e32 v14, v2
	v_mov_b32_e32 v15, v2
	v_mov_b32_e32 v16, v2
	v_mov_b32_e32 v17, v2
	v_mov_b32_e32 v18, v2
	s_waitcnt vmcnt(1)
	v_lshlrev_b32_e32 v3, 16, v3
	s_waitcnt vmcnt(0)
	v_lshlrev_b32_e32 v11, 16, v11
	s_or_b32 exec_lo, exec_lo, s28
	s_and_saveexec_b32 s28, s1
	s_cbranch_execz .LBB201_32
.LBB201_43:                             ;   in Loop: Header=BB201_3 Depth=1
	v_add_co_u32 v21, vcc_lo, v53, v19
	v_add_co_ci_u32_e64 v22, null, v54, v20, vcc_lo
	v_add_co_u32 v59, vcc_lo, v55, v19
	v_add_co_ci_u32_e64 v60, null, v56, v20, vcc_lo
	global_load_ushort v4, v[21:22], off
	global_load_ushort v12, v[59:60], off
	s_waitcnt vmcnt(1)
	v_lshlrev_b32_e32 v4, 16, v4
	s_waitcnt vmcnt(0)
	v_lshlrev_b32_e32 v12, 16, v12
	s_or_b32 exec_lo, exec_lo, s28
	s_and_saveexec_b32 s28, s1
	s_cbranch_execz .LBB201_33
.LBB201_44:                             ;   in Loop: Header=BB201_3 Depth=1
	v_add_co_u32 v21, vcc_lo, v49, v19
	v_add_co_ci_u32_e64 v22, null, v50, v20, vcc_lo
	v_add_co_u32 v59, vcc_lo, v51, v19
	v_add_co_ci_u32_e64 v60, null, v52, v20, vcc_lo
	global_load_ushort v5, v[21:22], off
	global_load_ushort v13, v[59:60], off
	s_waitcnt vmcnt(1)
	v_lshlrev_b32_e32 v5, 16, v5
	s_waitcnt vmcnt(0)
	v_lshlrev_b32_e32 v13, 16, v13
	s_or_b32 exec_lo, exec_lo, s28
	s_and_saveexec_b32 s28, s1
	s_cbranch_execz .LBB201_34
.LBB201_45:                             ;   in Loop: Header=BB201_3 Depth=1
	v_add_co_u32 v21, vcc_lo, v45, v19
	v_add_co_ci_u32_e64 v22, null, v46, v20, vcc_lo
	v_add_co_u32 v59, vcc_lo, v47, v19
	v_add_co_ci_u32_e64 v60, null, v48, v20, vcc_lo
	global_load_ushort v6, v[21:22], off
	global_load_ushort v14, v[59:60], off
	s_waitcnt vmcnt(1)
	v_lshlrev_b32_e32 v6, 16, v6
	s_waitcnt vmcnt(0)
	v_lshlrev_b32_e32 v14, 16, v14
	s_or_b32 exec_lo, exec_lo, s28
	s_and_saveexec_b32 s28, s1
	s_cbranch_execz .LBB201_35
.LBB201_46:                             ;   in Loop: Header=BB201_3 Depth=1
	v_add_co_u32 v21, vcc_lo, v41, v19
	v_add_co_ci_u32_e64 v22, null, v42, v20, vcc_lo
	v_add_co_u32 v59, vcc_lo, v43, v19
	v_add_co_ci_u32_e64 v60, null, v44, v20, vcc_lo
	global_load_ushort v7, v[21:22], off
	global_load_ushort v15, v[59:60], off
	s_waitcnt vmcnt(1)
	v_lshlrev_b32_e32 v7, 16, v7
	s_waitcnt vmcnt(0)
	v_lshlrev_b32_e32 v15, 16, v15
	s_or_b32 exec_lo, exec_lo, s28
	s_and_saveexec_b32 s28, s1
	s_cbranch_execz .LBB201_36
.LBB201_47:                             ;   in Loop: Header=BB201_3 Depth=1
	v_add_co_u32 v21, vcc_lo, v37, v19
	v_add_co_ci_u32_e64 v22, null, v38, v20, vcc_lo
	v_add_co_u32 v59, vcc_lo, v39, v19
	v_add_co_ci_u32_e64 v60, null, v40, v20, vcc_lo
	global_load_ushort v8, v[21:22], off
	global_load_ushort v16, v[59:60], off
	s_waitcnt vmcnt(1)
	v_lshlrev_b32_e32 v8, 16, v8
	s_waitcnt vmcnt(0)
	v_lshlrev_b32_e32 v16, 16, v16
	s_or_b32 exec_lo, exec_lo, s28
	s_and_saveexec_b32 s28, s1
	s_cbranch_execz .LBB201_37
.LBB201_48:                             ;   in Loop: Header=BB201_3 Depth=1
	v_add_co_u32 v21, vcc_lo, v33, v19
	v_add_co_ci_u32_e64 v22, null, v34, v20, vcc_lo
	v_add_co_u32 v59, vcc_lo, v35, v19
	v_add_co_ci_u32_e64 v60, null, v36, v20, vcc_lo
	global_load_ushort v9, v[21:22], off
	global_load_ushort v17, v[59:60], off
	s_waitcnt vmcnt(1)
	v_lshlrev_b32_e32 v9, 16, v9
	s_waitcnt vmcnt(0)
	v_lshlrev_b32_e32 v17, 16, v17
	s_or_b32 exec_lo, exec_lo, s28
	s_and_saveexec_b32 s28, s1
	s_cbranch_execnz .LBB201_38
	s_branch .LBB201_39
.LBB201_49:
                                        ; implicit-def: $vgpr86
	s_load_dwordx2 s[2:3], s[4:5], 0x30
	s_branch .LBB201_51
.LBB201_50:
	s_load_dwordx2 s[2:3], s[4:5], 0x30
	s_cbranch_execnz .LBB201_83
.LBB201_51:
	v_mov_b32_e32 v86, 0
	s_andn2_b32 vcc_lo, exec_lo, s26
	s_cbranch_vccnz .LBB201_83
; %bb.52:
	v_lshlrev_b32_e32 v51, 3, v1
	v_lshlrev_b32_e32 v4, 4, v1
	s_add_u32 s20, s4, 64
	s_addc_u32 s21, s5, 0
	s_lshl_b64 s[22:23], s[18:19], 1
	v_add_co_u32 v10, s1, v51, s18
	v_add_co_ci_u32_e64 v11, null, 0, 0, s1
	v_add_co_u32 v7, s1, v4, s22
	v_mul_lo_u32 v5, s11, v10
	v_mul_lo_u32 v6, s10, v11
	v_mad_u64_u32 v[2:3], null, s10, v10, 0
	v_add_co_ci_u32_e64 v8, null, 0, s23, s1
	v_mov_b32_e32 v85, 0
	s_mov_b64 s[22:23], s[18:19]
	v_add3_u32 v3, v3, v6, v5
	v_add_co_u32 v6, vcc_lo, v7, 2
	v_add_co_ci_u32_e64 v9, null, 0, v8, vcc_lo
	v_lshlrev_b64 v[4:5], 1, v[2:3]
	v_mad_u64_u32 v[19:20], null, s10, v6, s[12:13]
	v_mul_lo_u32 v9, s10, v9
	v_mul_lo_u32 v12, s11, v6
	v_mad_u64_u32 v[33:34], null, s10, v6, s[14:15]
	v_add_co_u32 v52, vcc_lo, s12, v4
	v_add_co_ci_u32_e64 v53, null, s13, v5, vcc_lo
	v_add_co_u32 v54, vcc_lo, s14, v4
	v_add_co_ci_u32_e64 v55, null, s15, v5, vcc_lo
	;; [unrolled: 2-line block ×4, first 2 shown]
	v_add_co_u32 v16, vcc_lo, v7, 8
	v_mad_u64_u32 v[21:22], null, s10, v4, s[12:13]
	v_mul_lo_u32 v5, s10, v5
	v_mul_lo_u32 v15, s11, v4
	v_add_co_ci_u32_e64 v18, null, 0, v8, vcc_lo
	v_add_co_u32 v41, vcc_lo, v7, 10
	v_mad_u64_u32 v[35:36], null, s10, v4, s[14:15]
	v_add_co_ci_u32_e64 v29, null, 0, v8, vcc_lo
	v_add_co_u32 v44, vcc_lo, v7, 12
	v_add_co_ci_u32_e64 v31, null, 0, v8, vcc_lo
	v_add_co_u32 v7, vcc_lo, v7, 14
	;; [unrolled: 2-line block ×3, first 2 shown]
	v_add3_u32 v22, v15, v22, v5
	v_add3_u32 v36, v15, v36, v5
	v_add_co_ci_u32_e64 v5, null, 0, v11, vcc_lo
	v_add3_u32 v20, v12, v20, v9
	v_add3_u32 v34, v12, v34, v9
	v_mul_lo_u32 v6, s11, v4
	v_mul_lo_u32 v9, s10, v5
	v_mad_u64_u32 v[4:5], null, s10, v4, 0
	v_mul_lo_u32 v49, s10, v31
	v_mad_u64_u32 v[31:32], null, s10, v7, s[12:13]
	v_mul_lo_u32 v8, s10, v8
	v_mul_lo_u32 v56, s11, v7
	v_mad_u64_u32 v[45:46], null, s10, v7, s[14:15]
	v_add3_u32 v5, v5, v9, v6
	v_add_co_u32 v6, vcc_lo, v10, 6
	v_add_co_ci_u32_e64 v7, null, 0, v11, vcc_lo
	v_mad_u64_u32 v[23:24], null, s10, v13, s[12:13]
	v_mul_lo_u32 v14, s10, v14
	v_mul_lo_u32 v17, s11, v13
	v_add3_u32 v32, v56, v32, v8
	v_mad_u64_u32 v[37:38], null, s10, v13, s[14:15]
	v_add3_u32 v46, v56, v46, v8
	v_mul_lo_u32 v8, s11, v6
	v_mul_lo_u32 v9, s10, v7
	v_mad_u64_u32 v[6:7], null, s10, v6, 0
	v_lshlrev_b64 v[4:5], 1, v[4:5]
	v_add_co_u32 v12, vcc_lo, v10, 5
	v_add_co_ci_u32_e64 v13, null, 0, v11, vcc_lo
	v_add3_u32 v24, v17, v24, v14
	v_add_co_u32 v56, vcc_lo, s12, v4
	v_add3_u32 v38, v17, v38, v14
	v_add3_u32 v7, v7, v9, v8
	v_mul_lo_u32 v14, s11, v12
	v_mul_lo_u32 v13, s10, v13
	v_mad_u64_u32 v[8:9], null, s10, v12, 0
	v_add_co_ci_u32_e64 v57, null, s13, v5, vcc_lo
	v_add_co_u32 v12, vcc_lo, v10, 4
	v_add_co_ci_u32_e64 v15, null, 0, v11, vcc_lo
	v_add_co_u32 v58, vcc_lo, s14, v4
	v_add_co_ci_u32_e64 v59, null, s15, v5, vcc_lo
	v_lshlrev_b64 v[4:5], 1, v[6:7]
	v_add3_u32 v9, v9, v13, v14
	v_mul_lo_u32 v13, s11, v12
	v_mul_lo_u32 v14, s10, v15
	v_mad_u64_u32 v[6:7], null, s10, v12, 0
	v_lshlrev_b64 v[8:9], 1, v[8:9]
	v_add_co_u32 v60, vcc_lo, s12, v4
	v_add_co_ci_u32_e64 v61, null, s13, v5, vcc_lo
	v_add_co_u32 v62, vcc_lo, s14, v4
	v_add3_u32 v7, v7, v14, v13
	v_add_co_ci_u32_e64 v63, null, s15, v5, vcc_lo
	v_add_co_u32 v64, vcc_lo, s12, v8
	v_add_co_ci_u32_e64 v65, null, s13, v9, vcc_lo
	v_lshlrev_b64 v[4:5], 1, v[6:7]
	v_add_co_u32 v6, vcc_lo, v10, 3
	v_add_co_ci_u32_e64 v7, null, 0, v11, vcc_lo
	v_add_co_u32 v66, s1, s14, v8
	v_add_co_u32 v8, vcc_lo, v10, 2
	v_add_co_ci_u32_e64 v67, null, s15, v9, s1
	v_mul_lo_u32 v12, s11, v6
	v_add_co_ci_u32_e64 v9, null, 0, v11, vcc_lo
	v_mul_lo_u32 v10, s10, v7
	v_mad_u64_u32 v[6:7], null, s10, v6, 0
	v_mul_lo_u32 v11, s11, v8
	v_mul_lo_u32 v13, s10, v9
	v_mad_u64_u32 v[8:9], null, s10, v8, 0
	v_add_co_u32 v68, vcc_lo, s12, v4
	v_add3_u32 v7, v7, v10, v12
	s_load_dword s1, s[4:5], 0x44
	v_add_co_ci_u32_e64 v69, null, s13, v5, vcc_lo
	v_add_co_u32 v70, vcc_lo, s14, v4
	v_add_co_ci_u32_e64 v71, null, s15, v5, vcc_lo
	v_lshlrev_b64 v[4:5], 1, v[6:7]
	v_add3_u32 v9, v9, v13, v11
	v_add_co_u32 v2, vcc_lo, v2, s10
	v_mad_u64_u32 v[25:26], null, s10, v16, s[12:13]
	v_mul_lo_u32 v18, s10, v18
	v_mul_lo_u32 v43, s11, v16
	v_mad_u64_u32 v[39:40], null, s10, v16, s[14:15]
	v_add_co_ci_u32_e64 v3, null, s11, v3, vcc_lo
	v_lshlrev_b64 v[6:7], 1, v[8:9]
	v_add_co_u32 v72, vcc_lo, s12, v4
	v_add_co_ci_u32_e64 v73, null, s13, v5, vcc_lo
	v_add_co_u32 v74, vcc_lo, s14, v4
	v_lshlrev_b64 v[3:4], 1, v[2:3]
	v_mov_b32_e32 v2, 0
	v_mad_u64_u32 v[27:28], null, s10, v41, s[12:13]
	v_mul_lo_u32 v47, s10, v29
	v_mul_lo_u32 v48, s11, v41
	v_mad_u64_u32 v[41:42], null, s10, v41, s[14:15]
	v_mad_u64_u32 v[29:30], null, s10, v44, s[12:13]
	v_mul_lo_u32 v50, s11, v44
	v_add3_u32 v26, v43, v26, v18
	v_add3_u32 v40, v43, v40, v18
	v_mad_u64_u32 v[43:44], null, s10, v44, s[14:15]
	v_add_co_ci_u32_e64 v75, null, s15, v5, vcc_lo
	v_add_co_u32 v76, vcc_lo, s12, v6
	v_add_co_ci_u32_e64 v77, null, s13, v7, vcc_lo
	v_add_co_u32 v78, vcc_lo, s14, v6
	v_add_nc_u32_e32 v5, s7, v0
	v_mov_b32_e32 v6, v2
	v_add_co_ci_u32_e64 v79, null, s15, v7, vcc_lo
	v_add_co_u32 v80, vcc_lo, s12, v3
	s_waitcnt lgkmcnt(0)
	s_lshl_b32 s1, s1, 3
	v_add_co_ci_u32_e64 v81, null, s13, v4, vcc_lo
	v_add_co_u32 v82, vcc_lo, s14, v3
	v_add3_u32 v28, v48, v28, v47
	v_add3_u32 v42, v48, v42, v47
	s_mul_i32 s7, s11, s1
	s_mul_hi_u32 s12, s10, s1
	v_lshlrev_b64 v[47:48], 1, v[5:6]
	v_add3_u32 v30, v50, v30, v49
	v_add3_u32 v44, v50, v44, v49
	v_add_co_ci_u32_e64 v83, null, s15, v4, vcc_lo
	v_mov_b32_e32 v84, v2
	s_add_i32 s13, s12, s7
	s_mul_i32 s12, s10, s1
	s_mov_b64 s[14:15], 7
	s_lshl_b64 s[12:13], s[12:13], 1
.LBB201_53:                             ; =>This Inner Loop Header: Depth=1
	s_add_u32 s24, s18, s14
	s_addc_u32 s25, 0, s15
	v_add_co_u32 v49, vcc_lo, s18, v51
	v_cmp_ge_i64_e64 s7, s[24:25], s[8:9]
	v_add_co_ci_u32_e64 v50, null, 0, v84, vcc_lo
                                        ; implicit-def: $vgpr86
	s_and_b32 vcc_lo, exec_lo, s7
	s_mov_b32 s7, -1
	s_cbranch_vccz .LBB201_75
; %bb.54:                               ;   in Loop: Header=BB201_53 Depth=1
	s_load_dword s7, s[20:21], 0xc
	v_mov_b32_e32 v87, 0
	s_waitcnt lgkmcnt(0)
	s_and_b32 s7, s7, 0xffff
	v_mad_u32_u24 v3, v1, s7, v0
	s_mov_b32 s7, exec_lo
	v_and_b32_e32 v3, 31, v3
	v_cmpx_gt_u32_e32 8, v3
	s_cbranch_execz .LBB201_58
; %bb.55:                               ;   in Loop: Header=BB201_53 Depth=1
	v_add_co_u32 v3, vcc_lo, v49, v3
	v_add_co_ci_u32_e64 v4, null, 0, v50, vcc_lo
	v_mov_b32_e32 v87, 0
	s_mov_b32 s19, exec_lo
	v_cmpx_gt_i64_e64 s[8:9], v[3:4]
	s_cbranch_execz .LBB201_57
; %bb.56:                               ;   in Loop: Header=BB201_53 Depth=1
	v_lshlrev_b64 v[3:4], 2, v[3:4]
	v_add_co_u32 v3, vcc_lo, s16, v3
	v_add_co_ci_u32_e64 v4, null, s17, v4, vcc_lo
	global_load_dword v87, v[3:4], off
.LBB201_57:                             ;   in Loop: Header=BB201_53 Depth=1
	s_or_b32 exec_lo, exec_lo, s19
.LBB201_58:                             ;   in Loop: Header=BB201_53 Depth=1
	s_or_b32 exec_lo, exec_lo, s7
	v_mov_b32_e32 v9, v2
	v_mov_b32_e32 v3, v2
	;; [unrolled: 1-line block ×23, first 2 shown]
	s_mov_b32 s7, exec_lo
	v_cmpx_gt_i64_e64 s[8:9], v[49:50]
	s_cbranch_execz .LBB201_60
; %bb.59:                               ;   in Loop: Header=BB201_53 Depth=1
	v_add_co_u32 v3, vcc_lo, v52, v47
	v_add_co_ci_u32_e64 v4, null, v53, v48, vcc_lo
	v_add_co_u32 v5, vcc_lo, v54, v47
	v_add_co_ci_u32_e64 v6, null, v55, v48, vcc_lo
	global_load_ushort v3, v[3:4], off
	global_load_ushort v11, v[5:6], off
	v_mov_b32_e32 v4, v2
	v_mov_b32_e32 v5, v2
	;; [unrolled: 1-line block ×14, first 2 shown]
	s_waitcnt vmcnt(1)
	v_lshlrev_b32_e32 v3, 16, v3
	s_waitcnt vmcnt(0)
	v_lshlrev_b32_e32 v11, 16, v11
.LBB201_60:                             ;   in Loop: Header=BB201_53 Depth=1
	s_or_b32 exec_lo, exec_lo, s7
	v_add_co_u32 v88, vcc_lo, v49, 1
	v_add_co_ci_u32_e64 v89, null, 0, v50, vcc_lo
	s_mov_b32 s7, exec_lo
	v_cmpx_gt_i64_e64 s[8:9], v[88:89]
	s_cbranch_execz .LBB201_62
; %bb.61:                               ;   in Loop: Header=BB201_53 Depth=1
	v_add_co_u32 v88, vcc_lo, v80, v47
	v_add_co_ci_u32_e64 v89, null, v81, v48, vcc_lo
	v_add_co_u32 v90, vcc_lo, v82, v47
	v_add_co_ci_u32_e64 v91, null, v83, v48, vcc_lo
	global_load_ushort v4, v[88:89], off
	global_load_ushort v12, v[90:91], off
	s_waitcnt vmcnt(1)
	v_lshlrev_b32_e32 v4, 16, v4
	s_waitcnt vmcnt(0)
	v_lshlrev_b32_e32 v12, 16, v12
.LBB201_62:                             ;   in Loop: Header=BB201_53 Depth=1
	s_or_b32 exec_lo, exec_lo, s7
	v_add_co_u32 v88, vcc_lo, v49, 2
	v_add_co_ci_u32_e64 v89, null, 0, v50, vcc_lo
	s_mov_b32 s7, exec_lo
	v_cmpx_gt_i64_e64 s[8:9], v[88:89]
	s_cbranch_execz .LBB201_64
; %bb.63:                               ;   in Loop: Header=BB201_53 Depth=1
	v_add_co_u32 v88, vcc_lo, v76, v47
	v_add_co_ci_u32_e64 v89, null, v77, v48, vcc_lo
	v_add_co_u32 v90, vcc_lo, v78, v47
	v_add_co_ci_u32_e64 v91, null, v79, v48, vcc_lo
	global_load_ushort v5, v[88:89], off
	global_load_ushort v13, v[90:91], off
	s_waitcnt vmcnt(1)
	v_lshlrev_b32_e32 v5, 16, v5
	s_waitcnt vmcnt(0)
	v_lshlrev_b32_e32 v13, 16, v13
.LBB201_64:                             ;   in Loop: Header=BB201_53 Depth=1
	;; [unrolled: 18-line block ×7, first 2 shown]
	s_or_b32 exec_lo, exec_lo, s7
	s_waitcnt vmcnt(0)
	ds_bpermute_b32 v86, v2, v87
	ds_bpermute_b32 v88, v2, v87 offset:4
	ds_bpermute_b32 v89, v2, v87 offset:8
	v_mul_f32_e32 v3, v11, v3
	ds_bpermute_b32 v11, v2, v87 offset:12
	v_mul_f32_e32 v4, v12, v4
	ds_bpermute_b32 v12, v2, v87 offset:16
	s_mov_b32 s7, 0
	s_waitcnt lgkmcnt(4)
	v_fma_f32 v86, v3, v86, v85
	v_mul_f32_e32 v3, v13, v5
	ds_bpermute_b32 v5, v2, v87 offset:20
	s_waitcnt lgkmcnt(4)
	v_fmac_f32_e32 v86, v4, v88
	v_mul_f32_e32 v4, v14, v6
	ds_bpermute_b32 v6, v2, v87 offset:24
	s_waitcnt lgkmcnt(4)
	v_fmac_f32_e32 v86, v3, v89
	v_mul_f32_e32 v3, v15, v7
	v_mul_f32_e32 v7, v16, v8
	s_waitcnt lgkmcnt(3)
	v_fmac_f32_e32 v86, v4, v11
	ds_bpermute_b32 v4, v2, v87 offset:28
	s_waitcnt lgkmcnt(3)
	v_fmac_f32_e32 v86, v3, v12
	v_mul_f32_e32 v3, v17, v9
	s_waitcnt lgkmcnt(2)
	v_fmac_f32_e32 v86, v7, v5
	s_waitcnt lgkmcnt(1)
	v_fmac_f32_e32 v86, v3, v6
	v_mul_f32_e32 v3, v18, v10
	s_waitcnt lgkmcnt(0)
	v_fmac_f32_e32 v86, v3, v4
.LBB201_75:                             ;   in Loop: Header=BB201_53 Depth=1
	s_and_b32 vcc_lo, exec_lo, s7
	s_cbranch_vccz .LBB201_81
; %bb.76:                               ;   in Loop: Header=BB201_53 Depth=1
	s_load_dword s7, s[20:21], 0x0
	v_mov_b32_e32 v5, 0
	s_waitcnt lgkmcnt(0)
	s_cmp_lt_u32 s6, s7
	s_cselect_b32 s7, 12, 18
	s_add_u32 s24, s20, s7
	s_addc_u32 s25, s21, 0
	s_mov_b32 s7, exec_lo
	global_load_ushort v3, v2, s[24:25]
	s_waitcnt vmcnt(0)
	v_mad_u32_u24 v3, v1, v3, v0
	v_and_b32_e32 v3, 31, v3
	v_cmpx_gt_u32_e32 8, v3
	s_cbranch_execz .LBB201_80
; %bb.77:                               ;   in Loop: Header=BB201_53 Depth=1
	v_add_co_u32 v3, vcc_lo, v49, v3
	v_add_co_ci_u32_e64 v4, null, 0, v50, vcc_lo
	v_mov_b32_e32 v5, 0
	s_mov_b32 s19, exec_lo
	v_cmpx_gt_i64_e64 s[8:9], v[3:4]
	s_cbranch_execz .LBB201_79
; %bb.78:                               ;   in Loop: Header=BB201_53 Depth=1
	v_lshlrev_b64 v[3:4], 2, v[3:4]
	v_add_co_u32 v3, vcc_lo, s16, v3
	v_add_co_ci_u32_e64 v4, null, s17, v4, vcc_lo
	global_load_dword v5, v[3:4], off
.LBB201_79:                             ;   in Loop: Header=BB201_53 Depth=1
	s_or_b32 exec_lo, exec_lo, s19
.LBB201_80:                             ;   in Loop: Header=BB201_53 Depth=1
	s_or_b32 exec_lo, exec_lo, s7
	v_add_co_u32 v3, vcc_lo, v52, v47
	v_add_co_ci_u32_e64 v4, null, v53, v48, vcc_lo
	v_add_co_u32 v6, vcc_lo, v54, v47
	v_add_co_ci_u32_e64 v7, null, v55, v48, vcc_lo
	;; [unrolled: 2-line block ×4, first 2 shown]
	global_load_ushort v14, v[3:4], off
	global_load_ushort v15, v[6:7], off
	;; [unrolled: 1-line block ×4, first 2 shown]
	v_add_co_u32 v3, vcc_lo, v21, v47
	v_add_co_ci_u32_e64 v4, null, v22, v48, vcc_lo
	v_add_co_u32 v6, vcc_lo, v35, v47
	v_add_co_ci_u32_e64 v7, null, v36, v48, vcc_lo
	global_load_ushort v18, v[3:4], off
	v_add_co_u32 v3, vcc_lo, v23, v47
	v_add_co_ci_u32_e64 v4, null, v24, v48, vcc_lo
	v_add_co_u32 v8, vcc_lo, v37, v47
	v_add_co_ci_u32_e64 v9, null, v38, v48, vcc_lo
	;; [unrolled: 2-line block ×4, first 2 shown]
	global_load_ushort v49, v[6:7], off
	global_load_ushort v50, v[3:4], off
	;; [unrolled: 1-line block ×5, first 2 shown]
	v_add_co_u32 v3, vcc_lo, v27, v47
	v_add_co_ci_u32_e64 v4, null, v28, v48, vcc_lo
	v_add_co_u32 v6, vcc_lo, v41, v47
	v_add_co_ci_u32_e64 v7, null, v42, v48, vcc_lo
	;; [unrolled: 2-line block ×4, first 2 shown]
	global_load_ushort v13, v[3:4], off
	global_load_ushort v88, v[6:7], off
	;; [unrolled: 1-line block ×4, first 2 shown]
	v_add_co_u32 v3, vcc_lo, v45, v47
	v_add_co_ci_u32_e64 v4, null, v46, v48, vcc_lo
	v_add_co_u32 v6, vcc_lo, v31, v47
	v_add_co_ci_u32_e64 v7, null, v32, v48, vcc_lo
	global_load_ushort v3, v[3:4], off
	global_load_ushort v4, v[6:7], off
	s_waitcnt vmcnt(16)
	ds_bpermute_b32 v6, v2, v5
	ds_bpermute_b32 v7, v2, v5 offset:4
	ds_bpermute_b32 v10, v2, v5 offset:8
	s_waitcnt vmcnt(15)
	v_lshlrev_b32_e32 v14, 16, v14
	s_waitcnt vmcnt(14)
	v_lshlrev_b32_e32 v11, 16, v15
	ds_bpermute_b32 v15, v2, v5 offset:12
	s_waitcnt vmcnt(12)
	v_lshlrev_b32_e32 v17, 16, v17
	v_lshlrev_b32_e32 v16, 16, v16
	v_mul_f32_e32 v11, v14, v11
	ds_bpermute_b32 v14, v2, v5 offset:16
	v_mul_f32_e32 v16, v16, v17
	s_waitcnt lgkmcnt(4)
	v_fmac_f32_e32 v85, v11, v6
	s_waitcnt vmcnt(11)
	v_lshlrev_b32_e32 v18, 16, v18
	ds_bpermute_b32 v6, v2, v5 offset:20
	s_waitcnt lgkmcnt(4)
	v_fmac_f32_e32 v85, v16, v7
	ds_bpermute_b32 v7, v2, v5 offset:24
	ds_bpermute_b32 v5, v2, v5 offset:28
	s_waitcnt vmcnt(10)
	v_lshlrev_b32_e32 v49, 16, v49
	s_waitcnt vmcnt(9)
	v_lshlrev_b32_e32 v17, 16, v50
	;; [unrolled: 2-line block ×5, first 2 shown]
	v_mul_f32_e32 v18, v18, v49
	v_mul_f32_e32 v11, v17, v11
	v_mul_f32_e32 v12, v16, v12
	s_waitcnt lgkmcnt(5)
	v_fmac_f32_e32 v85, v18, v10
	s_waitcnt lgkmcnt(4)
	v_fmac_f32_e32 v85, v11, v15
	s_waitcnt vmcnt(5)
	v_lshlrev_b32_e32 v13, 16, v13
	s_waitcnt vmcnt(4)
	v_lshlrev_b32_e32 v10, 16, v88
	;; [unrolled: 2-line block ×4, first 2 shown]
	s_waitcnt lgkmcnt(3)
	v_fmac_f32_e32 v85, v12, v14
	v_mul_f32_e32 v10, v13, v10
	v_mul_f32_e32 v8, v8, v9
	s_waitcnt lgkmcnt(2)
	v_fmac_f32_e32 v85, v10, v6
	s_waitcnt vmcnt(1)
	v_lshlrev_b32_e32 v3, 16, v3
	s_waitcnt vmcnt(0)
	v_lshlrev_b32_e32 v4, 16, v4
	s_waitcnt lgkmcnt(1)
	v_fmac_f32_e32 v85, v8, v7
	v_mul_f32_e32 v3, v4, v3
	s_waitcnt lgkmcnt(0)
	v_fmac_f32_e32 v85, v3, v5
	v_mov_b32_e32 v86, v85
.LBB201_81:                             ;   in Loop: Header=BB201_53 Depth=1
	v_add_co_u32 v52, vcc_lo, v52, s12
	v_add_co_ci_u32_e64 v53, null, s13, v53, vcc_lo
	v_add_co_u32 v54, vcc_lo, v54, s12
	v_add_co_ci_u32_e64 v55, null, s13, v55, vcc_lo
	;; [unrolled: 2-line block ×27, first 2 shown]
	v_add_co_u32 v76, vcc_lo, v76, s12
	s_add_u32 s22, s22, s1
	v_add_co_ci_u32_e64 v77, null, s13, v77, vcc_lo
	v_add_co_u32 v78, vcc_lo, v78, s12
	s_addc_u32 s23, s23, 0
	v_add_co_ci_u32_e64 v79, null, s13, v79, vcc_lo
	v_add_co_u32 v80, vcc_lo, v80, s12
	v_cmp_ge_i64_e64 s7, s[22:23], s[8:9]
	v_add_co_ci_u32_e64 v81, null, s13, v81, vcc_lo
	v_add_co_u32 v82, vcc_lo, v82, s12
	v_add_co_ci_u32_e64 v83, null, s13, v83, vcc_lo
	s_add_u32 s14, s14, s1
	s_addc_u32 s15, 0, s15
	s_and_b32 vcc_lo, exec_lo, s7
	s_cbranch_vccnz .LBB201_83
; %bb.82:                               ;   in Loop: Header=BB201_53 Depth=1
	v_mov_b32_e32 v85, v86
	s_branch .LBB201_53
.LBB201_83:
	s_mov_b32 s7, 0
	s_lshl_b64 s[6:7], s[6:7], 5
	s_waitcnt lgkmcnt(0)
	s_cmp_lg_u64 s[2:3], 0
	v_or_b32_e32 v3, s6, v0
	v_mov_b32_e32 v4, s7
	s_cselect_b32 s1, -1, 0
	v_cmp_gt_i64_e32 vcc_lo, s[10:11], v[3:4]
	s_and_b32 s1, vcc_lo, s1
	s_and_saveexec_b32 s6, s1
	s_cbranch_execz .LBB201_85
; %bb.84:
	s_load_dword s1, s[4:5], 0x4c
	v_mov_b32_e32 v2, 0
	v_cmp_o_f32_e32 vcc_lo, v86, v86
	v_mov_b32_e32 v6, 0x7fc0
	s_waitcnt lgkmcnt(0)
	s_lshr_b32 s1, s1, 16
	v_mad_u64_u32 v[0:1], null, s1, s0, v[1:2]
	v_mul_lo_u32 v2, v1, s10
	v_mul_lo_u32 v5, v0, s11
	v_mad_u64_u32 v[0:1], null, v0, s10, 0
	v_add3_u32 v1, v1, v5, v2
	v_bfe_u32 v5, v86, 16, 1
	v_lshlrev_b64 v[2:3], 1, v[3:4]
	v_lshlrev_b64 v[0:1], 1, v[0:1]
	v_add3_u32 v4, v86, v5, 0x7fff
	v_cndmask_b32_sdwa v4, v6, v4, vcc_lo dst_sel:DWORD dst_unused:UNUSED_PAD src0_sel:DWORD src1_sel:WORD_1
	v_add_co_u32 v0, s0, s2, v0
	v_add_co_ci_u32_e64 v1, null, s3, v1, s0
	v_add_co_u32 v0, vcc_lo, v0, v2
	v_add_co_ci_u32_e64 v1, null, v1, v3, vcc_lo
	global_store_short v[0:1], v4, off
.LBB201_85:
	s_endpgm
	.section	.rodata,"a",@progbits
	.p2align	6, 0x0
	.amdhsa_kernel _ZN2at6native12_GLOBAL__N_135GammaBetaBackwardCUDAKernelTemplateIN3c108BFloat16EfLj32ELj1ELj8ELb1ELb0ELb1EEEvllPKT_S7_PKT0_SA_PS5_SB_
		.amdhsa_group_segment_fixed_size 0
		.amdhsa_private_segment_fixed_size 0
		.amdhsa_kernarg_size 320
		.amdhsa_user_sgpr_count 6
		.amdhsa_user_sgpr_private_segment_buffer 1
		.amdhsa_user_sgpr_dispatch_ptr 0
		.amdhsa_user_sgpr_queue_ptr 0
		.amdhsa_user_sgpr_kernarg_segment_ptr 1
		.amdhsa_user_sgpr_dispatch_id 0
		.amdhsa_user_sgpr_flat_scratch_init 0
		.amdhsa_user_sgpr_private_segment_size 0
		.amdhsa_wavefront_size32 1
		.amdhsa_uses_dynamic_stack 0
		.amdhsa_system_sgpr_private_segment_wavefront_offset 0
		.amdhsa_system_sgpr_workgroup_id_x 1
		.amdhsa_system_sgpr_workgroup_id_y 1
		.amdhsa_system_sgpr_workgroup_id_z 0
		.amdhsa_system_sgpr_workgroup_info 0
		.amdhsa_system_vgpr_workitem_id 1
		.amdhsa_next_free_vgpr 92
		.amdhsa_next_free_sgpr 30
		.amdhsa_reserve_vcc 1
		.amdhsa_reserve_flat_scratch 0
		.amdhsa_float_round_mode_32 0
		.amdhsa_float_round_mode_16_64 0
		.amdhsa_float_denorm_mode_32 3
		.amdhsa_float_denorm_mode_16_64 3
		.amdhsa_dx10_clamp 1
		.amdhsa_ieee_mode 1
		.amdhsa_fp16_overflow 0
		.amdhsa_workgroup_processor_mode 1
		.amdhsa_memory_ordered 1
		.amdhsa_forward_progress 1
		.amdhsa_shared_vgpr_count 0
		.amdhsa_exception_fp_ieee_invalid_op 0
		.amdhsa_exception_fp_denorm_src 0
		.amdhsa_exception_fp_ieee_div_zero 0
		.amdhsa_exception_fp_ieee_overflow 0
		.amdhsa_exception_fp_ieee_underflow 0
		.amdhsa_exception_fp_ieee_inexact 0
		.amdhsa_exception_int_div_zero 0
	.end_amdhsa_kernel
	.section	.text._ZN2at6native12_GLOBAL__N_135GammaBetaBackwardCUDAKernelTemplateIN3c108BFloat16EfLj32ELj1ELj8ELb1ELb0ELb1EEEvllPKT_S7_PKT0_SA_PS5_SB_,"axG",@progbits,_ZN2at6native12_GLOBAL__N_135GammaBetaBackwardCUDAKernelTemplateIN3c108BFloat16EfLj32ELj1ELj8ELb1ELb0ELb1EEEvllPKT_S7_PKT0_SA_PS5_SB_,comdat
.Lfunc_end201:
	.size	_ZN2at6native12_GLOBAL__N_135GammaBetaBackwardCUDAKernelTemplateIN3c108BFloat16EfLj32ELj1ELj8ELb1ELb0ELb1EEEvllPKT_S7_PKT0_SA_PS5_SB_, .Lfunc_end201-_ZN2at6native12_GLOBAL__N_135GammaBetaBackwardCUDAKernelTemplateIN3c108BFloat16EfLj32ELj1ELj8ELb1ELb0ELb1EEEvllPKT_S7_PKT0_SA_PS5_SB_
                                        ; -- End function
	.set _ZN2at6native12_GLOBAL__N_135GammaBetaBackwardCUDAKernelTemplateIN3c108BFloat16EfLj32ELj1ELj8ELb1ELb0ELb1EEEvllPKT_S7_PKT0_SA_PS5_SB_.num_vgpr, 92
	.set _ZN2at6native12_GLOBAL__N_135GammaBetaBackwardCUDAKernelTemplateIN3c108BFloat16EfLj32ELj1ELj8ELb1ELb0ELb1EEEvllPKT_S7_PKT0_SA_PS5_SB_.num_agpr, 0
	.set _ZN2at6native12_GLOBAL__N_135GammaBetaBackwardCUDAKernelTemplateIN3c108BFloat16EfLj32ELj1ELj8ELb1ELb0ELb1EEEvllPKT_S7_PKT0_SA_PS5_SB_.numbered_sgpr, 30
	.set _ZN2at6native12_GLOBAL__N_135GammaBetaBackwardCUDAKernelTemplateIN3c108BFloat16EfLj32ELj1ELj8ELb1ELb0ELb1EEEvllPKT_S7_PKT0_SA_PS5_SB_.num_named_barrier, 0
	.set _ZN2at6native12_GLOBAL__N_135GammaBetaBackwardCUDAKernelTemplateIN3c108BFloat16EfLj32ELj1ELj8ELb1ELb0ELb1EEEvllPKT_S7_PKT0_SA_PS5_SB_.private_seg_size, 0
	.set _ZN2at6native12_GLOBAL__N_135GammaBetaBackwardCUDAKernelTemplateIN3c108BFloat16EfLj32ELj1ELj8ELb1ELb0ELb1EEEvllPKT_S7_PKT0_SA_PS5_SB_.uses_vcc, 1
	.set _ZN2at6native12_GLOBAL__N_135GammaBetaBackwardCUDAKernelTemplateIN3c108BFloat16EfLj32ELj1ELj8ELb1ELb0ELb1EEEvllPKT_S7_PKT0_SA_PS5_SB_.uses_flat_scratch, 0
	.set _ZN2at6native12_GLOBAL__N_135GammaBetaBackwardCUDAKernelTemplateIN3c108BFloat16EfLj32ELj1ELj8ELb1ELb0ELb1EEEvllPKT_S7_PKT0_SA_PS5_SB_.has_dyn_sized_stack, 0
	.set _ZN2at6native12_GLOBAL__N_135GammaBetaBackwardCUDAKernelTemplateIN3c108BFloat16EfLj32ELj1ELj8ELb1ELb0ELb1EEEvllPKT_S7_PKT0_SA_PS5_SB_.has_recursion, 0
	.set _ZN2at6native12_GLOBAL__N_135GammaBetaBackwardCUDAKernelTemplateIN3c108BFloat16EfLj32ELj1ELj8ELb1ELb0ELb1EEEvllPKT_S7_PKT0_SA_PS5_SB_.has_indirect_call, 0
	.section	.AMDGPU.csdata,"",@progbits
; Kernel info:
; codeLenInByte = 7700
; TotalNumSgprs: 32
; NumVgprs: 92
; ScratchSize: 0
; MemoryBound: 0
; FloatMode: 240
; IeeeMode: 1
; LDSByteSize: 0 bytes/workgroup (compile time only)
; SGPRBlocks: 0
; VGPRBlocks: 11
; NumSGPRsForWavesPerEU: 32
; NumVGPRsForWavesPerEU: 92
; Occupancy: 10
; WaveLimiterHint : 0
; COMPUTE_PGM_RSRC2:SCRATCH_EN: 0
; COMPUTE_PGM_RSRC2:USER_SGPR: 6
; COMPUTE_PGM_RSRC2:TRAP_HANDLER: 0
; COMPUTE_PGM_RSRC2:TGID_X_EN: 1
; COMPUTE_PGM_RSRC2:TGID_Y_EN: 1
; COMPUTE_PGM_RSRC2:TGID_Z_EN: 0
; COMPUTE_PGM_RSRC2:TIDIG_COMP_CNT: 1
	.section	.text._ZN2at6native12_GLOBAL__N_135GammaBetaBackwardCUDAKernelTemplateIN3c108BFloat16EfLj32ELj8ELj64ELb0ELb1ELb1EEEvllPKT_S7_PKT0_SA_PS5_SB_,"axG",@progbits,_ZN2at6native12_GLOBAL__N_135GammaBetaBackwardCUDAKernelTemplateIN3c108BFloat16EfLj32ELj8ELj64ELb0ELb1ELb1EEEvllPKT_S7_PKT0_SA_PS5_SB_,comdat
	.globl	_ZN2at6native12_GLOBAL__N_135GammaBetaBackwardCUDAKernelTemplateIN3c108BFloat16EfLj32ELj8ELj64ELb0ELb1ELb1EEEvllPKT_S7_PKT0_SA_PS5_SB_ ; -- Begin function _ZN2at6native12_GLOBAL__N_135GammaBetaBackwardCUDAKernelTemplateIN3c108BFloat16EfLj32ELj8ELj64ELb0ELb1ELb1EEEvllPKT_S7_PKT0_SA_PS5_SB_
	.p2align	8
	.type	_ZN2at6native12_GLOBAL__N_135GammaBetaBackwardCUDAKernelTemplateIN3c108BFloat16EfLj32ELj8ELj64ELb0ELb1ELb1EEEvllPKT_S7_PKT0_SA_PS5_SB_,@function
_ZN2at6native12_GLOBAL__N_135GammaBetaBackwardCUDAKernelTemplateIN3c108BFloat16EfLj32ELj8ELj64ELb0ELb1ELb1EEEvllPKT_S7_PKT0_SA_PS5_SB_: ; @_ZN2at6native12_GLOBAL__N_135GammaBetaBackwardCUDAKernelTemplateIN3c108BFloat16EfLj32ELj8ELj64ELb0ELb1ELb1EEEvllPKT_S7_PKT0_SA_PS5_SB_
; %bb.0:
	s_load_dwordx4 s[8:11], s[4:5], 0x0
	s_lshl_b32 s16, s7, 6
	s_mov_b32 s17, 0
	s_waitcnt lgkmcnt(0)
	v_cmp_gt_i64_e64 s0, s[8:9], s[16:17]
	s_and_b32 vcc_lo, exec_lo, s0
	s_cbranch_vccnz .LBB202_2
; %bb.1:
	s_mov_b32 s0, s17
	s_load_dwordx2 s[2:3], s[4:5], 0x30
	v_mov_b32_e32 v2, 0
	s_andn2_b32 vcc_lo, exec_lo, s0
	s_cbranch_vccz .LBB202_3
	s_branch .LBB202_9
.LBB202_2:
	s_load_dwordx2 s[2:3], s[4:5], 0x30
	v_mov_b32_e32 v2, 0
.LBB202_3:
	s_clause 0x3
	s_load_dword s0, s[4:5], 0x4c
	s_load_dword s1, s[4:5], 0x44
	s_load_dwordx4 s[12:15], s[4:5], 0x10
	s_load_dwordx2 s[18:19], s[4:5], 0x28
	v_lshlrev_b32_e32 v4, 3, v1
	v_mov_b32_e32 v3, 0
	v_lshl_add_u32 v2, s6, 5, v0
	v_mov_b32_e32 v8, 8
	v_mov_b32_e32 v9, 4
	v_add_co_u32 v4, s4, v4, s16
	v_add_co_ci_u32_e64 v5, null, 0, 0, s4
	v_lshlrev_b64 v[15:16], 1, v[2:3]
	v_mul_lo_u32 v17, s11, v4
	v_mov_b32_e32 v10, 12
	v_mul_lo_u32 v18, s10, v5
	v_mov_b32_e32 v11, 16
	v_mov_b32_e32 v12, 20
	;; [unrolled: 1-line block ×3, first 2 shown]
	s_waitcnt lgkmcnt(0)
	s_and_b32 s0, s0, 0xffff
	s_lshl_b32 s4, s1, 6
	v_mad_u32_u24 v6, v1, s0, v0
	s_mul_i32 s1, s11, s4
	s_mul_hi_u32 s7, s10, s4
	v_mov_b32_e32 v14, 28
	v_mov_b32_e32 v2, 0
	v_and_b32_e32 v21, 31, v6
	v_mad_u64_u32 v[6:7], null, s10, v4, 0
	s_mov_b32 s5, 0
	s_add_i32 s21, s7, s1
	v_add_co_u32 v4, vcc_lo, v4, v21
	v_add_co_ci_u32_e64 v5, null, 0, v5, vcc_lo
	v_add3_u32 v7, v7, v18, v17
	v_cmp_gt_u32_e64 s0, 8, v21
	s_mul_i32 s20, s10, s4
	v_lshlrev_b64 v[17:18], 2, v[4:5]
	s_lshl_b64 s[20:21], s[20:21], 1
	v_lshlrev_b64 v[19:20], 1, v[6:7]
	s_lshl_b64 s[10:11], s[10:11], 1
	v_add_co_u32 v6, vcc_lo, s18, v17
	v_add_co_ci_u32_e64 v7, null, s19, v18, vcc_lo
	v_add_co_u32 v15, vcc_lo, v19, v15
	v_add_co_ci_u32_e64 v16, null, v20, v16, vcc_lo
	s_lshl_b64 s[18:19], s[4:5], 2
	s_branch .LBB202_6
.LBB202_4:                              ;   in Loop: Header=BB202_6 Depth=1
	s_or_b32 exec_lo, exec_lo, s5
.LBB202_5:                              ;   in Loop: Header=BB202_6 Depth=1
	s_or_b32 exec_lo, exec_lo, s1
	v_add_co_u32 v18, vcc_lo, s12, v15
	v_add_co_ci_u32_e64 v19, null, s13, v16, vcc_lo
	v_add_co_u32 v20, vcc_lo, s14, v15
	v_add_co_ci_u32_e64 v21, null, s15, v16, vcc_lo
	global_load_ushort v28, v[18:19], off
	v_add_co_u32 v18, vcc_lo, v18, s10
	v_add_co_ci_u32_e64 v19, null, s11, v19, vcc_lo
	v_add_co_u32 v22, vcc_lo, v20, s10
	v_add_co_ci_u32_e64 v23, null, s11, v21, vcc_lo
	;; [unrolled: 2-line block ×4, first 2 shown]
	global_load_ushort v29, v[20:21], off
	global_load_ushort v30, v[18:19], off
	;; [unrolled: 1-line block ×5, first 2 shown]
	v_add_co_u32 v18, vcc_lo, v24, s10
	v_add_co_ci_u32_e64 v19, null, s11, v25, vcc_lo
	v_add_co_u32 v20, vcc_lo, v26, s10
	v_add_co_ci_u32_e64 v21, null, s11, v27, vcc_lo
	global_load_ushort v34, v[18:19], off
	v_add_co_u32 v18, vcc_lo, v18, s10
	v_add_co_ci_u32_e64 v19, null, s11, v19, vcc_lo
	v_add_co_u32 v22, vcc_lo, v20, s10
	v_add_co_ci_u32_e64 v23, null, s11, v21, vcc_lo
	;; [unrolled: 2-line block ×4, first 2 shown]
	global_load_ushort v35, v[20:21], off
	global_load_ushort v36, v[18:19], off
	;; [unrolled: 1-line block ×5, first 2 shown]
	v_add_co_u32 v18, vcc_lo, v26, s10
	v_add_co_ci_u32_e64 v19, null, s11, v27, vcc_lo
	v_add_co_u32 v20, vcc_lo, v24, s10
	v_add_co_ci_u32_e64 v21, null, s11, v25, vcc_lo
	global_load_ushort v24, v[18:19], off
	v_add_co_u32 v18, vcc_lo, v18, s10
	v_add_co_ci_u32_e64 v19, null, s11, v19, vcc_lo
	v_add_co_u32 v22, vcc_lo, v20, s10
	v_add_co_ci_u32_e64 v23, null, s11, v21, vcc_lo
	global_load_ushort v20, v[20:21], off
	global_load_ushort v18, v[18:19], off
	;; [unrolled: 1-line block ×3, first 2 shown]
	s_waitcnt vmcnt(16)
	ds_bpermute_b32 v21, v3, v17
	ds_bpermute_b32 v22, v9, v17
	ds_bpermute_b32 v26, v8, v17
	s_add_u32 s16, s16, s4
	v_add_co_u32 v6, vcc_lo, v6, s18
	s_addc_u32 s17, s17, 0
	v_add_co_ci_u32_e64 v7, null, s19, v7, vcc_lo
	v_add_co_u32 v4, vcc_lo, v4, s4
	v_cmp_lt_i64_e64 s1, s[16:17], s[8:9]
	v_add_co_ci_u32_e64 v5, null, 0, v5, vcc_lo
	v_add_co_u32 v15, vcc_lo, v15, s20
	v_add_co_ci_u32_e64 v16, null, s21, v16, vcc_lo
	s_and_b32 vcc_lo, exec_lo, s1
	s_waitcnt vmcnt(15)
	v_lshlrev_b32_e32 v25, 16, v28
	ds_bpermute_b32 v28, v10, v17
	s_waitcnt vmcnt(14)
	v_lshlrev_b32_e32 v23, 16, v29
	s_waitcnt vmcnt(12)
	v_lshlrev_b32_e32 v27, 16, v31
	s_waitcnt vmcnt(10)
	v_lshlrev_b32_e32 v29, 16, v33
	v_mul_f32_e32 v23, v25, v23
	v_lshlrev_b32_e32 v25, 16, v30
	s_waitcnt lgkmcnt(3)
	v_fmac_f32_e32 v2, v23, v21
	v_mul_f32_e32 v21, v25, v27
	v_lshlrev_b32_e32 v23, 16, v32
	ds_bpermute_b32 v25, v11, v17
	ds_bpermute_b32 v27, v12, v17
	s_waitcnt lgkmcnt(4)
	v_fmac_f32_e32 v2, v21, v22
	v_mul_f32_e32 v21, v23, v29
	s_waitcnt vmcnt(9)
	v_lshlrev_b32_e32 v22, 16, v34
	ds_bpermute_b32 v23, v13, v17
	ds_bpermute_b32 v17, v14, v17
	s_waitcnt lgkmcnt(5)
	v_fmac_f32_e32 v2, v21, v26
	s_waitcnt vmcnt(8)
	v_lshlrev_b32_e32 v30, 16, v35
	s_waitcnt vmcnt(6)
	v_lshlrev_b32_e32 v29, 16, v37
	;; [unrolled: 2-line block ×3, first 2 shown]
	v_mul_f32_e32 v21, v22, v30
	v_lshlrev_b32_e32 v22, 16, v36
	v_lshlrev_b32_e32 v30, 16, v38
	s_waitcnt lgkmcnt(4)
	v_fmac_f32_e32 v2, v21, v28
	v_mul_f32_e32 v21, v22, v29
	s_waitcnt vmcnt(3)
	v_lshlrev_b32_e32 v22, 16, v24
	s_waitcnt lgkmcnt(3)
	v_fmac_f32_e32 v2, v21, v25
	v_mul_f32_e32 v21, v30, v26
	s_waitcnt vmcnt(2)
	v_lshlrev_b32_e32 v20, 16, v20
	s_waitcnt vmcnt(1)
	v_lshlrev_b32_e32 v18, 16, v18
	;; [unrolled: 2-line block ×3, first 2 shown]
	s_waitcnt lgkmcnt(2)
	v_fmac_f32_e32 v2, v21, v27
	v_mul_f32_e32 v20, v20, v22
	v_mul_f32_e32 v18, v19, v18
	s_waitcnt lgkmcnt(1)
	v_fmac_f32_e32 v2, v20, v23
	s_waitcnt lgkmcnt(0)
	v_fmac_f32_e32 v2, v18, v17
	s_cbranch_vccz .LBB202_9
.LBB202_6:                              ; =>This Inner Loop Header: Depth=1
	v_mov_b32_e32 v17, 0
	s_and_saveexec_b32 s1, s0
	s_cbranch_execz .LBB202_5
; %bb.7:                                ;   in Loop: Header=BB202_6 Depth=1
	v_mov_b32_e32 v17, 0
	s_mov_b32 s5, exec_lo
	v_cmpx_gt_i64_e64 s[8:9], v[4:5]
	s_cbranch_execz .LBB202_4
; %bb.8:                                ;   in Loop: Header=BB202_6 Depth=1
	global_load_dword v17, v[6:7], off
	s_branch .LBB202_4
.LBB202_9:
	v_mad_u32_u24 v3, v1, 33, v0
	v_lshrrev_b32_e32 v4, 5, v0
	s_mov_b32 s0, exec_lo
	v_lshl_add_u32 v3, v3, 2, 0
	v_add_nc_u32_e32 v1, v4, v1
	v_mov_b32_e32 v4, 0
	ds_write_b32 v3, v2
	ds_write_b32 v3, v4 offset:1056
	s_waitcnt lgkmcnt(0)
	s_barrier
	buffer_gl0_inv
	v_cmpx_gt_u32_e32 32, v1
	s_cbranch_execz .LBB202_29
; %bb.10:
	v_and_b32_e32 v2, 31, v0
	v_cmp_gt_u32_e64 s0, 8, v2
	v_mul_u32_u24_e32 v3, 33, v2
                                        ; implicit-def: $vgpr2
	s_and_saveexec_b32 s1, s0
	s_cbranch_execz .LBB202_12
; %bb.11:
	v_lshlrev_b32_e32 v2, 2, v1
	v_lshlrev_b32_e32 v4, 2, v3
	v_add3_u32 v2, 0, v2, v4
	ds_read_b32 v2, v2
.LBB202_12:
	s_or_b32 exec_lo, exec_lo, s1
	v_mbcnt_lo_u32_b32 v6, -1, 0
	s_cmp_lg_u64 s[2:3], 0
	s_mov_b32 s7, 0
	s_cselect_b32 s1, -1, 0
	s_lshl_b64 s[6:7], s[6:7], 6
	v_xor_b32_e32 v4, 4, v6
	v_xor_b32_e32 v5, 2, v6
	;; [unrolled: 1-line block ×3, first 2 shown]
	v_cmp_gt_i32_e32 vcc_lo, 32, v4
	v_cndmask_b32_e32 v4, v6, v4, vcc_lo
	v_cmp_gt_i32_e32 vcc_lo, 32, v5
	v_lshlrev_b32_e32 v4, 2, v4
	v_cndmask_b32_e32 v5, v6, v5, vcc_lo
	v_cmp_gt_i32_e32 vcc_lo, 32, v8
	s_waitcnt lgkmcnt(0)
	ds_bpermute_b32 v7, v4, v2
	v_lshlrev_b32_e32 v5, 2, v5
	v_cndmask_b32_e32 v6, v6, v8, vcc_lo
	v_cmp_eq_u32_e32 vcc_lo, 0, v0
	v_lshlrev_b32_e32 v6, 2, v6
	s_and_b32 s4, vcc_lo, s1
	s_add_u32 s1, s2, s6
	s_addc_u32 s2, s3, s7
	s_waitcnt lgkmcnt(0)
	v_add_f32_e32 v2, v2, v7
	ds_bpermute_b32 v7, v5, v2
	s_waitcnt lgkmcnt(0)
	v_add_f32_e32 v2, v2, v7
	ds_bpermute_b32 v7, v6, v2
	s_waitcnt lgkmcnt(0)
	v_add_f32_e32 v0, v2, v7
	s_and_saveexec_b32 s3, s4
	s_cbranch_execz .LBB202_14
; %bb.13:
	v_bfe_u32 v7, v0, 16, 1
	v_mov_b32_e32 v2, 0
	v_cmp_o_f32_e32 vcc_lo, v0, v0
	v_mov_b32_e32 v9, 0x7fc0
	v_add3_u32 v10, v0, v7, 0x7fff
	v_lshlrev_b64 v[7:8], 1, v[1:2]
	v_cndmask_b32_sdwa v2, v9, v10, vcc_lo dst_sel:DWORD dst_unused:UNUSED_PAD src0_sel:DWORD src1_sel:WORD_1
	v_add_co_u32 v7, vcc_lo, s1, v7
	v_add_co_ci_u32_e64 v8, null, s2, v8, vcc_lo
	global_store_short v[7:8], v2, off
.LBB202_14:
	s_or_b32 exec_lo, exec_lo, s3
	v_cmp_gt_u32_e32 vcc_lo, 24, v1
	s_and_b32 exec_lo, exec_lo, vcc_lo
	s_cbranch_execz .LBB202_29
; %bb.15:
	s_and_saveexec_b32 s3, s0
	s_cbranch_execz .LBB202_17
; %bb.16:
	v_lshlrev_b32_e32 v0, 2, v1
	v_lshlrev_b32_e32 v2, 2, v3
	v_add3_u32 v0, 0, v0, v2
	ds_read_b32 v0, v0 offset:32
.LBB202_17:
	s_or_b32 exec_lo, exec_lo, s3
	s_waitcnt lgkmcnt(0)
	ds_bpermute_b32 v2, v4, v0
	s_waitcnt lgkmcnt(0)
	v_add_f32_e32 v0, v0, v2
	ds_bpermute_b32 v2, v5, v0
	s_waitcnt lgkmcnt(0)
	v_add_f32_e32 v0, v0, v2
	;; [unrolled: 3-line block ×3, first 2 shown]
	s_and_saveexec_b32 s3, s4
	s_cbranch_execz .LBB202_19
; %bb.18:
	v_bfe_u32 v7, v0, 16, 1
	v_mov_b32_e32 v2, 0
	v_cmp_o_f32_e32 vcc_lo, v0, v0
	v_mov_b32_e32 v9, 0x7fc0
	v_add3_u32 v10, v0, v7, 0x7fff
	v_lshlrev_b64 v[7:8], 1, v[1:2]
	v_cndmask_b32_sdwa v2, v9, v10, vcc_lo dst_sel:DWORD dst_unused:UNUSED_PAD src0_sel:DWORD src1_sel:WORD_1
	v_add_co_u32 v7, vcc_lo, s1, v7
	v_add_co_ci_u32_e64 v8, null, s2, v8, vcc_lo
	global_store_short v[7:8], v2, off offset:16
.LBB202_19:
	s_or_b32 exec_lo, exec_lo, s3
	v_cmp_gt_u32_e32 vcc_lo, 16, v1
	s_and_b32 exec_lo, exec_lo, vcc_lo
	s_cbranch_execz .LBB202_29
; %bb.20:
	s_and_saveexec_b32 s3, s0
	s_cbranch_execz .LBB202_22
; %bb.21:
	v_lshlrev_b32_e32 v0, 2, v1
	v_lshlrev_b32_e32 v2, 2, v3
	v_add3_u32 v0, 0, v0, v2
	ds_read_b32 v0, v0 offset:64
.LBB202_22:
	s_or_b32 exec_lo, exec_lo, s3
	s_waitcnt lgkmcnt(0)
	ds_bpermute_b32 v2, v4, v0
	s_waitcnt lgkmcnt(0)
	v_add_f32_e32 v0, v0, v2
	ds_bpermute_b32 v2, v5, v0
	s_waitcnt lgkmcnt(0)
	v_add_f32_e32 v0, v0, v2
	;; [unrolled: 3-line block ×3, first 2 shown]
	s_and_saveexec_b32 s3, s4
	s_cbranch_execz .LBB202_24
; %bb.23:
	v_bfe_u32 v7, v0, 16, 1
	v_mov_b32_e32 v2, 0
	v_cmp_o_f32_e32 vcc_lo, v0, v0
	v_mov_b32_e32 v9, 0x7fc0
	v_add3_u32 v10, v0, v7, 0x7fff
	v_lshlrev_b64 v[7:8], 1, v[1:2]
	v_cndmask_b32_sdwa v2, v9, v10, vcc_lo dst_sel:DWORD dst_unused:UNUSED_PAD src0_sel:DWORD src1_sel:WORD_1
	v_add_co_u32 v7, vcc_lo, s1, v7
	v_add_co_ci_u32_e64 v8, null, s2, v8, vcc_lo
	global_store_short v[7:8], v2, off offset:32
.LBB202_24:
	s_or_b32 exec_lo, exec_lo, s3
	v_cmp_gt_u32_e32 vcc_lo, 8, v1
	s_and_b32 exec_lo, exec_lo, vcc_lo
	s_cbranch_execz .LBB202_29
; %bb.25:
	s_and_saveexec_b32 s3, s0
	s_cbranch_execz .LBB202_27
; %bb.26:
	v_lshlrev_b32_e32 v0, 2, v1
	v_lshlrev_b32_e32 v2, 2, v3
	v_add3_u32 v0, 0, v0, v2
	ds_read_b32 v0, v0 offset:96
.LBB202_27:
	s_or_b32 exec_lo, exec_lo, s3
	s_waitcnt lgkmcnt(0)
	ds_bpermute_b32 v2, v4, v0
	s_waitcnt lgkmcnt(0)
	v_add_f32_e32 v0, v0, v2
	ds_bpermute_b32 v2, v5, v0
	s_waitcnt lgkmcnt(0)
	v_add_f32_e32 v0, v0, v2
	ds_bpermute_b32 v2, v6, v0
	s_and_saveexec_b32 s0, s4
	s_xor_b32 s0, exec_lo, s0
	s_cbranch_execz .LBB202_29
; %bb.28:
	s_waitcnt lgkmcnt(0)
	v_add_f32_e32 v0, v0, v2
	v_mov_b32_e32 v2, 0
	v_mov_b32_e32 v4, 0x7fc0
	v_bfe_u32 v3, v0, 16, 1
	v_cmp_o_f32_e32 vcc_lo, v0, v0
	v_add3_u32 v3, v0, v3, 0x7fff
	v_lshlrev_b64 v[0:1], 1, v[1:2]
	v_cndmask_b32_sdwa v2, v4, v3, vcc_lo dst_sel:DWORD dst_unused:UNUSED_PAD src0_sel:DWORD src1_sel:WORD_1
	v_add_co_u32 v0, vcc_lo, s1, v0
	v_add_co_ci_u32_e64 v1, null, s2, v1, vcc_lo
	global_store_short v[0:1], v2, off offset:48
.LBB202_29:
	s_endpgm
	.section	.rodata,"a",@progbits
	.p2align	6, 0x0
	.amdhsa_kernel _ZN2at6native12_GLOBAL__N_135GammaBetaBackwardCUDAKernelTemplateIN3c108BFloat16EfLj32ELj8ELj64ELb0ELb1ELb1EEEvllPKT_S7_PKT0_SA_PS5_SB_
		.amdhsa_group_segment_fixed_size 0
		.amdhsa_private_segment_fixed_size 0
		.amdhsa_kernarg_size 320
		.amdhsa_user_sgpr_count 6
		.amdhsa_user_sgpr_private_segment_buffer 1
		.amdhsa_user_sgpr_dispatch_ptr 0
		.amdhsa_user_sgpr_queue_ptr 0
		.amdhsa_user_sgpr_kernarg_segment_ptr 1
		.amdhsa_user_sgpr_dispatch_id 0
		.amdhsa_user_sgpr_flat_scratch_init 0
		.amdhsa_user_sgpr_private_segment_size 0
		.amdhsa_wavefront_size32 1
		.amdhsa_uses_dynamic_stack 0
		.amdhsa_system_sgpr_private_segment_wavefront_offset 0
		.amdhsa_system_sgpr_workgroup_id_x 1
		.amdhsa_system_sgpr_workgroup_id_y 1
		.amdhsa_system_sgpr_workgroup_id_z 0
		.amdhsa_system_sgpr_workgroup_info 0
		.amdhsa_system_vgpr_workitem_id 1
		.amdhsa_next_free_vgpr 40
		.amdhsa_next_free_sgpr 22
		.amdhsa_reserve_vcc 1
		.amdhsa_reserve_flat_scratch 0
		.amdhsa_float_round_mode_32 0
		.amdhsa_float_round_mode_16_64 0
		.amdhsa_float_denorm_mode_32 3
		.amdhsa_float_denorm_mode_16_64 3
		.amdhsa_dx10_clamp 1
		.amdhsa_ieee_mode 1
		.amdhsa_fp16_overflow 0
		.amdhsa_workgroup_processor_mode 1
		.amdhsa_memory_ordered 1
		.amdhsa_forward_progress 1
		.amdhsa_shared_vgpr_count 0
		.amdhsa_exception_fp_ieee_invalid_op 0
		.amdhsa_exception_fp_denorm_src 0
		.amdhsa_exception_fp_ieee_div_zero 0
		.amdhsa_exception_fp_ieee_overflow 0
		.amdhsa_exception_fp_ieee_underflow 0
		.amdhsa_exception_fp_ieee_inexact 0
		.amdhsa_exception_int_div_zero 0
	.end_amdhsa_kernel
	.section	.text._ZN2at6native12_GLOBAL__N_135GammaBetaBackwardCUDAKernelTemplateIN3c108BFloat16EfLj32ELj8ELj64ELb0ELb1ELb1EEEvllPKT_S7_PKT0_SA_PS5_SB_,"axG",@progbits,_ZN2at6native12_GLOBAL__N_135GammaBetaBackwardCUDAKernelTemplateIN3c108BFloat16EfLj32ELj8ELj64ELb0ELb1ELb1EEEvllPKT_S7_PKT0_SA_PS5_SB_,comdat
.Lfunc_end202:
	.size	_ZN2at6native12_GLOBAL__N_135GammaBetaBackwardCUDAKernelTemplateIN3c108BFloat16EfLj32ELj8ELj64ELb0ELb1ELb1EEEvllPKT_S7_PKT0_SA_PS5_SB_, .Lfunc_end202-_ZN2at6native12_GLOBAL__N_135GammaBetaBackwardCUDAKernelTemplateIN3c108BFloat16EfLj32ELj8ELj64ELb0ELb1ELb1EEEvllPKT_S7_PKT0_SA_PS5_SB_
                                        ; -- End function
	.set _ZN2at6native12_GLOBAL__N_135GammaBetaBackwardCUDAKernelTemplateIN3c108BFloat16EfLj32ELj8ELj64ELb0ELb1ELb1EEEvllPKT_S7_PKT0_SA_PS5_SB_.num_vgpr, 40
	.set _ZN2at6native12_GLOBAL__N_135GammaBetaBackwardCUDAKernelTemplateIN3c108BFloat16EfLj32ELj8ELj64ELb0ELb1ELb1EEEvllPKT_S7_PKT0_SA_PS5_SB_.num_agpr, 0
	.set _ZN2at6native12_GLOBAL__N_135GammaBetaBackwardCUDAKernelTemplateIN3c108BFloat16EfLj32ELj8ELj64ELb0ELb1ELb1EEEvllPKT_S7_PKT0_SA_PS5_SB_.numbered_sgpr, 22
	.set _ZN2at6native12_GLOBAL__N_135GammaBetaBackwardCUDAKernelTemplateIN3c108BFloat16EfLj32ELj8ELj64ELb0ELb1ELb1EEEvllPKT_S7_PKT0_SA_PS5_SB_.num_named_barrier, 0
	.set _ZN2at6native12_GLOBAL__N_135GammaBetaBackwardCUDAKernelTemplateIN3c108BFloat16EfLj32ELj8ELj64ELb0ELb1ELb1EEEvllPKT_S7_PKT0_SA_PS5_SB_.private_seg_size, 0
	.set _ZN2at6native12_GLOBAL__N_135GammaBetaBackwardCUDAKernelTemplateIN3c108BFloat16EfLj32ELj8ELj64ELb0ELb1ELb1EEEvllPKT_S7_PKT0_SA_PS5_SB_.uses_vcc, 1
	.set _ZN2at6native12_GLOBAL__N_135GammaBetaBackwardCUDAKernelTemplateIN3c108BFloat16EfLj32ELj8ELj64ELb0ELb1ELb1EEEvllPKT_S7_PKT0_SA_PS5_SB_.uses_flat_scratch, 0
	.set _ZN2at6native12_GLOBAL__N_135GammaBetaBackwardCUDAKernelTemplateIN3c108BFloat16EfLj32ELj8ELj64ELb0ELb1ELb1EEEvllPKT_S7_PKT0_SA_PS5_SB_.has_dyn_sized_stack, 0
	.set _ZN2at6native12_GLOBAL__N_135GammaBetaBackwardCUDAKernelTemplateIN3c108BFloat16EfLj32ELj8ELj64ELb0ELb1ELb1EEEvllPKT_S7_PKT0_SA_PS5_SB_.has_recursion, 0
	.set _ZN2at6native12_GLOBAL__N_135GammaBetaBackwardCUDAKernelTemplateIN3c108BFloat16EfLj32ELj8ELj64ELb0ELb1ELb1EEEvllPKT_S7_PKT0_SA_PS5_SB_.has_indirect_call, 0
	.section	.AMDGPU.csdata,"",@progbits
; Kernel info:
; codeLenInByte = 2056
; TotalNumSgprs: 24
; NumVgprs: 40
; ScratchSize: 0
; MemoryBound: 0
; FloatMode: 240
; IeeeMode: 1
; LDSByteSize: 0 bytes/workgroup (compile time only)
; SGPRBlocks: 0
; VGPRBlocks: 4
; NumSGPRsForWavesPerEU: 24
; NumVGPRsForWavesPerEU: 40
; Occupancy: 16
; WaveLimiterHint : 0
; COMPUTE_PGM_RSRC2:SCRATCH_EN: 0
; COMPUTE_PGM_RSRC2:USER_SGPR: 6
; COMPUTE_PGM_RSRC2:TRAP_HANDLER: 0
; COMPUTE_PGM_RSRC2:TGID_X_EN: 1
; COMPUTE_PGM_RSRC2:TGID_Y_EN: 1
; COMPUTE_PGM_RSRC2:TGID_Z_EN: 0
; COMPUTE_PGM_RSRC2:TIDIG_COMP_CNT: 1
	.section	.text._ZN2at6native12_GLOBAL__N_135GammaBetaBackwardCUDAKernelTemplateIN3c108BFloat16EfLj32ELj8ELj64ELb0ELb0ELb1EEEvllPKT_S7_PKT0_SA_PS5_SB_,"axG",@progbits,_ZN2at6native12_GLOBAL__N_135GammaBetaBackwardCUDAKernelTemplateIN3c108BFloat16EfLj32ELj8ELj64ELb0ELb0ELb1EEEvllPKT_S7_PKT0_SA_PS5_SB_,comdat
	.globl	_ZN2at6native12_GLOBAL__N_135GammaBetaBackwardCUDAKernelTemplateIN3c108BFloat16EfLj32ELj8ELj64ELb0ELb0ELb1EEEvllPKT_S7_PKT0_SA_PS5_SB_ ; -- Begin function _ZN2at6native12_GLOBAL__N_135GammaBetaBackwardCUDAKernelTemplateIN3c108BFloat16EfLj32ELj8ELj64ELb0ELb0ELb1EEEvllPKT_S7_PKT0_SA_PS5_SB_
	.p2align	8
	.type	_ZN2at6native12_GLOBAL__N_135GammaBetaBackwardCUDAKernelTemplateIN3c108BFloat16EfLj32ELj8ELj64ELb0ELb0ELb1EEEvllPKT_S7_PKT0_SA_PS5_SB_,@function
_ZN2at6native12_GLOBAL__N_135GammaBetaBackwardCUDAKernelTemplateIN3c108BFloat16EfLj32ELj8ELj64ELb0ELb0ELb1EEEvllPKT_S7_PKT0_SA_PS5_SB_: ; @_ZN2at6native12_GLOBAL__N_135GammaBetaBackwardCUDAKernelTemplateIN3c108BFloat16EfLj32ELj8ELj64ELb0ELb0ELb1EEEvllPKT_S7_PKT0_SA_PS5_SB_
; %bb.0:
	s_clause 0x1
	s_load_dwordx8 s[8:15], s[4:5], 0x0
	s_load_dwordx2 s[2:3], s[4:5], 0x28
	s_lshl_b32 s26, s6, 5
	s_mov_b32 s17, 0
	s_or_b32 s16, s26, 31
	s_waitcnt lgkmcnt(0)
	v_cmp_le_i64_e64 s0, s[10:11], s[16:17]
	s_lshl_b32 s16, s7, 6
	v_cmp_gt_i64_e64 s7, s[8:9], s[16:17]
	s_and_b32 vcc_lo, exec_lo, s0
	v_cndmask_b32_e64 v2, 0, 1, s7
	v_cmp_ne_u32_e64 s0, 1, v2
	s_cbranch_vccz .LBB203_49
; %bb.1:
	v_mov_b32_e32 v85, 0
	s_and_b32 vcc_lo, exec_lo, s0
	s_cbranch_vccnz .LBB203_50
; %bb.2:
	v_lshlrev_b32_e32 v21, 3, v1
	v_mov_b32_e32 v2, 0
	v_add_nc_u32_e32 v5, s26, v0
	s_load_dword s1, s[4:5], 0x44
	s_add_u32 s18, s4, 64
	v_add_co_u32 v11, s0, v21, s16
	v_add_co_ci_u32_e64 v12, null, 0, 0, s0
	v_mov_b32_e32 v6, v2
	v_mul_lo_u32 v7, s11, v11
	v_mad_u64_u32 v[3:4], null, s10, v11, 0
	v_mul_lo_u32 v8, s10, v12
	v_cmp_gt_i64_e64 s0, s[10:11], v[5:6]
	v_lshlrev_b64 v[19:20], 1, v[5:6]
	s_addc_u32 s19, s5, 0
	v_mov_b32_e32 v54, 0
	s_mov_b64 s[24:25], s[16:17]
	v_add3_u32 v4, v4, v8, v7
	v_add_co_u32 v7, vcc_lo, v11, 7
	v_add_co_ci_u32_e64 v8, null, 0, v12, vcc_lo
	v_lshlrev_b64 v[5:6], 1, v[3:4]
	v_mul_lo_u32 v13, s11, v7
	s_waitcnt lgkmcnt(0)
	s_lshl_b32 s27, s1, 6
	v_mul_lo_u32 v14, s10, v8
	v_mad_u64_u32 v[7:8], null, s10, v7, 0
	v_add_co_u32 v22, vcc_lo, s12, v5
	v_add_co_ci_u32_e64 v23, null, s13, v6, vcc_lo
	v_add_co_u32 v9, vcc_lo, v11, 6
	v_add_co_ci_u32_e64 v10, null, 0, v12, vcc_lo
	v_add_co_u32 v24, vcc_lo, s14, v5
	v_mul_lo_u32 v15, s11, v9
	v_mul_lo_u32 v16, s10, v10
	v_mad_u64_u32 v[9:10], null, s10, v9, 0
	v_add3_u32 v8, v8, v14, v13
	v_add_co_ci_u32_e64 v25, null, s15, v6, vcc_lo
	v_add_co_u32 v13, vcc_lo, v11, 5
	v_add_co_ci_u32_e64 v14, null, 0, v12, vcc_lo
	v_add3_u32 v10, v10, v16, v15
	v_lshlrev_b64 v[5:6], 1, v[7:8]
	v_mul_lo_u32 v15, s11, v13
	v_mul_lo_u32 v14, s10, v14
	s_mul_i32 s1, s11, s27
	v_lshlrev_b64 v[7:8], 1, v[9:10]
	v_mad_u64_u32 v[9:10], null, s10, v13, 0
	v_add_co_u32 v26, vcc_lo, s12, v5
	v_add_co_ci_u32_e64 v27, null, s13, v6, vcc_lo
	v_add_co_u32 v28, vcc_lo, s14, v5
	v_add_co_ci_u32_e64 v29, null, s15, v6, vcc_lo
	v_add_co_u32 v30, vcc_lo, s12, v7
	v_add3_u32 v10, v10, v14, v15
	s_mul_hi_u32 s20, s10, s27
	v_add_co_ci_u32_e64 v31, null, s13, v8, vcc_lo
	v_add_co_u32 v13, vcc_lo, v11, 4
	s_add_i32 s21, s20, s1
	v_add_co_u32 v32, s1, s14, v7
	v_add_co_ci_u32_e64 v7, null, 0, v12, vcc_lo
	v_lshlrev_b64 v[5:6], 1, v[9:10]
	v_add_co_u32 v9, vcc_lo, v11, 3
	v_add_co_ci_u32_e64 v10, null, 0, v12, vcc_lo
	v_add_co_ci_u32_e64 v33, null, s15, v8, s1
	v_mul_lo_u32 v14, s11, v13
	v_mul_lo_u32 v15, s10, v7
	v_mad_u64_u32 v[7:8], null, s10, v13, 0
	v_mul_lo_u32 v13, s11, v9
	v_mul_lo_u32 v16, s10, v10
	v_mad_u64_u32 v[9:10], null, s10, v9, 0
	v_add_co_u32 v34, vcc_lo, s12, v5
	v_add_co_ci_u32_e64 v35, null, s13, v6, vcc_lo
	v_add3_u32 v8, v8, v15, v14
	v_add_co_u32 v36, vcc_lo, s14, v5
	v_add_co_ci_u32_e64 v37, null, s15, v6, vcc_lo
	v_add_co_u32 v11, vcc_lo, v11, 2
	v_add3_u32 v10, v10, v16, v13
	v_add_co_ci_u32_e64 v12, null, 0, v12, vcc_lo
	v_lshlrev_b64 v[5:6], 1, v[7:8]
	v_mul_lo_u32 v13, s11, v11
	v_lshlrev_b64 v[7:8], 1, v[9:10]
	v_mul_lo_u32 v12, s10, v12
	v_mad_u64_u32 v[9:10], null, s10, v11, 0
	v_add_co_u32 v38, vcc_lo, s12, v5
	v_add_co_ci_u32_e64 v39, null, s13, v6, vcc_lo
	v_add_co_u32 v40, vcc_lo, s14, v5
	v_add_co_ci_u32_e64 v41, null, s15, v6, vcc_lo
	;; [unrolled: 2-line block ×3, first 2 shown]
	v_add3_u32 v10, v10, v12, v13
	v_add_co_u32 v44, vcc_lo, s14, v7
	v_add_co_ci_u32_e64 v45, null, s15, v8, vcc_lo
	v_add_co_u32 v3, vcc_lo, v3, s10
	v_add_co_ci_u32_e64 v4, null, s11, v4, vcc_lo
	v_lshlrev_b64 v[5:6], 1, v[9:10]
	s_mul_i32 s20, s10, s27
	v_lshlrev_b64 v[3:4], 1, v[3:4]
	s_lshl_b64 s[20:21], s[20:21], 1
	s_add_u32 s22, s16, 63
	v_add_co_u32 v46, vcc_lo, s12, v5
	v_add_co_ci_u32_e64 v47, null, s13, v6, vcc_lo
	v_add_co_u32 v48, vcc_lo, s14, v5
	v_add_co_ci_u32_e64 v49, null, s15, v6, vcc_lo
	;; [unrolled: 2-line block ×4, first 2 shown]
	s_addc_u32 s23, 0, 0
.LBB203_3:                              ; =>This Inner Loop Header: Depth=1
	v_cmp_ge_i64_e64 s1, s[22:23], s[8:9]
	v_add_co_u32 v55, s28, v21, s22
	v_add_co_ci_u32_e64 v56, null, 0, s23, s28
                                        ; implicit-def: $vgpr3_vgpr4_vgpr5_vgpr6_vgpr7_vgpr8_vgpr9_vgpr10
                                        ; implicit-def: $vgpr85
                                        ; implicit-def: $vgpr11_vgpr12_vgpr13_vgpr14_vgpr15_vgpr16_vgpr17_vgpr18
                                        ; implicit-def: $vgpr3
	s_and_b32 vcc_lo, exec_lo, s1
	s_mov_b32 s1, -1
	s_cbranch_vccz .LBB203_25
; %bb.4:                                ;   in Loop: Header=BB203_3 Depth=1
	s_load_dword s1, s[18:19], 0xc
	v_mov_b32_e32 v57, 0
	s_waitcnt lgkmcnt(0)
	s_and_b32 s1, s1, 0xffff
	v_mad_u32_u24 v3, v1, s1, v0
	s_mov_b32 s1, exec_lo
	v_and_b32_e32 v3, 31, v3
	v_cmpx_gt_u32_e32 8, v3
	s_cbranch_execz .LBB203_8
; %bb.5:                                ;   in Loop: Header=BB203_3 Depth=1
	v_add_co_u32 v3, vcc_lo, v55, v3
	v_add_co_ci_u32_e64 v4, null, 0, v56, vcc_lo
	v_mov_b32_e32 v57, 0
	v_add_co_u32 v3, vcc_lo, 0xffffffc1, v3
	v_add_co_ci_u32_e64 v4, null, -1, v4, vcc_lo
	s_mov_b32 s28, exec_lo
	v_cmpx_gt_i64_e64 s[8:9], v[3:4]
	s_cbranch_execz .LBB203_7
; %bb.6:                                ;   in Loop: Header=BB203_3 Depth=1
	v_lshlrev_b64 v[3:4], 2, v[3:4]
	v_add_co_u32 v3, vcc_lo, s2, v3
	v_add_co_ci_u32_e64 v4, null, s3, v4, vcc_lo
	global_load_dword v57, v[3:4], off
.LBB203_7:                              ;   in Loop: Header=BB203_3 Depth=1
	s_or_b32 exec_lo, exec_lo, s28
.LBB203_8:                              ;   in Loop: Header=BB203_3 Depth=1
	s_or_b32 exec_lo, exec_lo, s1
	v_add_co_u32 v10, vcc_lo, 0xffffffc1, v55
	v_add_co_ci_u32_e64 v11, null, -1, v56, vcc_lo
	v_mov_b32_e32 v9, v2
	v_mov_b32_e32 v3, v2
	;; [unrolled: 1-line block ×7, first 2 shown]
	v_cmp_gt_i64_e32 vcc_lo, s[8:9], v[10:11]
	v_mov_b32_e32 v18, v9
	v_mov_b32_e32 v15, v6
	;; [unrolled: 1-line block ×16, first 2 shown]
	s_and_b32 s28, s0, vcc_lo
	s_and_saveexec_b32 s1, s28
	s_cbranch_execz .LBB203_10
; %bb.9:                                ;   in Loop: Header=BB203_3 Depth=1
	v_add_co_u32 v3, vcc_lo, v22, v19
	v_add_co_ci_u32_e64 v4, null, v23, v20, vcc_lo
	v_add_co_u32 v5, vcc_lo, v24, v19
	v_add_co_ci_u32_e64 v6, null, v25, v20, vcc_lo
	global_load_ushort v3, v[3:4], off
	global_load_ushort v11, v[5:6], off
	v_mov_b32_e32 v4, v2
	v_mov_b32_e32 v5, v2
	;; [unrolled: 1-line block ×14, first 2 shown]
	s_waitcnt vmcnt(1)
	v_lshlrev_b32_e32 v3, 16, v3
	s_waitcnt vmcnt(0)
	v_lshlrev_b32_e32 v11, 16, v11
.LBB203_10:                             ;   in Loop: Header=BB203_3 Depth=1
	s_or_b32 exec_lo, exec_lo, s1
	v_add_co_u32 v58, vcc_lo, 0xffffffc2, v55
	v_add_co_ci_u32_e64 v59, null, -1, v56, vcc_lo
	v_cmp_gt_i64_e32 vcc_lo, s[8:9], v[58:59]
	s_and_b32 s28, s0, vcc_lo
	s_and_saveexec_b32 s1, s28
	s_cbranch_execz .LBB203_12
; %bb.11:                               ;   in Loop: Header=BB203_3 Depth=1
	v_add_co_u32 v58, vcc_lo, v50, v19
	v_add_co_ci_u32_e64 v59, null, v51, v20, vcc_lo
	v_add_co_u32 v60, vcc_lo, v52, v19
	v_add_co_ci_u32_e64 v61, null, v53, v20, vcc_lo
	global_load_ushort v4, v[58:59], off
	global_load_ushort v12, v[60:61], off
	s_waitcnt vmcnt(1)
	v_lshlrev_b32_e32 v4, 16, v4
	s_waitcnt vmcnt(0)
	v_lshlrev_b32_e32 v12, 16, v12
.LBB203_12:                             ;   in Loop: Header=BB203_3 Depth=1
	s_or_b32 exec_lo, exec_lo, s1
	v_add_co_u32 v58, vcc_lo, 0xffffffc3, v55
	v_add_co_ci_u32_e64 v59, null, -1, v56, vcc_lo
	v_cmp_gt_i64_e32 vcc_lo, s[8:9], v[58:59]
	s_and_b32 s28, s0, vcc_lo
	s_and_saveexec_b32 s1, s28
	s_cbranch_execz .LBB203_14
; %bb.13:                               ;   in Loop: Header=BB203_3 Depth=1
	v_add_co_u32 v58, vcc_lo, v46, v19
	v_add_co_ci_u32_e64 v59, null, v47, v20, vcc_lo
	v_add_co_u32 v60, vcc_lo, v48, v19
	v_add_co_ci_u32_e64 v61, null, v49, v20, vcc_lo
	global_load_ushort v5, v[58:59], off
	global_load_ushort v13, v[60:61], off
	s_waitcnt vmcnt(1)
	v_lshlrev_b32_e32 v5, 16, v5
	s_waitcnt vmcnt(0)
	v_lshlrev_b32_e32 v13, 16, v13
.LBB203_14:                             ;   in Loop: Header=BB203_3 Depth=1
	;; [unrolled: 19-line block ×7, first 2 shown]
	s_or_b32 exec_lo, exec_lo, s1
	s_waitcnt vmcnt(0)
	ds_bpermute_b32 v58, v2, v57
	ds_bpermute_b32 v59, v2, v57 offset:4
	ds_bpermute_b32 v60, v2, v57 offset:8
	v_mul_f32_e32 v3, v11, v3
	ds_bpermute_b32 v11, v2, v57 offset:12
	v_mul_f32_e32 v4, v12, v4
	;; [unrolled: 2-line block ×3, first 2 shown]
	s_mov_b32 s1, 0
	s_waitcnt lgkmcnt(4)
	v_fma_f32 v85, v3, v58, v54
	v_mul_f32_e32 v3, v13, v5
	ds_bpermute_b32 v5, v2, v57 offset:20
	s_waitcnt lgkmcnt(4)
	v_fmac_f32_e32 v85, v4, v59
	v_mul_f32_e32 v4, v14, v6
	ds_bpermute_b32 v6, v2, v57 offset:24
	s_waitcnt lgkmcnt(4)
	v_fmac_f32_e32 v85, v3, v60
	ds_bpermute_b32 v3, v2, v57 offset:28
	s_waitcnt lgkmcnt(4)
	v_fmac_f32_e32 v85, v4, v11
	v_mul_f32_e32 v4, v16, v8
	s_waitcnt lgkmcnt(3)
	v_fmac_f32_e32 v85, v7, v12
	s_waitcnt lgkmcnt(2)
	v_fmac_f32_e32 v85, v4, v5
	v_mul_f32_e32 v4, v17, v9
	s_waitcnt lgkmcnt(1)
	v_fmac_f32_e32 v85, v4, v6
.LBB203_25:                             ;   in Loop: Header=BB203_3 Depth=1
	s_and_b32 vcc_lo, exec_lo, s1
	s_cbranch_vccz .LBB203_40
; %bb.26:                               ;   in Loop: Header=BB203_3 Depth=1
	s_load_dword s1, s[18:19], 0x0
	v_mov_b32_e32 v57, 0
	s_waitcnt lgkmcnt(0)
	s_cmp_lt_u32 s6, s1
	s_cselect_b32 s1, 12, 18
	s_add_u32 s28, s18, s1
	s_addc_u32 s29, s19, 0
	s_mov_b32 s1, exec_lo
	global_load_ushort v3, v2, s[28:29]
	s_waitcnt vmcnt(0)
	v_mad_u32_u24 v3, v1, v3, v0
	v_and_b32_e32 v3, 31, v3
	v_cmpx_gt_u32_e32 8, v3
	s_cbranch_execz .LBB203_30
; %bb.27:                               ;   in Loop: Header=BB203_3 Depth=1
	v_add_co_u32 v3, vcc_lo, v55, v3
	v_add_co_ci_u32_e64 v4, null, 0, v56, vcc_lo
	v_mov_b32_e32 v57, 0
	v_add_co_u32 v3, vcc_lo, 0xffffffc1, v3
	v_add_co_ci_u32_e64 v4, null, -1, v4, vcc_lo
	s_mov_b32 s28, exec_lo
	v_cmpx_gt_i64_e64 s[8:9], v[3:4]
	s_cbranch_execz .LBB203_29
; %bb.28:                               ;   in Loop: Header=BB203_3 Depth=1
	v_lshlrev_b64 v[3:4], 2, v[3:4]
	v_add_co_u32 v3, vcc_lo, s2, v3
	v_add_co_ci_u32_e64 v4, null, s3, v4, vcc_lo
	global_load_dword v57, v[3:4], off
.LBB203_29:                             ;   in Loop: Header=BB203_3 Depth=1
	s_or_b32 exec_lo, exec_lo, s28
.LBB203_30:                             ;   in Loop: Header=BB203_3 Depth=1
	s_or_b32 exec_lo, exec_lo, s1
	v_mov_b32_e32 v9, v2
	v_mov_b32_e32 v3, v2
	;; [unrolled: 1-line block ×23, first 2 shown]
	s_and_saveexec_b32 s1, s0
	s_cbranch_execnz .LBB203_42
; %bb.31:                               ;   in Loop: Header=BB203_3 Depth=1
	s_or_b32 exec_lo, exec_lo, s1
	s_and_saveexec_b32 s1, s0
	s_cbranch_execnz .LBB203_43
.LBB203_32:                             ;   in Loop: Header=BB203_3 Depth=1
	s_or_b32 exec_lo, exec_lo, s1
	s_and_saveexec_b32 s1, s0
	s_cbranch_execnz .LBB203_44
.LBB203_33:                             ;   in Loop: Header=BB203_3 Depth=1
	s_or_b32 exec_lo, exec_lo, s1
	s_and_saveexec_b32 s1, s0
	s_cbranch_execnz .LBB203_45
.LBB203_34:                             ;   in Loop: Header=BB203_3 Depth=1
	s_or_b32 exec_lo, exec_lo, s1
	s_and_saveexec_b32 s1, s0
	s_cbranch_execnz .LBB203_46
.LBB203_35:                             ;   in Loop: Header=BB203_3 Depth=1
	s_or_b32 exec_lo, exec_lo, s1
	s_and_saveexec_b32 s1, s0
	s_cbranch_execnz .LBB203_47
.LBB203_36:                             ;   in Loop: Header=BB203_3 Depth=1
	s_or_b32 exec_lo, exec_lo, s1
	s_and_saveexec_b32 s1, s0
	s_cbranch_execnz .LBB203_48
.LBB203_37:                             ;   in Loop: Header=BB203_3 Depth=1
	s_or_b32 exec_lo, exec_lo, s1
	s_and_saveexec_b32 s1, s0
	s_cbranch_execz .LBB203_39
.LBB203_38:                             ;   in Loop: Header=BB203_3 Depth=1
	v_add_co_u32 v55, vcc_lo, v26, v19
	v_add_co_ci_u32_e64 v56, null, v27, v20, vcc_lo
	v_add_co_u32 v58, vcc_lo, v28, v19
	v_add_co_ci_u32_e64 v59, null, v29, v20, vcc_lo
	global_load_ushort v10, v[55:56], off
	global_load_ushort v18, v[58:59], off
	s_waitcnt vmcnt(1)
	v_lshlrev_b32_e32 v10, 16, v10
	s_waitcnt vmcnt(0)
	v_lshlrev_b32_e32 v18, 16, v18
.LBB203_39:                             ;   in Loop: Header=BB203_3 Depth=1
	s_or_b32 exec_lo, exec_lo, s1
	s_waitcnt vmcnt(0)
	ds_bpermute_b32 v55, v2, v57
	ds_bpermute_b32 v56, v2, v57 offset:4
	ds_bpermute_b32 v58, v2, v57 offset:8
	v_mul_f32_e32 v3, v11, v3
	ds_bpermute_b32 v11, v2, v57 offset:12
	v_mul_f32_e32 v4, v12, v4
	ds_bpermute_b32 v12, v2, v57 offset:16
	s_waitcnt lgkmcnt(4)
	v_fmac_f32_e32 v54, v3, v55
	v_mul_f32_e32 v3, v13, v5
	ds_bpermute_b32 v5, v2, v57 offset:20
	s_waitcnt lgkmcnt(4)
	v_fmac_f32_e32 v54, v4, v56
	;; [unrolled: 4-line block ×3, first 2 shown]
	v_mul_f32_e32 v3, v15, v7
	s_waitcnt lgkmcnt(3)
	v_fmac_f32_e32 v54, v4, v11
	v_mul_f32_e32 v4, v16, v8
	s_waitcnt lgkmcnt(2)
	v_fmac_f32_e32 v54, v3, v12
	ds_bpermute_b32 v3, v2, v57 offset:28
	s_waitcnt lgkmcnt(2)
	v_fmac_f32_e32 v54, v4, v5
	v_mul_f32_e32 v4, v17, v9
	s_waitcnt lgkmcnt(1)
	v_fmac_f32_e32 v54, v4, v6
	v_mov_b32_e32 v85, v54
.LBB203_40:                             ;   in Loop: Header=BB203_3 Depth=1
	v_add_co_u32 v22, vcc_lo, v22, s20
	v_add_co_ci_u32_e64 v23, null, s21, v23, vcc_lo
	v_add_co_u32 v24, vcc_lo, v24, s20
	v_add_co_ci_u32_e64 v25, null, s21, v25, vcc_lo
	v_add_co_u32 v26, vcc_lo, v26, s20
	v_add_co_ci_u32_e64 v27, null, s21, v27, vcc_lo
	v_add_co_u32 v28, vcc_lo, v28, s20
	v_add_co_ci_u32_e64 v29, null, s21, v29, vcc_lo
	v_add_co_u32 v30, vcc_lo, v30, s20
	v_add_co_ci_u32_e64 v31, null, s21, v31, vcc_lo
	v_add_co_u32 v32, vcc_lo, v32, s20
	v_add_co_ci_u32_e64 v33, null, s21, v33, vcc_lo
	v_add_co_u32 v34, vcc_lo, v34, s20
	v_add_co_ci_u32_e64 v35, null, s21, v35, vcc_lo
	v_add_co_u32 v36, vcc_lo, v36, s20
	v_add_co_ci_u32_e64 v37, null, s21, v37, vcc_lo
	v_add_co_u32 v38, vcc_lo, v38, s20
	v_add_co_ci_u32_e64 v39, null, s21, v39, vcc_lo
	v_add_co_u32 v40, vcc_lo, v40, s20
	v_add_co_ci_u32_e64 v41, null, s21, v41, vcc_lo
	v_add_co_u32 v42, vcc_lo, v42, s20
	v_add_co_ci_u32_e64 v43, null, s21, v43, vcc_lo
	v_add_co_u32 v44, vcc_lo, v44, s20
	v_add_co_ci_u32_e64 v45, null, s21, v45, vcc_lo
	v_add_co_u32 v46, vcc_lo, v46, s20
	s_add_u32 s24, s24, s27
	v_add_co_ci_u32_e64 v47, null, s21, v47, vcc_lo
	v_add_co_u32 v48, vcc_lo, v48, s20
	v_mul_f32_e32 v4, v10, v18
	s_addc_u32 s25, s25, 0
	v_add_co_ci_u32_e64 v49, null, s21, v49, vcc_lo
	v_add_co_u32 v50, vcc_lo, v50, s20
	v_cmp_lt_i64_e64 s1, s[24:25], s[8:9]
	v_add_co_ci_u32_e64 v51, null, s21, v51, vcc_lo
	v_add_co_u32 v52, vcc_lo, v52, s20
	s_waitcnt lgkmcnt(0)
	v_fmac_f32_e32 v85, v4, v3
	v_add_co_ci_u32_e64 v53, null, s21, v53, vcc_lo
	s_add_u32 s22, s22, s27
	s_addc_u32 s23, s23, 0
	s_and_b32 vcc_lo, exec_lo, s1
	s_cbranch_vccz .LBB203_50
; %bb.41:                               ;   in Loop: Header=BB203_3 Depth=1
	v_mov_b32_e32 v54, v85
	s_branch .LBB203_3
.LBB203_42:                             ;   in Loop: Header=BB203_3 Depth=1
	v_add_co_u32 v3, vcc_lo, v22, v19
	v_add_co_ci_u32_e64 v4, null, v23, v20, vcc_lo
	v_add_co_u32 v5, vcc_lo, v24, v19
	v_add_co_ci_u32_e64 v6, null, v25, v20, vcc_lo
	global_load_ushort v3, v[3:4], off
	global_load_ushort v11, v[5:6], off
	v_mov_b32_e32 v4, v2
	v_mov_b32_e32 v5, v2
	;; [unrolled: 1-line block ×14, first 2 shown]
	s_waitcnt vmcnt(1)
	v_lshlrev_b32_e32 v3, 16, v3
	s_waitcnt vmcnt(0)
	v_lshlrev_b32_e32 v11, 16, v11
	s_or_b32 exec_lo, exec_lo, s1
	s_and_saveexec_b32 s1, s0
	s_cbranch_execz .LBB203_32
.LBB203_43:                             ;   in Loop: Header=BB203_3 Depth=1
	v_add_co_u32 v55, vcc_lo, v50, v19
	v_add_co_ci_u32_e64 v56, null, v51, v20, vcc_lo
	v_add_co_u32 v58, vcc_lo, v52, v19
	v_add_co_ci_u32_e64 v59, null, v53, v20, vcc_lo
	global_load_ushort v4, v[55:56], off
	global_load_ushort v12, v[58:59], off
	s_waitcnt vmcnt(1)
	v_lshlrev_b32_e32 v4, 16, v4
	s_waitcnt vmcnt(0)
	v_lshlrev_b32_e32 v12, 16, v12
	s_or_b32 exec_lo, exec_lo, s1
	s_and_saveexec_b32 s1, s0
	s_cbranch_execz .LBB203_33
.LBB203_44:                             ;   in Loop: Header=BB203_3 Depth=1
	v_add_co_u32 v55, vcc_lo, v46, v19
	v_add_co_ci_u32_e64 v56, null, v47, v20, vcc_lo
	v_add_co_u32 v58, vcc_lo, v48, v19
	v_add_co_ci_u32_e64 v59, null, v49, v20, vcc_lo
	global_load_ushort v5, v[55:56], off
	global_load_ushort v13, v[58:59], off
	s_waitcnt vmcnt(1)
	v_lshlrev_b32_e32 v5, 16, v5
	s_waitcnt vmcnt(0)
	v_lshlrev_b32_e32 v13, 16, v13
	s_or_b32 exec_lo, exec_lo, s1
	s_and_saveexec_b32 s1, s0
	s_cbranch_execz .LBB203_34
.LBB203_45:                             ;   in Loop: Header=BB203_3 Depth=1
	v_add_co_u32 v55, vcc_lo, v42, v19
	v_add_co_ci_u32_e64 v56, null, v43, v20, vcc_lo
	v_add_co_u32 v58, vcc_lo, v44, v19
	v_add_co_ci_u32_e64 v59, null, v45, v20, vcc_lo
	global_load_ushort v6, v[55:56], off
	global_load_ushort v14, v[58:59], off
	s_waitcnt vmcnt(1)
	v_lshlrev_b32_e32 v6, 16, v6
	s_waitcnt vmcnt(0)
	v_lshlrev_b32_e32 v14, 16, v14
	s_or_b32 exec_lo, exec_lo, s1
	s_and_saveexec_b32 s1, s0
	s_cbranch_execz .LBB203_35
.LBB203_46:                             ;   in Loop: Header=BB203_3 Depth=1
	v_add_co_u32 v55, vcc_lo, v38, v19
	v_add_co_ci_u32_e64 v56, null, v39, v20, vcc_lo
	v_add_co_u32 v58, vcc_lo, v40, v19
	v_add_co_ci_u32_e64 v59, null, v41, v20, vcc_lo
	global_load_ushort v7, v[55:56], off
	global_load_ushort v15, v[58:59], off
	s_waitcnt vmcnt(1)
	v_lshlrev_b32_e32 v7, 16, v7
	s_waitcnt vmcnt(0)
	v_lshlrev_b32_e32 v15, 16, v15
	s_or_b32 exec_lo, exec_lo, s1
	s_and_saveexec_b32 s1, s0
	s_cbranch_execz .LBB203_36
.LBB203_47:                             ;   in Loop: Header=BB203_3 Depth=1
	v_add_co_u32 v55, vcc_lo, v34, v19
	v_add_co_ci_u32_e64 v56, null, v35, v20, vcc_lo
	v_add_co_u32 v58, vcc_lo, v36, v19
	v_add_co_ci_u32_e64 v59, null, v37, v20, vcc_lo
	global_load_ushort v8, v[55:56], off
	global_load_ushort v16, v[58:59], off
	s_waitcnt vmcnt(1)
	v_lshlrev_b32_e32 v8, 16, v8
	s_waitcnt vmcnt(0)
	v_lshlrev_b32_e32 v16, 16, v16
	s_or_b32 exec_lo, exec_lo, s1
	s_and_saveexec_b32 s1, s0
	s_cbranch_execz .LBB203_37
.LBB203_48:                             ;   in Loop: Header=BB203_3 Depth=1
	v_add_co_u32 v55, vcc_lo, v30, v19
	v_add_co_ci_u32_e64 v56, null, v31, v20, vcc_lo
	v_add_co_u32 v58, vcc_lo, v32, v19
	v_add_co_ci_u32_e64 v59, null, v33, v20, vcc_lo
	global_load_ushort v9, v[55:56], off
	global_load_ushort v17, v[58:59], off
	s_waitcnt vmcnt(1)
	v_lshlrev_b32_e32 v9, 16, v9
	s_waitcnt vmcnt(0)
	v_lshlrev_b32_e32 v17, 16, v17
	s_or_b32 exec_lo, exec_lo, s1
	s_and_saveexec_b32 s1, s0
	s_cbranch_execnz .LBB203_38
	s_branch .LBB203_39
.LBB203_49:
                                        ; implicit-def: $vgpr85
	s_branch .LBB203_51
.LBB203_50:
	s_cbranch_execnz .LBB203_83
.LBB203_51:
	v_mov_b32_e32 v85, 0
	s_andn2_b32 vcc_lo, exec_lo, s7
	s_cbranch_vccnz .LBB203_83
; %bb.52:
	s_load_dword s7, s[4:5], 0x44
	v_lshlrev_b32_e32 v49, 3, v1
	v_lshlrev_b32_e32 v6, 4, v1
	v_mov_b32_e32 v82, 0
	v_add_co_u32 v10, s0, v49, s16
	v_add_co_ci_u32_e64 v11, null, 0, 0, s0
	s_add_u32 s0, s4, 64
	v_mul_lo_u32 v4, s11, v10
	v_mad_u64_u32 v[2:3], null, s10, v10, 0
	v_mul_lo_u32 v5, s10, v11
	s_addc_u32 s1, s5, 0
	s_waitcnt lgkmcnt(0)
	s_lshl_b32 s7, s7, 6
	v_add3_u32 v3, v3, v5, v4
	s_mul_i32 s19, s11, s7
	s_mul_hi_u32 s20, s10, s7
	s_mul_i32 s18, s10, s7
	s_add_i32 s19, s20, s19
	v_lshlrev_b64 v[4:5], 1, v[2:3]
	s_lshl_b64 s[18:19], s[18:19], 1
	s_add_u32 s20, s16, 63
	s_addc_u32 s21, 0, 0
	s_lshl_b64 s[22:23], s[16:17], 1
	v_add_co_u32 v6, s22, v6, s22
	v_add_co_ci_u32_e64 v7, null, 0, s23, s22
	v_add_co_u32 v8, vcc_lo, v6, 2
	v_add_co_ci_u32_e64 v9, null, 0, v7, vcc_lo
	v_add_co_u32 v50, vcc_lo, s12, v4
	v_add_co_ci_u32_e64 v51, null, s13, v5, vcc_lo
	;; [unrolled: 2-line block ×6, first 2 shown]
	v_add_co_u32 v41, vcc_lo, v6, 10
	v_mad_u64_u32 v[21:22], null, s10, v4, s[12:13]
	v_mul_lo_u32 v5, s10, v5
	v_mul_lo_u32 v15, s11, v4
	v_mad_u64_u32 v[35:36], null, s10, v4, s[14:15]
	v_add_co_ci_u32_e64 v29, null, 0, v7, vcc_lo
	v_add_co_u32 v43, vcc_lo, v6, 12
	v_add_co_ci_u32_e64 v31, null, 0, v7, vcc_lo
	v_add_co_u32 v6, vcc_lo, v6, 14
	v_mad_u64_u32 v[19:20], null, s10, v8, s[12:13]
	v_mul_lo_u32 v9, s10, v9
	v_mul_lo_u32 v12, s11, v8
	v_mad_u64_u32 v[33:34], null, s10, v8, s[14:15]
	v_add_co_ci_u32_e64 v7, null, 0, v7, vcc_lo
	v_add_co_u32 v4, vcc_lo, v10, 7
	v_add3_u32 v22, v15, v22, v5
	v_add3_u32 v36, v15, v36, v5
	v_add_co_ci_u32_e64 v5, null, 0, v11, vcc_lo
	v_mul_lo_u32 v57, s10, v7
	v_add_co_u32 v7, vcc_lo, v10, 6
	v_add3_u32 v20, v12, v20, v9
	v_add3_u32 v34, v12, v34, v9
	v_add_co_ci_u32_e64 v12, null, 0, v11, vcc_lo
	v_mul_lo_u32 v8, s11, v4
	v_mul_lo_u32 v9, s10, v5
	v_mad_u64_u32 v[4:5], null, s10, v4, 0
	v_mad_u64_u32 v[23:24], null, s10, v13, s[12:13]
	v_mul_lo_u32 v17, s11, v13
	v_mul_lo_u32 v55, s10, v31
	v_mad_u64_u32 v[31:32], null, s10, v6, s[12:13]
	v_mul_lo_u32 v58, s11, v6
	v_mad_u64_u32 v[37:38], null, s10, v13, s[14:15]
	v_mad_u64_u32 v[45:46], null, s10, v6, s[14:15]
	v_mul_lo_u32 v13, s11, v7
	v_mul_lo_u32 v12, s10, v12
	v_mad_u64_u32 v[6:7], null, s10, v7, 0
	v_add3_u32 v5, v5, v9, v8
	v_add_co_u32 v8, vcc_lo, v10, 5
	v_mad_u64_u32 v[27:28], null, s10, v41, s[12:13]
	v_mul_lo_u32 v48, s10, v29
	v_mul_lo_u32 v54, s11, v41
	v_mad_u64_u32 v[41:42], null, s10, v41, s[14:15]
	v_add3_u32 v7, v7, v12, v13
	v_add_co_ci_u32_e64 v9, null, 0, v11, vcc_lo
	v_mad_u64_u32 v[29:30], null, s10, v43, s[12:13]
	v_mul_lo_u32 v56, s11, v43
	v_mad_u64_u32 v[43:44], null, s10, v43, s[14:15]
	v_lshlrev_b64 v[4:5], 1, v[4:5]
	v_lshlrev_b64 v[6:7], 1, v[6:7]
	v_mul_lo_u32 v12, s11, v8
	v_mul_lo_u32 v13, s10, v9
	v_mad_u64_u32 v[8:9], null, s10, v8, 0
	v_add3_u32 v28, v54, v28, v48
	v_add3_u32 v42, v54, v42, v48
	v_add_co_u32 v54, vcc_lo, s12, v4
	v_add3_u32 v30, v56, v30, v55
	v_add3_u32 v44, v56, v44, v55
	v_add_co_ci_u32_e64 v55, null, s13, v5, vcc_lo
	v_add_co_u32 v56, vcc_lo, s14, v4
	v_add3_u32 v32, v58, v32, v57
	v_add3_u32 v46, v58, v46, v57
	v_add_co_ci_u32_e64 v57, null, s15, v5, vcc_lo
	v_add_co_u32 v58, vcc_lo, s12, v6
	v_add_co_ci_u32_e64 v59, null, s13, v7, vcc_lo
	v_add3_u32 v9, v9, v13, v12
	v_add_co_u32 v12, vcc_lo, v10, 4
	v_add_co_ci_u32_e64 v13, null, 0, v11, vcc_lo
	v_add_co_u32 v60, vcc_lo, s14, v6
	v_add_co_ci_u32_e64 v61, null, s15, v7, vcc_lo
	v_lshlrev_b64 v[4:5], 1, v[8:9]
	v_mul_lo_u32 v8, s11, v12
	v_mul_lo_u32 v9, s10, v13
	v_mad_u64_u32 v[6:7], null, s10, v12, 0
	v_mul_lo_u32 v14, s10, v14
	v_add_co_u32 v12, vcc_lo, v10, 3
	v_add_co_ci_u32_e64 v13, null, 0, v11, vcc_lo
	v_add_co_u32 v62, vcc_lo, s12, v4
	v_add_co_ci_u32_e64 v63, null, s13, v5, vcc_lo
	v_add3_u32 v7, v7, v9, v8
	v_add_co_u32 v10, vcc_lo, v10, 2
	v_add3_u32 v24, v17, v24, v14
	v_add3_u32 v38, v17, v38, v14
	v_mul_lo_u32 v14, s11, v12
	v_mul_lo_u32 v13, s10, v13
	v_mad_u64_u32 v[8:9], null, s10, v12, 0
	v_add_co_ci_u32_e64 v11, null, 0, v11, vcc_lo
	v_add_co_u32 v64, vcc_lo, s14, v4
	v_add_co_ci_u32_e64 v65, null, s15, v5, vcc_lo
	v_lshlrev_b64 v[4:5], 1, v[6:7]
	v_mul_lo_u32 v12, s11, v10
	v_mul_lo_u32 v11, s10, v11
	v_mad_u64_u32 v[6:7], null, s10, v10, 0
	v_add3_u32 v9, v9, v13, v14
	v_add_co_u32 v66, vcc_lo, s12, v4
	v_add_co_ci_u32_e64 v67, null, s13, v5, vcc_lo
	v_add_co_u32 v68, vcc_lo, s14, v4
	v_add_co_ci_u32_e64 v69, null, s15, v5, vcc_lo
	v_lshlrev_b64 v[4:5], 1, v[8:9]
	v_add3_u32 v7, v7, v11, v12
	v_add_co_u32 v2, vcc_lo, v2, s10
	v_add_co_ci_u32_e64 v3, null, s11, v3, vcc_lo
	v_lshlrev_b64 v[6:7], 1, v[6:7]
	v_add_co_u32 v70, vcc_lo, s12, v4
	v_add_co_ci_u32_e64 v71, null, s13, v5, vcc_lo
	v_add_co_u32 v72, vcc_lo, s14, v4
	v_lshlrev_b64 v[3:4], 1, v[2:3]
	v_mov_b32_e32 v2, 0
	v_mad_u64_u32 v[25:26], null, s10, v16, s[12:13]
	v_mul_lo_u32 v18, s10, v18
	v_mul_lo_u32 v47, s11, v16
	v_mad_u64_u32 v[39:40], null, s10, v16, s[14:15]
	v_add_co_ci_u32_e64 v73, null, s15, v5, vcc_lo
	v_add_co_u32 v74, vcc_lo, s12, v6
	v_add_co_ci_u32_e64 v75, null, s13, v7, vcc_lo
	v_add_co_u32 v76, vcc_lo, s14, v6
	v_add_nc_u32_e32 v5, s26, v0
	v_mov_b32_e32 v6, v2
	v_add_co_ci_u32_e64 v77, null, s15, v7, vcc_lo
	v_add_co_u32 v78, vcc_lo, s12, v3
	v_add_co_ci_u32_e64 v79, null, s13, v4, vcc_lo
	v_add_co_u32 v80, vcc_lo, s14, v3
	v_add3_u32 v26, v47, v26, v18
	v_add3_u32 v40, v47, v40, v18
	v_lshlrev_b64 v[47:48], 1, v[5:6]
	v_add_co_ci_u32_e64 v81, null, s15, v4, vcc_lo
.LBB203_53:                             ; =>This Inner Loop Header: Depth=1
	v_cmp_ge_i64_e64 s12, s[20:21], s[8:9]
	v_add_co_u32 v83, s13, v49, s20
	v_add_co_ci_u32_e64 v84, null, 0, s21, s13
                                        ; implicit-def: $vgpr85
	s_and_b32 vcc_lo, exec_lo, s12
	s_mov_b32 s12, -1
	s_cbranch_vccz .LBB203_75
; %bb.54:                               ;   in Loop: Header=BB203_53 Depth=1
	s_load_dword s12, s[0:1], 0xc
	v_mov_b32_e32 v86, 0
	s_waitcnt lgkmcnt(0)
	s_and_b32 s12, s12, 0xffff
	v_mad_u32_u24 v3, v1, s12, v0
	s_mov_b32 s12, exec_lo
	v_and_b32_e32 v3, 31, v3
	v_cmpx_gt_u32_e32 8, v3
	s_cbranch_execz .LBB203_58
; %bb.55:                               ;   in Loop: Header=BB203_53 Depth=1
	v_add_co_u32 v3, vcc_lo, v83, v3
	v_add_co_ci_u32_e64 v4, null, 0, v84, vcc_lo
	v_mov_b32_e32 v86, 0
	v_add_co_u32 v3, vcc_lo, 0xffffffc1, v3
	v_add_co_ci_u32_e64 v4, null, -1, v4, vcc_lo
	s_mov_b32 s13, exec_lo
	v_cmpx_gt_i64_e64 s[8:9], v[3:4]
	s_cbranch_execz .LBB203_57
; %bb.56:                               ;   in Loop: Header=BB203_53 Depth=1
	v_lshlrev_b64 v[3:4], 2, v[3:4]
	v_add_co_u32 v3, vcc_lo, s2, v3
	v_add_co_ci_u32_e64 v4, null, s3, v4, vcc_lo
	global_load_dword v86, v[3:4], off
.LBB203_57:                             ;   in Loop: Header=BB203_53 Depth=1
	s_or_b32 exec_lo, exec_lo, s13
.LBB203_58:                             ;   in Loop: Header=BB203_53 Depth=1
	s_or_b32 exec_lo, exec_lo, s12
	v_add_co_u32 v10, vcc_lo, 0xffffffc1, v83
	v_add_co_ci_u32_e64 v11, null, -1, v84, vcc_lo
	v_mov_b32_e32 v9, v2
	v_mov_b32_e32 v3, v2
	;; [unrolled: 1-line block ×7, first 2 shown]
	v_cmp_gt_i64_e32 vcc_lo, s[8:9], v[10:11]
	v_mov_b32_e32 v18, v9
	v_mov_b32_e32 v15, v6
	;; [unrolled: 1-line block ×16, first 2 shown]
	s_and_saveexec_b32 s12, vcc_lo
	s_cbranch_execz .LBB203_60
; %bb.59:                               ;   in Loop: Header=BB203_53 Depth=1
	v_add_co_u32 v3, vcc_lo, v50, v47
	v_add_co_ci_u32_e64 v4, null, v51, v48, vcc_lo
	v_add_co_u32 v5, vcc_lo, v52, v47
	v_add_co_ci_u32_e64 v6, null, v53, v48, vcc_lo
	global_load_ushort v3, v[3:4], off
	global_load_ushort v11, v[5:6], off
	v_mov_b32_e32 v4, v2
	v_mov_b32_e32 v5, v2
	;; [unrolled: 1-line block ×14, first 2 shown]
	s_waitcnt vmcnt(1)
	v_lshlrev_b32_e32 v3, 16, v3
	s_waitcnt vmcnt(0)
	v_lshlrev_b32_e32 v11, 16, v11
.LBB203_60:                             ;   in Loop: Header=BB203_53 Depth=1
	s_or_b32 exec_lo, exec_lo, s12
	v_add_co_u32 v87, vcc_lo, 0xffffffc2, v83
	v_add_co_ci_u32_e64 v88, null, -1, v84, vcc_lo
	s_mov_b32 s12, exec_lo
	v_cmpx_gt_i64_e64 s[8:9], v[87:88]
	s_cbranch_execz .LBB203_62
; %bb.61:                               ;   in Loop: Header=BB203_53 Depth=1
	v_add_co_u32 v87, vcc_lo, v78, v47
	v_add_co_ci_u32_e64 v88, null, v79, v48, vcc_lo
	v_add_co_u32 v89, vcc_lo, v80, v47
	v_add_co_ci_u32_e64 v90, null, v81, v48, vcc_lo
	global_load_ushort v4, v[87:88], off
	global_load_ushort v12, v[89:90], off
	s_waitcnt vmcnt(1)
	v_lshlrev_b32_e32 v4, 16, v4
	s_waitcnt vmcnt(0)
	v_lshlrev_b32_e32 v12, 16, v12
.LBB203_62:                             ;   in Loop: Header=BB203_53 Depth=1
	s_or_b32 exec_lo, exec_lo, s12
	v_add_co_u32 v87, vcc_lo, 0xffffffc3, v83
	v_add_co_ci_u32_e64 v88, null, -1, v84, vcc_lo
	s_mov_b32 s12, exec_lo
	v_cmpx_gt_i64_e64 s[8:9], v[87:88]
	s_cbranch_execz .LBB203_64
; %bb.63:                               ;   in Loop: Header=BB203_53 Depth=1
	v_add_co_u32 v87, vcc_lo, v74, v47
	v_add_co_ci_u32_e64 v88, null, v75, v48, vcc_lo
	v_add_co_u32 v89, vcc_lo, v76, v47
	v_add_co_ci_u32_e64 v90, null, v77, v48, vcc_lo
	global_load_ushort v5, v[87:88], off
	global_load_ushort v13, v[89:90], off
	s_waitcnt vmcnt(1)
	v_lshlrev_b32_e32 v5, 16, v5
	s_waitcnt vmcnt(0)
	v_lshlrev_b32_e32 v13, 16, v13
.LBB203_64:                             ;   in Loop: Header=BB203_53 Depth=1
	;; [unrolled: 18-line block ×7, first 2 shown]
	s_or_b32 exec_lo, exec_lo, s12
	s_waitcnt vmcnt(0)
	ds_bpermute_b32 v85, v2, v86
	ds_bpermute_b32 v87, v2, v86 offset:4
	ds_bpermute_b32 v88, v2, v86 offset:8
	v_mul_f32_e32 v3, v11, v3
	ds_bpermute_b32 v11, v2, v86 offset:12
	v_mul_f32_e32 v4, v12, v4
	ds_bpermute_b32 v12, v2, v86 offset:16
	s_mov_b32 s12, 0
	s_waitcnt lgkmcnt(4)
	v_fma_f32 v85, v3, v85, v82
	v_mul_f32_e32 v3, v13, v5
	ds_bpermute_b32 v5, v2, v86 offset:20
	s_waitcnt lgkmcnt(4)
	v_fmac_f32_e32 v85, v4, v87
	v_mul_f32_e32 v4, v14, v6
	ds_bpermute_b32 v6, v2, v86 offset:24
	s_waitcnt lgkmcnt(4)
	v_fmac_f32_e32 v85, v3, v88
	v_mul_f32_e32 v3, v15, v7
	v_mul_f32_e32 v7, v16, v8
	s_waitcnt lgkmcnt(3)
	v_fmac_f32_e32 v85, v4, v11
	ds_bpermute_b32 v4, v2, v86 offset:28
	s_waitcnt lgkmcnt(3)
	v_fmac_f32_e32 v85, v3, v12
	v_mul_f32_e32 v3, v17, v9
	s_waitcnt lgkmcnt(2)
	v_fmac_f32_e32 v85, v7, v5
	s_waitcnt lgkmcnt(1)
	v_fmac_f32_e32 v85, v3, v6
	v_mul_f32_e32 v3, v18, v10
	s_waitcnt lgkmcnt(0)
	v_fmac_f32_e32 v85, v3, v4
.LBB203_75:                             ;   in Loop: Header=BB203_53 Depth=1
	s_and_b32 vcc_lo, exec_lo, s12
	s_cbranch_vccz .LBB203_81
; %bb.76:                               ;   in Loop: Header=BB203_53 Depth=1
	s_load_dword s12, s[0:1], 0x0
	v_mov_b32_e32 v5, 0
	s_waitcnt lgkmcnt(0)
	s_cmp_lt_u32 s6, s12
	s_cselect_b32 s12, 12, 18
	s_add_u32 s12, s0, s12
	s_addc_u32 s13, s1, 0
	global_load_ushort v3, v2, s[12:13]
	s_mov_b32 s12, exec_lo
	s_waitcnt vmcnt(0)
	v_mad_u32_u24 v3, v1, v3, v0
	v_and_b32_e32 v3, 31, v3
	v_cmpx_gt_u32_e32 8, v3
	s_cbranch_execz .LBB203_80
; %bb.77:                               ;   in Loop: Header=BB203_53 Depth=1
	v_add_co_u32 v3, vcc_lo, v83, v3
	v_add_co_ci_u32_e64 v4, null, 0, v84, vcc_lo
	v_mov_b32_e32 v5, 0
	v_add_co_u32 v3, vcc_lo, 0xffffffc1, v3
	v_add_co_ci_u32_e64 v4, null, -1, v4, vcc_lo
	s_mov_b32 s13, exec_lo
	v_cmpx_gt_i64_e64 s[8:9], v[3:4]
	s_cbranch_execz .LBB203_79
; %bb.78:                               ;   in Loop: Header=BB203_53 Depth=1
	v_lshlrev_b64 v[3:4], 2, v[3:4]
	v_add_co_u32 v3, vcc_lo, s2, v3
	v_add_co_ci_u32_e64 v4, null, s3, v4, vcc_lo
	global_load_dword v5, v[3:4], off
.LBB203_79:                             ;   in Loop: Header=BB203_53 Depth=1
	s_or_b32 exec_lo, exec_lo, s13
.LBB203_80:                             ;   in Loop: Header=BB203_53 Depth=1
	s_or_b32 exec_lo, exec_lo, s12
	v_add_co_u32 v3, vcc_lo, v50, v47
	v_add_co_ci_u32_e64 v4, null, v51, v48, vcc_lo
	v_add_co_u32 v6, vcc_lo, v52, v47
	v_add_co_ci_u32_e64 v7, null, v53, v48, vcc_lo
	;; [unrolled: 2-line block ×4, first 2 shown]
	global_load_ushort v14, v[3:4], off
	global_load_ushort v15, v[6:7], off
	;; [unrolled: 1-line block ×4, first 2 shown]
	v_add_co_u32 v3, vcc_lo, v21, v47
	v_add_co_ci_u32_e64 v4, null, v22, v48, vcc_lo
	v_add_co_u32 v6, vcc_lo, v35, v47
	v_add_co_ci_u32_e64 v7, null, v36, v48, vcc_lo
	global_load_ushort v18, v[3:4], off
	v_add_co_u32 v3, vcc_lo, v23, v47
	v_add_co_ci_u32_e64 v4, null, v24, v48, vcc_lo
	v_add_co_u32 v8, vcc_lo, v37, v47
	v_add_co_ci_u32_e64 v9, null, v38, v48, vcc_lo
	;; [unrolled: 2-line block ×4, first 2 shown]
	global_load_ushort v83, v[6:7], off
	global_load_ushort v84, v[3:4], off
	;; [unrolled: 1-line block ×5, first 2 shown]
	v_add_co_u32 v3, vcc_lo, v27, v47
	v_add_co_ci_u32_e64 v4, null, v28, v48, vcc_lo
	v_add_co_u32 v6, vcc_lo, v41, v47
	v_add_co_ci_u32_e64 v7, null, v42, v48, vcc_lo
	;; [unrolled: 2-line block ×4, first 2 shown]
	global_load_ushort v13, v[3:4], off
	global_load_ushort v87, v[6:7], off
	;; [unrolled: 1-line block ×4, first 2 shown]
	v_add_co_u32 v3, vcc_lo, v45, v47
	v_add_co_ci_u32_e64 v4, null, v46, v48, vcc_lo
	v_add_co_u32 v6, vcc_lo, v31, v47
	v_add_co_ci_u32_e64 v7, null, v32, v48, vcc_lo
	global_load_ushort v3, v[3:4], off
	global_load_ushort v4, v[6:7], off
	s_waitcnt vmcnt(16)
	ds_bpermute_b32 v6, v2, v5
	ds_bpermute_b32 v7, v2, v5 offset:4
	ds_bpermute_b32 v10, v2, v5 offset:8
	s_waitcnt vmcnt(15)
	v_lshlrev_b32_e32 v14, 16, v14
	s_waitcnt vmcnt(14)
	v_lshlrev_b32_e32 v11, 16, v15
	ds_bpermute_b32 v15, v2, v5 offset:12
	s_waitcnt vmcnt(12)
	v_lshlrev_b32_e32 v17, 16, v17
	v_lshlrev_b32_e32 v16, 16, v16
	v_mul_f32_e32 v11, v14, v11
	ds_bpermute_b32 v14, v2, v5 offset:16
	v_mul_f32_e32 v16, v16, v17
	s_waitcnt lgkmcnt(4)
	v_fmac_f32_e32 v82, v11, v6
	s_waitcnt vmcnt(11)
	v_lshlrev_b32_e32 v18, 16, v18
	ds_bpermute_b32 v6, v2, v5 offset:20
	s_waitcnt lgkmcnt(4)
	v_fmac_f32_e32 v82, v16, v7
	ds_bpermute_b32 v7, v2, v5 offset:24
	ds_bpermute_b32 v5, v2, v5 offset:28
	s_waitcnt vmcnt(10)
	v_lshlrev_b32_e32 v83, 16, v83
	s_waitcnt vmcnt(9)
	v_lshlrev_b32_e32 v17, 16, v84
	;; [unrolled: 2-line block ×5, first 2 shown]
	v_mul_f32_e32 v18, v18, v83
	v_mul_f32_e32 v11, v17, v11
	;; [unrolled: 1-line block ×3, first 2 shown]
	s_waitcnt lgkmcnt(5)
	v_fmac_f32_e32 v82, v18, v10
	s_waitcnt lgkmcnt(4)
	v_fmac_f32_e32 v82, v11, v15
	s_waitcnt vmcnt(5)
	v_lshlrev_b32_e32 v13, 16, v13
	s_waitcnt vmcnt(4)
	v_lshlrev_b32_e32 v10, 16, v87
	;; [unrolled: 2-line block ×4, first 2 shown]
	s_waitcnt lgkmcnt(3)
	v_fmac_f32_e32 v82, v12, v14
	v_mul_f32_e32 v10, v13, v10
	v_mul_f32_e32 v8, v8, v9
	s_waitcnt lgkmcnt(2)
	v_fmac_f32_e32 v82, v10, v6
	s_waitcnt vmcnt(1)
	v_lshlrev_b32_e32 v3, 16, v3
	s_waitcnt vmcnt(0)
	v_lshlrev_b32_e32 v4, 16, v4
	s_waitcnt lgkmcnt(1)
	v_fmac_f32_e32 v82, v8, v7
	v_mul_f32_e32 v3, v4, v3
	s_waitcnt lgkmcnt(0)
	v_fmac_f32_e32 v82, v3, v5
	v_mov_b32_e32 v85, v82
.LBB203_81:                             ;   in Loop: Header=BB203_53 Depth=1
	v_add_co_u32 v50, vcc_lo, v50, s18
	v_add_co_ci_u32_e64 v51, null, s19, v51, vcc_lo
	v_add_co_u32 v52, vcc_lo, v52, s18
	v_add_co_ci_u32_e64 v53, null, s19, v53, vcc_lo
	;; [unrolled: 2-line block ×26, first 2 shown]
	v_add_co_u32 v74, vcc_lo, v74, s18
	s_add_u32 s16, s16, s7
	v_add_co_ci_u32_e64 v75, null, s19, v75, vcc_lo
	v_add_co_u32 v76, vcc_lo, v76, s18
	s_addc_u32 s17, s17, 0
	v_add_co_ci_u32_e64 v77, null, s19, v77, vcc_lo
	v_add_co_u32 v78, vcc_lo, v78, s18
	v_cmp_ge_i64_e64 s12, s[16:17], s[8:9]
	v_add_co_ci_u32_e64 v79, null, s19, v79, vcc_lo
	v_add_co_u32 v80, vcc_lo, v80, s18
	v_add_co_ci_u32_e64 v81, null, s19, v81, vcc_lo
	s_add_u32 s20, s20, s7
	s_addc_u32 s21, s21, 0
	s_and_b32 vcc_lo, exec_lo, s12
	s_cbranch_vccnz .LBB203_83
; %bb.82:                               ;   in Loop: Header=BB203_53 Depth=1
	v_mov_b32_e32 v82, v85
	s_branch .LBB203_53
.LBB203_83:
	v_mad_u32_u24 v2, v1, 33, v0
	v_lshrrev_b32_e32 v3, 5, v0
	s_mov_b32 s0, exec_lo
	v_lshl_add_u32 v2, v2, 2, 0
	v_add_nc_u32_e32 v3, v3, v1
	v_mov_b32_e32 v1, 0
	ds_write_b32 v2, v85
	ds_write_b32 v2, v1 offset:1056
	s_waitcnt lgkmcnt(0)
	s_barrier
	buffer_gl0_inv
	v_cmpx_gt_u32_e32 32, v3
	s_cbranch_execz .LBB203_103
; %bb.84:
	s_load_dwordx2 s[2:3], s[4:5], 0x30
	v_and_b32_e32 v1, 31, v0
	v_cmp_gt_u32_e64 s0, 8, v1
	v_mul_u32_u24_e32 v4, 33, v1
                                        ; implicit-def: $vgpr1
	s_and_saveexec_b32 s1, s0
	s_cbranch_execz .LBB203_86
; %bb.85:
	v_lshlrev_b32_e32 v1, 2, v3
	v_lshlrev_b32_e32 v2, 2, v4
	v_add3_u32 v1, 0, v1, v2
	ds_read_b32 v1, v1
.LBB203_86:
	s_or_b32 exec_lo, exec_lo, s1
	v_mbcnt_lo_u32_b32 v2, -1, 0
	s_mov_b32 s7, 0
	v_cmp_ne_u32_e64 s1, 0, v0
	s_lshl_b64 s[4:5], s[6:7], 5
	s_waitcnt lgkmcnt(0)
	s_cmp_eq_u64 s[2:3], 0
	v_xor_b32_e32 v5, 4, v2
	v_xor_b32_e32 v6, 2, v2
	;; [unrolled: 1-line block ×3, first 2 shown]
	s_cselect_b32 s6, -1, 0
	v_cmp_gt_i32_e32 vcc_lo, 32, v5
	v_cndmask_b32_e32 v5, v2, v5, vcc_lo
	v_cmp_gt_i32_e32 vcc_lo, 32, v6
	v_lshlrev_b32_e32 v5, 2, v5
	v_cndmask_b32_e32 v6, v2, v6, vcc_lo
	v_cmp_gt_i32_e32 vcc_lo, 32, v8
	ds_bpermute_b32 v7, v5, v1
	v_lshlrev_b32_e32 v6, 2, v6
	v_cndmask_b32_e32 v2, v2, v8, vcc_lo
	s_waitcnt lgkmcnt(0)
	v_add_f32_e32 v1, v1, v7
	ds_bpermute_b32 v7, v6, v1
	s_waitcnt lgkmcnt(0)
	v_add_f32_e32 v8, v1, v7
	v_lshlrev_b32_e32 v7, 2, v2
	v_or_b32_e32 v1, s4, v3
	v_mov_b32_e32 v2, s5
	ds_bpermute_b32 v9, v7, v8
	v_cmp_le_i64_e32 vcc_lo, s[10:11], v[1:2]
	s_or_b32 s7, s1, vcc_lo
	s_nor_b32 s8, s6, s7
	s_waitcnt lgkmcnt(0)
	v_add_f32_e32 v0, v8, v9
	s_and_saveexec_b32 s7, s8
	s_cbranch_execz .LBB203_88
; %bb.87:
	v_bfe_u32 v8, v0, 16, 1
	v_lshlrev_b64 v[1:2], 1, v[1:2]
	v_cmp_o_f32_e32 vcc_lo, v0, v0
	v_mov_b32_e32 v9, 0x7fc0
	v_add3_u32 v8, v0, v8, 0x7fff
	v_cndmask_b32_sdwa v8, v9, v8, vcc_lo dst_sel:DWORD dst_unused:UNUSED_PAD src0_sel:DWORD src1_sel:WORD_1
	v_add_co_u32 v1, vcc_lo, s2, v1
	v_add_co_ci_u32_e64 v2, null, s3, v2, vcc_lo
	global_store_short v[1:2], v8, off
.LBB203_88:
	s_or_b32 exec_lo, exec_lo, s7
	v_cmp_gt_u32_e32 vcc_lo, 24, v3
	s_and_b32 exec_lo, exec_lo, vcc_lo
	s_cbranch_execz .LBB203_103
; %bb.89:
	s_and_saveexec_b32 s7, s0
	s_cbranch_execz .LBB203_91
; %bb.90:
	v_lshlrev_b32_e32 v0, 2, v3
	v_lshlrev_b32_e32 v1, 2, v4
	v_add3_u32 v0, 0, v0, v1
	ds_read_b32 v0, v0 offset:32
.LBB203_91:
	s_or_b32 exec_lo, exec_lo, s7
	s_waitcnt lgkmcnt(0)
	ds_bpermute_b32 v1, v5, v0
	s_waitcnt lgkmcnt(0)
	v_add_f32_e32 v0, v0, v1
	ds_bpermute_b32 v1, v6, v0
	s_waitcnt lgkmcnt(0)
	v_add_f32_e32 v2, v0, v1
	v_add_nc_u32_e32 v0, 8, v3
	ds_bpermute_b32 v8, v7, v2
	v_add_co_u32 v0, s7, s4, v0
	v_add_co_ci_u32_e64 v1, null, s5, 0, s7
	v_cmp_le_i64_e32 vcc_lo, s[10:11], v[0:1]
	s_or_b32 s7, s1, vcc_lo
	s_nor_b32 s8, s6, s7
	s_waitcnt lgkmcnt(0)
	v_add_f32_e32 v0, v2, v8
	s_and_saveexec_b32 s7, s8
	s_cbranch_execz .LBB203_93
; %bb.92:
	v_add_co_u32 v1, s8, s4, v3
	v_add_co_ci_u32_e64 v2, null, s5, 0, s8
	v_bfe_u32 v8, v0, 16, 1
	v_cmp_o_f32_e32 vcc_lo, v0, v0
	v_mov_b32_e32 v9, 0x7fc0
	v_lshlrev_b64 v[1:2], 1, v[1:2]
	v_add3_u32 v8, v0, v8, 0x7fff
	v_cndmask_b32_sdwa v8, v9, v8, vcc_lo dst_sel:DWORD dst_unused:UNUSED_PAD src0_sel:DWORD src1_sel:WORD_1
	v_add_co_u32 v1, vcc_lo, s2, v1
	v_add_co_ci_u32_e64 v2, null, s3, v2, vcc_lo
	global_store_short v[1:2], v8, off offset:16
.LBB203_93:
	s_or_b32 exec_lo, exec_lo, s7
	v_cmp_gt_u32_e32 vcc_lo, 16, v3
	s_and_b32 exec_lo, exec_lo, vcc_lo
	s_cbranch_execz .LBB203_103
; %bb.94:
	s_and_saveexec_b32 s7, s0
	s_cbranch_execz .LBB203_96
; %bb.95:
	v_lshlrev_b32_e32 v0, 2, v3
	v_lshlrev_b32_e32 v1, 2, v4
	v_add3_u32 v0, 0, v0, v1
	ds_read_b32 v0, v0 offset:64
.LBB203_96:
	s_or_b32 exec_lo, exec_lo, s7
	s_waitcnt lgkmcnt(0)
	ds_bpermute_b32 v1, v5, v0
	s_waitcnt lgkmcnt(0)
	v_add_f32_e32 v0, v0, v1
	ds_bpermute_b32 v1, v6, v0
	s_waitcnt lgkmcnt(0)
	v_add_f32_e32 v2, v0, v1
	v_add_nc_u32_e32 v0, 16, v3
	v_mov_b32_e32 v1, s5
	ds_bpermute_b32 v8, v7, v2
	v_or_b32_e32 v0, s4, v0
	v_cmp_le_i64_e32 vcc_lo, s[10:11], v[0:1]
	s_or_b32 s7, s1, vcc_lo
	s_nor_b32 s8, s6, s7
	s_waitcnt lgkmcnt(0)
	v_add_f32_e32 v0, v2, v8
	s_and_saveexec_b32 s7, s8
	s_cbranch_execz .LBB203_98
; %bb.97:
	v_add_co_u32 v1, s8, s4, v3
	v_add_co_ci_u32_e64 v2, null, s5, 0, s8
	v_bfe_u32 v8, v0, 16, 1
	v_cmp_o_f32_e32 vcc_lo, v0, v0
	v_mov_b32_e32 v9, 0x7fc0
	v_lshlrev_b64 v[1:2], 1, v[1:2]
	v_add3_u32 v8, v0, v8, 0x7fff
	v_cndmask_b32_sdwa v8, v9, v8, vcc_lo dst_sel:DWORD dst_unused:UNUSED_PAD src0_sel:DWORD src1_sel:WORD_1
	v_add_co_u32 v1, vcc_lo, s2, v1
	v_add_co_ci_u32_e64 v2, null, s3, v2, vcc_lo
	global_store_short v[1:2], v8, off offset:32
.LBB203_98:
	s_or_b32 exec_lo, exec_lo, s7
	v_cmp_gt_u32_e32 vcc_lo, 8, v3
	s_and_b32 exec_lo, exec_lo, vcc_lo
	s_cbranch_execz .LBB203_103
; %bb.99:
	s_and_saveexec_b32 s7, s0
	s_cbranch_execz .LBB203_101
; %bb.100:
	v_lshlrev_b32_e32 v0, 2, v3
	v_lshlrev_b32_e32 v1, 2, v4
	v_add3_u32 v0, 0, v0, v1
	ds_read_b32 v0, v0 offset:96
.LBB203_101:
	s_or_b32 exec_lo, exec_lo, s7
	s_waitcnt lgkmcnt(0)
	ds_bpermute_b32 v1, v5, v0
	v_add_nc_u32_e32 v2, 24, v3
	v_mov_b32_e32 v5, s5
	v_or_b32_e32 v4, s4, v2
	v_cmp_le_i64_e32 vcc_lo, s[10:11], v[4:5]
	s_or_b32 s0, s1, vcc_lo
	s_nor_b32 s0, s6, s0
	s_waitcnt lgkmcnt(0)
	v_add_f32_e32 v0, v0, v1
	ds_bpermute_b32 v1, v6, v0
	s_waitcnt lgkmcnt(0)
	v_add_f32_e32 v0, v0, v1
	ds_bpermute_b32 v1, v7, v0
	s_and_saveexec_b32 s1, s0
	s_xor_b32 s1, exec_lo, s1
	s_cbranch_execz .LBB203_103
; %bb.102:
	s_waitcnt lgkmcnt(0)
	v_add_f32_e32 v2, v0, v1
	v_add_co_u32 v0, s0, s4, v3
	v_add_co_ci_u32_e64 v1, null, s5, 0, s0
	v_bfe_u32 v4, v2, 16, 1
	v_cmp_o_f32_e32 vcc_lo, v2, v2
	v_mov_b32_e32 v3, 0x7fc0
	v_lshlrev_b64 v[0:1], 1, v[0:1]
	v_add3_u32 v2, v2, v4, 0x7fff
	v_cndmask_b32_sdwa v2, v3, v2, vcc_lo dst_sel:DWORD dst_unused:UNUSED_PAD src0_sel:DWORD src1_sel:WORD_1
	v_add_co_u32 v0, vcc_lo, s2, v0
	v_add_co_ci_u32_e64 v1, null, s3, v1, vcc_lo
	global_store_short v[0:1], v2, off offset:48
.LBB203_103:
	s_endpgm
	.section	.rodata,"a",@progbits
	.p2align	6, 0x0
	.amdhsa_kernel _ZN2at6native12_GLOBAL__N_135GammaBetaBackwardCUDAKernelTemplateIN3c108BFloat16EfLj32ELj8ELj64ELb0ELb0ELb1EEEvllPKT_S7_PKT0_SA_PS5_SB_
		.amdhsa_group_segment_fixed_size 0
		.amdhsa_private_segment_fixed_size 0
		.amdhsa_kernarg_size 320
		.amdhsa_user_sgpr_count 6
		.amdhsa_user_sgpr_private_segment_buffer 1
		.amdhsa_user_sgpr_dispatch_ptr 0
		.amdhsa_user_sgpr_queue_ptr 0
		.amdhsa_user_sgpr_kernarg_segment_ptr 1
		.amdhsa_user_sgpr_dispatch_id 0
		.amdhsa_user_sgpr_flat_scratch_init 0
		.amdhsa_user_sgpr_private_segment_size 0
		.amdhsa_wavefront_size32 1
		.amdhsa_uses_dynamic_stack 0
		.amdhsa_system_sgpr_private_segment_wavefront_offset 0
		.amdhsa_system_sgpr_workgroup_id_x 1
		.amdhsa_system_sgpr_workgroup_id_y 1
		.amdhsa_system_sgpr_workgroup_id_z 0
		.amdhsa_system_sgpr_workgroup_info 0
		.amdhsa_system_vgpr_workitem_id 1
		.amdhsa_next_free_vgpr 91
		.amdhsa_next_free_sgpr 30
		.amdhsa_reserve_vcc 1
		.amdhsa_reserve_flat_scratch 0
		.amdhsa_float_round_mode_32 0
		.amdhsa_float_round_mode_16_64 0
		.amdhsa_float_denorm_mode_32 3
		.amdhsa_float_denorm_mode_16_64 3
		.amdhsa_dx10_clamp 1
		.amdhsa_ieee_mode 1
		.amdhsa_fp16_overflow 0
		.amdhsa_workgroup_processor_mode 1
		.amdhsa_memory_ordered 1
		.amdhsa_forward_progress 1
		.amdhsa_shared_vgpr_count 0
		.amdhsa_exception_fp_ieee_invalid_op 0
		.amdhsa_exception_fp_denorm_src 0
		.amdhsa_exception_fp_ieee_div_zero 0
		.amdhsa_exception_fp_ieee_overflow 0
		.amdhsa_exception_fp_ieee_underflow 0
		.amdhsa_exception_fp_ieee_inexact 0
		.amdhsa_exception_int_div_zero 0
	.end_amdhsa_kernel
	.section	.text._ZN2at6native12_GLOBAL__N_135GammaBetaBackwardCUDAKernelTemplateIN3c108BFloat16EfLj32ELj8ELj64ELb0ELb0ELb1EEEvllPKT_S7_PKT0_SA_PS5_SB_,"axG",@progbits,_ZN2at6native12_GLOBAL__N_135GammaBetaBackwardCUDAKernelTemplateIN3c108BFloat16EfLj32ELj8ELj64ELb0ELb0ELb1EEEvllPKT_S7_PKT0_SA_PS5_SB_,comdat
.Lfunc_end203:
	.size	_ZN2at6native12_GLOBAL__N_135GammaBetaBackwardCUDAKernelTemplateIN3c108BFloat16EfLj32ELj8ELj64ELb0ELb0ELb1EEEvllPKT_S7_PKT0_SA_PS5_SB_, .Lfunc_end203-_ZN2at6native12_GLOBAL__N_135GammaBetaBackwardCUDAKernelTemplateIN3c108BFloat16EfLj32ELj8ELj64ELb0ELb0ELb1EEEvllPKT_S7_PKT0_SA_PS5_SB_
                                        ; -- End function
	.set _ZN2at6native12_GLOBAL__N_135GammaBetaBackwardCUDAKernelTemplateIN3c108BFloat16EfLj32ELj8ELj64ELb0ELb0ELb1EEEvllPKT_S7_PKT0_SA_PS5_SB_.num_vgpr, 91
	.set _ZN2at6native12_GLOBAL__N_135GammaBetaBackwardCUDAKernelTemplateIN3c108BFloat16EfLj32ELj8ELj64ELb0ELb0ELb1EEEvllPKT_S7_PKT0_SA_PS5_SB_.num_agpr, 0
	.set _ZN2at6native12_GLOBAL__N_135GammaBetaBackwardCUDAKernelTemplateIN3c108BFloat16EfLj32ELj8ELj64ELb0ELb0ELb1EEEvllPKT_S7_PKT0_SA_PS5_SB_.numbered_sgpr, 30
	.set _ZN2at6native12_GLOBAL__N_135GammaBetaBackwardCUDAKernelTemplateIN3c108BFloat16EfLj32ELj8ELj64ELb0ELb0ELb1EEEvllPKT_S7_PKT0_SA_PS5_SB_.num_named_barrier, 0
	.set _ZN2at6native12_GLOBAL__N_135GammaBetaBackwardCUDAKernelTemplateIN3c108BFloat16EfLj32ELj8ELj64ELb0ELb0ELb1EEEvllPKT_S7_PKT0_SA_PS5_SB_.private_seg_size, 0
	.set _ZN2at6native12_GLOBAL__N_135GammaBetaBackwardCUDAKernelTemplateIN3c108BFloat16EfLj32ELj8ELj64ELb0ELb0ELb1EEEvllPKT_S7_PKT0_SA_PS5_SB_.uses_vcc, 1
	.set _ZN2at6native12_GLOBAL__N_135GammaBetaBackwardCUDAKernelTemplateIN3c108BFloat16EfLj32ELj8ELj64ELb0ELb0ELb1EEEvllPKT_S7_PKT0_SA_PS5_SB_.uses_flat_scratch, 0
	.set _ZN2at6native12_GLOBAL__N_135GammaBetaBackwardCUDAKernelTemplateIN3c108BFloat16EfLj32ELj8ELj64ELb0ELb0ELb1EEEvllPKT_S7_PKT0_SA_PS5_SB_.has_dyn_sized_stack, 0
	.set _ZN2at6native12_GLOBAL__N_135GammaBetaBackwardCUDAKernelTemplateIN3c108BFloat16EfLj32ELj8ELj64ELb0ELb0ELb1EEEvllPKT_S7_PKT0_SA_PS5_SB_.has_recursion, 0
	.set _ZN2at6native12_GLOBAL__N_135GammaBetaBackwardCUDAKernelTemplateIN3c108BFloat16EfLj32ELj8ELj64ELb0ELb0ELb1EEEvllPKT_S7_PKT0_SA_PS5_SB_.has_indirect_call, 0
	.section	.AMDGPU.csdata,"",@progbits
; Kernel info:
; codeLenInByte = 8648
; TotalNumSgprs: 32
; NumVgprs: 91
; ScratchSize: 0
; MemoryBound: 0
; FloatMode: 240
; IeeeMode: 1
; LDSByteSize: 0 bytes/workgroup (compile time only)
; SGPRBlocks: 0
; VGPRBlocks: 11
; NumSGPRsForWavesPerEU: 32
; NumVGPRsForWavesPerEU: 91
; Occupancy: 10
; WaveLimiterHint : 0
; COMPUTE_PGM_RSRC2:SCRATCH_EN: 0
; COMPUTE_PGM_RSRC2:USER_SGPR: 6
; COMPUTE_PGM_RSRC2:TRAP_HANDLER: 0
; COMPUTE_PGM_RSRC2:TGID_X_EN: 1
; COMPUTE_PGM_RSRC2:TGID_Y_EN: 1
; COMPUTE_PGM_RSRC2:TGID_Z_EN: 0
; COMPUTE_PGM_RSRC2:TIDIG_COMP_CNT: 1
	.section	.text._ZN2at6native12_GLOBAL__N_135GammaBetaBackwardCUDAKernelTemplateIN3c108BFloat16EfLj32ELj16ELj128ELb0ELb1ELb1EEEvllPKT_S7_PKT0_SA_PS5_SB_,"axG",@progbits,_ZN2at6native12_GLOBAL__N_135GammaBetaBackwardCUDAKernelTemplateIN3c108BFloat16EfLj32ELj16ELj128ELb0ELb1ELb1EEEvllPKT_S7_PKT0_SA_PS5_SB_,comdat
	.globl	_ZN2at6native12_GLOBAL__N_135GammaBetaBackwardCUDAKernelTemplateIN3c108BFloat16EfLj32ELj16ELj128ELb0ELb1ELb1EEEvllPKT_S7_PKT0_SA_PS5_SB_ ; -- Begin function _ZN2at6native12_GLOBAL__N_135GammaBetaBackwardCUDAKernelTemplateIN3c108BFloat16EfLj32ELj16ELj128ELb0ELb1ELb1EEEvllPKT_S7_PKT0_SA_PS5_SB_
	.p2align	8
	.type	_ZN2at6native12_GLOBAL__N_135GammaBetaBackwardCUDAKernelTemplateIN3c108BFloat16EfLj32ELj16ELj128ELb0ELb1ELb1EEEvllPKT_S7_PKT0_SA_PS5_SB_,@function
_ZN2at6native12_GLOBAL__N_135GammaBetaBackwardCUDAKernelTemplateIN3c108BFloat16EfLj32ELj16ELj128ELb0ELb1ELb1EEEvllPKT_S7_PKT0_SA_PS5_SB_: ; @_ZN2at6native12_GLOBAL__N_135GammaBetaBackwardCUDAKernelTemplateIN3c108BFloat16EfLj32ELj16ELj128ELb0ELb1ELb1EEEvllPKT_S7_PKT0_SA_PS5_SB_
; %bb.0:
	s_load_dwordx4 s[8:11], s[4:5], 0x0
	s_lshl_b32 s16, s7, 7
	s_mov_b32 s17, 0
	s_waitcnt lgkmcnt(0)
	v_cmp_gt_i64_e64 s0, s[8:9], s[16:17]
	s_and_b32 vcc_lo, exec_lo, s0
	s_cbranch_vccnz .LBB204_2
; %bb.1:
	s_mov_b32 s0, s17
	s_load_dwordx2 s[2:3], s[4:5], 0x30
	v_mov_b32_e32 v2, 0
	s_andn2_b32 vcc_lo, exec_lo, s0
	s_cbranch_vccz .LBB204_3
	s_branch .LBB204_9
.LBB204_2:
	s_load_dwordx2 s[2:3], s[4:5], 0x30
	v_mov_b32_e32 v2, 0
.LBB204_3:
	s_clause 0x3
	s_load_dword s0, s[4:5], 0x4c
	s_load_dword s1, s[4:5], 0x44
	s_load_dwordx4 s[12:15], s[4:5], 0x10
	s_load_dwordx2 s[18:19], s[4:5], 0x28
	v_lshlrev_b32_e32 v4, 3, v1
	v_mov_b32_e32 v3, 0
	v_lshl_add_u32 v2, s6, 5, v0
	v_mov_b32_e32 v8, 8
	v_mov_b32_e32 v9, 4
	v_add_co_u32 v4, s4, v4, s16
	v_add_co_ci_u32_e64 v5, null, 0, 0, s4
	v_lshlrev_b64 v[15:16], 1, v[2:3]
	v_mul_lo_u32 v17, s11, v4
	v_mov_b32_e32 v10, 12
	v_mul_lo_u32 v18, s10, v5
	v_mov_b32_e32 v11, 16
	v_mov_b32_e32 v12, 20
	;; [unrolled: 1-line block ×3, first 2 shown]
	s_waitcnt lgkmcnt(0)
	s_and_b32 s0, s0, 0xffff
	s_lshl_b32 s4, s1, 7
	v_mad_u32_u24 v6, v1, s0, v0
	s_mul_i32 s1, s11, s4
	s_mul_hi_u32 s7, s10, s4
	v_mov_b32_e32 v14, 28
	v_mov_b32_e32 v2, 0
	v_and_b32_e32 v21, 31, v6
	v_mad_u64_u32 v[6:7], null, s10, v4, 0
	s_mov_b32 s5, 0
	s_add_i32 s21, s7, s1
	v_add_co_u32 v4, vcc_lo, v4, v21
	v_add_co_ci_u32_e64 v5, null, 0, v5, vcc_lo
	v_add3_u32 v7, v7, v18, v17
	v_cmp_gt_u32_e64 s0, 8, v21
	s_mul_i32 s20, s10, s4
	v_lshlrev_b64 v[17:18], 2, v[4:5]
	s_lshl_b64 s[20:21], s[20:21], 1
	v_lshlrev_b64 v[19:20], 1, v[6:7]
	s_lshl_b64 s[10:11], s[10:11], 1
	v_add_co_u32 v6, vcc_lo, s18, v17
	v_add_co_ci_u32_e64 v7, null, s19, v18, vcc_lo
	v_add_co_u32 v15, vcc_lo, v19, v15
	v_add_co_ci_u32_e64 v16, null, v20, v16, vcc_lo
	s_lshl_b64 s[18:19], s[4:5], 2
	s_branch .LBB204_6
.LBB204_4:                              ;   in Loop: Header=BB204_6 Depth=1
	s_or_b32 exec_lo, exec_lo, s5
.LBB204_5:                              ;   in Loop: Header=BB204_6 Depth=1
	s_or_b32 exec_lo, exec_lo, s1
	v_add_co_u32 v18, vcc_lo, s12, v15
	v_add_co_ci_u32_e64 v19, null, s13, v16, vcc_lo
	v_add_co_u32 v20, vcc_lo, s14, v15
	v_add_co_ci_u32_e64 v21, null, s15, v16, vcc_lo
	global_load_ushort v28, v[18:19], off
	v_add_co_u32 v18, vcc_lo, v18, s10
	v_add_co_ci_u32_e64 v19, null, s11, v19, vcc_lo
	v_add_co_u32 v22, vcc_lo, v20, s10
	v_add_co_ci_u32_e64 v23, null, s11, v21, vcc_lo
	;; [unrolled: 2-line block ×4, first 2 shown]
	global_load_ushort v29, v[20:21], off
	global_load_ushort v30, v[18:19], off
	;; [unrolled: 1-line block ×5, first 2 shown]
	v_add_co_u32 v18, vcc_lo, v24, s10
	v_add_co_ci_u32_e64 v19, null, s11, v25, vcc_lo
	v_add_co_u32 v20, vcc_lo, v26, s10
	v_add_co_ci_u32_e64 v21, null, s11, v27, vcc_lo
	global_load_ushort v34, v[18:19], off
	v_add_co_u32 v18, vcc_lo, v18, s10
	v_add_co_ci_u32_e64 v19, null, s11, v19, vcc_lo
	v_add_co_u32 v22, vcc_lo, v20, s10
	v_add_co_ci_u32_e64 v23, null, s11, v21, vcc_lo
	;; [unrolled: 2-line block ×4, first 2 shown]
	global_load_ushort v35, v[20:21], off
	global_load_ushort v36, v[18:19], off
	;; [unrolled: 1-line block ×5, first 2 shown]
	v_add_co_u32 v18, vcc_lo, v26, s10
	v_add_co_ci_u32_e64 v19, null, s11, v27, vcc_lo
	v_add_co_u32 v20, vcc_lo, v24, s10
	v_add_co_ci_u32_e64 v21, null, s11, v25, vcc_lo
	global_load_ushort v24, v[18:19], off
	v_add_co_u32 v18, vcc_lo, v18, s10
	v_add_co_ci_u32_e64 v19, null, s11, v19, vcc_lo
	v_add_co_u32 v22, vcc_lo, v20, s10
	v_add_co_ci_u32_e64 v23, null, s11, v21, vcc_lo
	global_load_ushort v20, v[20:21], off
	global_load_ushort v18, v[18:19], off
	global_load_ushort v19, v[22:23], off
	s_waitcnt vmcnt(16)
	ds_bpermute_b32 v21, v3, v17
	ds_bpermute_b32 v22, v9, v17
	ds_bpermute_b32 v26, v8, v17
	s_add_u32 s16, s16, s4
	v_add_co_u32 v6, vcc_lo, v6, s18
	s_addc_u32 s17, s17, 0
	v_add_co_ci_u32_e64 v7, null, s19, v7, vcc_lo
	v_add_co_u32 v4, vcc_lo, v4, s4
	v_cmp_lt_i64_e64 s1, s[16:17], s[8:9]
	v_add_co_ci_u32_e64 v5, null, 0, v5, vcc_lo
	v_add_co_u32 v15, vcc_lo, v15, s20
	v_add_co_ci_u32_e64 v16, null, s21, v16, vcc_lo
	s_and_b32 vcc_lo, exec_lo, s1
	s_waitcnt vmcnt(15)
	v_lshlrev_b32_e32 v25, 16, v28
	ds_bpermute_b32 v28, v10, v17
	s_waitcnt vmcnt(14)
	v_lshlrev_b32_e32 v23, 16, v29
	s_waitcnt vmcnt(12)
	v_lshlrev_b32_e32 v27, 16, v31
	;; [unrolled: 2-line block ×3, first 2 shown]
	v_mul_f32_e32 v23, v25, v23
	v_lshlrev_b32_e32 v25, 16, v30
	s_waitcnt lgkmcnt(3)
	v_fmac_f32_e32 v2, v23, v21
	v_mul_f32_e32 v21, v25, v27
	v_lshlrev_b32_e32 v23, 16, v32
	ds_bpermute_b32 v25, v11, v17
	ds_bpermute_b32 v27, v12, v17
	s_waitcnt lgkmcnt(4)
	v_fmac_f32_e32 v2, v21, v22
	v_mul_f32_e32 v21, v23, v29
	s_waitcnt vmcnt(9)
	v_lshlrev_b32_e32 v22, 16, v34
	ds_bpermute_b32 v23, v13, v17
	ds_bpermute_b32 v17, v14, v17
	s_waitcnt lgkmcnt(5)
	v_fmac_f32_e32 v2, v21, v26
	s_waitcnt vmcnt(8)
	v_lshlrev_b32_e32 v30, 16, v35
	s_waitcnt vmcnt(6)
	v_lshlrev_b32_e32 v29, 16, v37
	;; [unrolled: 2-line block ×3, first 2 shown]
	v_mul_f32_e32 v21, v22, v30
	v_lshlrev_b32_e32 v22, 16, v36
	v_lshlrev_b32_e32 v30, 16, v38
	s_waitcnt lgkmcnt(4)
	v_fmac_f32_e32 v2, v21, v28
	v_mul_f32_e32 v21, v22, v29
	s_waitcnt vmcnt(3)
	v_lshlrev_b32_e32 v22, 16, v24
	s_waitcnt lgkmcnt(3)
	v_fmac_f32_e32 v2, v21, v25
	v_mul_f32_e32 v21, v30, v26
	s_waitcnt vmcnt(2)
	v_lshlrev_b32_e32 v20, 16, v20
	s_waitcnt vmcnt(1)
	v_lshlrev_b32_e32 v18, 16, v18
	;; [unrolled: 2-line block ×3, first 2 shown]
	s_waitcnt lgkmcnt(2)
	v_fmac_f32_e32 v2, v21, v27
	v_mul_f32_e32 v20, v20, v22
	v_mul_f32_e32 v18, v19, v18
	s_waitcnt lgkmcnt(1)
	v_fmac_f32_e32 v2, v20, v23
	s_waitcnt lgkmcnt(0)
	v_fmac_f32_e32 v2, v18, v17
	s_cbranch_vccz .LBB204_9
.LBB204_6:                              ; =>This Inner Loop Header: Depth=1
	v_mov_b32_e32 v17, 0
	s_and_saveexec_b32 s1, s0
	s_cbranch_execz .LBB204_5
; %bb.7:                                ;   in Loop: Header=BB204_6 Depth=1
	v_mov_b32_e32 v17, 0
	s_mov_b32 s5, exec_lo
	v_cmpx_gt_i64_e64 s[8:9], v[4:5]
	s_cbranch_execz .LBB204_4
; %bb.8:                                ;   in Loop: Header=BB204_6 Depth=1
	global_load_dword v17, v[6:7], off
	s_branch .LBB204_4
.LBB204_9:
	v_mad_u32_u24 v3, v1, 33, v0
	v_lshrrev_b32_e32 v4, 5, v0
	s_mov_b32 s0, exec_lo
	v_lshl_add_u32 v3, v3, 2, 0
	v_add_nc_u32_e32 v1, v4, v1
	v_mov_b32_e32 v4, 0
	ds_write_b32 v3, v2
	ds_write_b32 v3, v4 offset:2112
	s_waitcnt lgkmcnt(0)
	s_barrier
	buffer_gl0_inv
	v_cmpx_gt_u32_e32 32, v1
	s_cbranch_execz .LBB204_19
; %bb.10:
	v_and_b32_e32 v2, 31, v0
	v_cmp_gt_u32_e64 s0, 16, v2
	v_mul_u32_u24_e32 v3, 33, v2
                                        ; implicit-def: $vgpr2
	s_and_saveexec_b32 s1, s0
	s_cbranch_execz .LBB204_12
; %bb.11:
	v_lshlrev_b32_e32 v2, 2, v1
	v_lshlrev_b32_e32 v4, 2, v3
	v_add3_u32 v2, 0, v2, v4
	ds_read_b32 v2, v2
.LBB204_12:
	s_or_b32 exec_lo, exec_lo, s1
	v_mbcnt_lo_u32_b32 v7, -1, 0
	s_cmp_lg_u64 s[2:3], 0
	s_mov_b32 s7, 0
	s_cselect_b32 s1, -1, 0
	s_lshl_b64 s[6:7], s[6:7], 6
	v_xor_b32_e32 v4, 8, v7
	v_xor_b32_e32 v5, 4, v7
	;; [unrolled: 1-line block ×3, first 2 shown]
	v_cmp_gt_i32_e32 vcc_lo, 32, v4
	v_cndmask_b32_e32 v4, v7, v4, vcc_lo
	v_cmp_gt_i32_e32 vcc_lo, 32, v5
	v_lshlrev_b32_e32 v4, 2, v4
	v_cndmask_b32_e32 v5, v7, v5, vcc_lo
	s_waitcnt lgkmcnt(0)
	ds_bpermute_b32 v6, v4, v2
	v_lshlrev_b32_e32 v5, 2, v5
	s_waitcnt lgkmcnt(0)
	v_add_f32_e32 v2, v2, v6
	v_xor_b32_e32 v6, 2, v7
	ds_bpermute_b32 v8, v5, v2
	v_cmp_gt_i32_e32 vcc_lo, 32, v6
	v_cndmask_b32_e32 v6, v7, v6, vcc_lo
	v_cmp_gt_i32_e32 vcc_lo, 32, v9
	v_lshlrev_b32_e32 v6, 2, v6
	v_cndmask_b32_e32 v7, v7, v9, vcc_lo
	v_cmp_eq_u32_e32 vcc_lo, 0, v0
	v_lshlrev_b32_e32 v7, 2, v7
	s_and_b32 s4, vcc_lo, s1
	s_add_u32 s1, s2, s6
	s_waitcnt lgkmcnt(0)
	v_add_f32_e32 v2, v2, v8
	s_addc_u32 s2, s3, s7
	ds_bpermute_b32 v8, v6, v2
	s_waitcnt lgkmcnt(0)
	v_add_f32_e32 v2, v2, v8
	ds_bpermute_b32 v8, v7, v2
	s_waitcnt lgkmcnt(0)
	v_add_f32_e32 v0, v2, v8
	s_and_saveexec_b32 s3, s4
	s_cbranch_execz .LBB204_14
; %bb.13:
	v_bfe_u32 v8, v0, 16, 1
	v_mov_b32_e32 v2, 0
	v_cmp_o_f32_e32 vcc_lo, v0, v0
	v_mov_b32_e32 v10, 0x7fc0
	v_add3_u32 v11, v0, v8, 0x7fff
	v_lshlrev_b64 v[8:9], 1, v[1:2]
	v_cndmask_b32_sdwa v2, v10, v11, vcc_lo dst_sel:DWORD dst_unused:UNUSED_PAD src0_sel:DWORD src1_sel:WORD_1
	v_add_co_u32 v8, vcc_lo, s1, v8
	v_add_co_ci_u32_e64 v9, null, s2, v9, vcc_lo
	global_store_short v[8:9], v2, off
.LBB204_14:
	s_or_b32 exec_lo, exec_lo, s3
	v_cmp_gt_u32_e32 vcc_lo, 16, v1
	s_and_b32 exec_lo, exec_lo, vcc_lo
	s_cbranch_execz .LBB204_19
; %bb.15:
	s_and_saveexec_b32 s3, s0
	s_cbranch_execz .LBB204_17
; %bb.16:
	v_lshlrev_b32_e32 v0, 2, v1
	v_lshlrev_b32_e32 v2, 2, v3
	v_add3_u32 v0, 0, v0, v2
	ds_read_b32 v0, v0 offset:64
.LBB204_17:
	s_or_b32 exec_lo, exec_lo, s3
	s_waitcnt lgkmcnt(0)
	ds_bpermute_b32 v2, v4, v0
	s_waitcnt lgkmcnt(0)
	v_add_f32_e32 v0, v0, v2
	ds_bpermute_b32 v2, v5, v0
	s_waitcnt lgkmcnt(0)
	v_add_f32_e32 v0, v0, v2
	;; [unrolled: 3-line block ×3, first 2 shown]
	ds_bpermute_b32 v2, v7, v0
	s_and_saveexec_b32 s0, s4
	s_xor_b32 s0, exec_lo, s0
	s_cbranch_execz .LBB204_19
; %bb.18:
	s_waitcnt lgkmcnt(0)
	v_add_f32_e32 v0, v0, v2
	v_mov_b32_e32 v2, 0
	v_mov_b32_e32 v4, 0x7fc0
	v_bfe_u32 v3, v0, 16, 1
	v_cmp_o_f32_e32 vcc_lo, v0, v0
	v_add3_u32 v3, v0, v3, 0x7fff
	v_lshlrev_b64 v[0:1], 1, v[1:2]
	v_cndmask_b32_sdwa v2, v4, v3, vcc_lo dst_sel:DWORD dst_unused:UNUSED_PAD src0_sel:DWORD src1_sel:WORD_1
	v_add_co_u32 v0, vcc_lo, s1, v0
	v_add_co_ci_u32_e64 v1, null, s2, v1, vcc_lo
	global_store_short v[0:1], v2, off offset:32
.LBB204_19:
	s_endpgm
	.section	.rodata,"a",@progbits
	.p2align	6, 0x0
	.amdhsa_kernel _ZN2at6native12_GLOBAL__N_135GammaBetaBackwardCUDAKernelTemplateIN3c108BFloat16EfLj32ELj16ELj128ELb0ELb1ELb1EEEvllPKT_S7_PKT0_SA_PS5_SB_
		.amdhsa_group_segment_fixed_size 0
		.amdhsa_private_segment_fixed_size 0
		.amdhsa_kernarg_size 320
		.amdhsa_user_sgpr_count 6
		.amdhsa_user_sgpr_private_segment_buffer 1
		.amdhsa_user_sgpr_dispatch_ptr 0
		.amdhsa_user_sgpr_queue_ptr 0
		.amdhsa_user_sgpr_kernarg_segment_ptr 1
		.amdhsa_user_sgpr_dispatch_id 0
		.amdhsa_user_sgpr_flat_scratch_init 0
		.amdhsa_user_sgpr_private_segment_size 0
		.amdhsa_wavefront_size32 1
		.amdhsa_uses_dynamic_stack 0
		.amdhsa_system_sgpr_private_segment_wavefront_offset 0
		.amdhsa_system_sgpr_workgroup_id_x 1
		.amdhsa_system_sgpr_workgroup_id_y 1
		.amdhsa_system_sgpr_workgroup_id_z 0
		.amdhsa_system_sgpr_workgroup_info 0
		.amdhsa_system_vgpr_workitem_id 1
		.amdhsa_next_free_vgpr 40
		.amdhsa_next_free_sgpr 22
		.amdhsa_reserve_vcc 1
		.amdhsa_reserve_flat_scratch 0
		.amdhsa_float_round_mode_32 0
		.amdhsa_float_round_mode_16_64 0
		.amdhsa_float_denorm_mode_32 3
		.amdhsa_float_denorm_mode_16_64 3
		.amdhsa_dx10_clamp 1
		.amdhsa_ieee_mode 1
		.amdhsa_fp16_overflow 0
		.amdhsa_workgroup_processor_mode 1
		.amdhsa_memory_ordered 1
		.amdhsa_forward_progress 1
		.amdhsa_shared_vgpr_count 0
		.amdhsa_exception_fp_ieee_invalid_op 0
		.amdhsa_exception_fp_denorm_src 0
		.amdhsa_exception_fp_ieee_div_zero 0
		.amdhsa_exception_fp_ieee_overflow 0
		.amdhsa_exception_fp_ieee_underflow 0
		.amdhsa_exception_fp_ieee_inexact 0
		.amdhsa_exception_int_div_zero 0
	.end_amdhsa_kernel
	.section	.text._ZN2at6native12_GLOBAL__N_135GammaBetaBackwardCUDAKernelTemplateIN3c108BFloat16EfLj32ELj16ELj128ELb0ELb1ELb1EEEvllPKT_S7_PKT0_SA_PS5_SB_,"axG",@progbits,_ZN2at6native12_GLOBAL__N_135GammaBetaBackwardCUDAKernelTemplateIN3c108BFloat16EfLj32ELj16ELj128ELb0ELb1ELb1EEEvllPKT_S7_PKT0_SA_PS5_SB_,comdat
.Lfunc_end204:
	.size	_ZN2at6native12_GLOBAL__N_135GammaBetaBackwardCUDAKernelTemplateIN3c108BFloat16EfLj32ELj16ELj128ELb0ELb1ELb1EEEvllPKT_S7_PKT0_SA_PS5_SB_, .Lfunc_end204-_ZN2at6native12_GLOBAL__N_135GammaBetaBackwardCUDAKernelTemplateIN3c108BFloat16EfLj32ELj16ELj128ELb0ELb1ELb1EEEvllPKT_S7_PKT0_SA_PS5_SB_
                                        ; -- End function
	.set _ZN2at6native12_GLOBAL__N_135GammaBetaBackwardCUDAKernelTemplateIN3c108BFloat16EfLj32ELj16ELj128ELb0ELb1ELb1EEEvllPKT_S7_PKT0_SA_PS5_SB_.num_vgpr, 40
	.set _ZN2at6native12_GLOBAL__N_135GammaBetaBackwardCUDAKernelTemplateIN3c108BFloat16EfLj32ELj16ELj128ELb0ELb1ELb1EEEvllPKT_S7_PKT0_SA_PS5_SB_.num_agpr, 0
	.set _ZN2at6native12_GLOBAL__N_135GammaBetaBackwardCUDAKernelTemplateIN3c108BFloat16EfLj32ELj16ELj128ELb0ELb1ELb1EEEvllPKT_S7_PKT0_SA_PS5_SB_.numbered_sgpr, 22
	.set _ZN2at6native12_GLOBAL__N_135GammaBetaBackwardCUDAKernelTemplateIN3c108BFloat16EfLj32ELj16ELj128ELb0ELb1ELb1EEEvllPKT_S7_PKT0_SA_PS5_SB_.num_named_barrier, 0
	.set _ZN2at6native12_GLOBAL__N_135GammaBetaBackwardCUDAKernelTemplateIN3c108BFloat16EfLj32ELj16ELj128ELb0ELb1ELb1EEEvllPKT_S7_PKT0_SA_PS5_SB_.private_seg_size, 0
	.set _ZN2at6native12_GLOBAL__N_135GammaBetaBackwardCUDAKernelTemplateIN3c108BFloat16EfLj32ELj16ELj128ELb0ELb1ELb1EEEvllPKT_S7_PKT0_SA_PS5_SB_.uses_vcc, 1
	.set _ZN2at6native12_GLOBAL__N_135GammaBetaBackwardCUDAKernelTemplateIN3c108BFloat16EfLj32ELj16ELj128ELb0ELb1ELb1EEEvllPKT_S7_PKT0_SA_PS5_SB_.uses_flat_scratch, 0
	.set _ZN2at6native12_GLOBAL__N_135GammaBetaBackwardCUDAKernelTemplateIN3c108BFloat16EfLj32ELj16ELj128ELb0ELb1ELb1EEEvllPKT_S7_PKT0_SA_PS5_SB_.has_dyn_sized_stack, 0
	.set _ZN2at6native12_GLOBAL__N_135GammaBetaBackwardCUDAKernelTemplateIN3c108BFloat16EfLj32ELj16ELj128ELb0ELb1ELb1EEEvllPKT_S7_PKT0_SA_PS5_SB_.has_recursion, 0
	.set _ZN2at6native12_GLOBAL__N_135GammaBetaBackwardCUDAKernelTemplateIN3c108BFloat16EfLj32ELj16ELj128ELb0ELb1ELb1EEEvllPKT_S7_PKT0_SA_PS5_SB_.has_indirect_call, 0
	.section	.AMDGPU.csdata,"",@progbits
; Kernel info:
; codeLenInByte = 1728
; TotalNumSgprs: 24
; NumVgprs: 40
; ScratchSize: 0
; MemoryBound: 0
; FloatMode: 240
; IeeeMode: 1
; LDSByteSize: 0 bytes/workgroup (compile time only)
; SGPRBlocks: 0
; VGPRBlocks: 4
; NumSGPRsForWavesPerEU: 24
; NumVGPRsForWavesPerEU: 40
; Occupancy: 16
; WaveLimiterHint : 0
; COMPUTE_PGM_RSRC2:SCRATCH_EN: 0
; COMPUTE_PGM_RSRC2:USER_SGPR: 6
; COMPUTE_PGM_RSRC2:TRAP_HANDLER: 0
; COMPUTE_PGM_RSRC2:TGID_X_EN: 1
; COMPUTE_PGM_RSRC2:TGID_Y_EN: 1
; COMPUTE_PGM_RSRC2:TGID_Z_EN: 0
; COMPUTE_PGM_RSRC2:TIDIG_COMP_CNT: 1
	.section	.text._ZN2at6native12_GLOBAL__N_135GammaBetaBackwardCUDAKernelTemplateIN3c108BFloat16EfLj32ELj16ELj128ELb0ELb0ELb1EEEvllPKT_S7_PKT0_SA_PS5_SB_,"axG",@progbits,_ZN2at6native12_GLOBAL__N_135GammaBetaBackwardCUDAKernelTemplateIN3c108BFloat16EfLj32ELj16ELj128ELb0ELb0ELb1EEEvllPKT_S7_PKT0_SA_PS5_SB_,comdat
	.globl	_ZN2at6native12_GLOBAL__N_135GammaBetaBackwardCUDAKernelTemplateIN3c108BFloat16EfLj32ELj16ELj128ELb0ELb0ELb1EEEvllPKT_S7_PKT0_SA_PS5_SB_ ; -- Begin function _ZN2at6native12_GLOBAL__N_135GammaBetaBackwardCUDAKernelTemplateIN3c108BFloat16EfLj32ELj16ELj128ELb0ELb0ELb1EEEvllPKT_S7_PKT0_SA_PS5_SB_
	.p2align	8
	.type	_ZN2at6native12_GLOBAL__N_135GammaBetaBackwardCUDAKernelTemplateIN3c108BFloat16EfLj32ELj16ELj128ELb0ELb0ELb1EEEvllPKT_S7_PKT0_SA_PS5_SB_,@function
_ZN2at6native12_GLOBAL__N_135GammaBetaBackwardCUDAKernelTemplateIN3c108BFloat16EfLj32ELj16ELj128ELb0ELb0ELb1EEEvllPKT_S7_PKT0_SA_PS5_SB_: ; @_ZN2at6native12_GLOBAL__N_135GammaBetaBackwardCUDAKernelTemplateIN3c108BFloat16EfLj32ELj16ELj128ELb0ELb0ELb1EEEvllPKT_S7_PKT0_SA_PS5_SB_
; %bb.0:
	s_clause 0x1
	s_load_dwordx8 s[8:15], s[4:5], 0x0
	s_load_dwordx2 s[2:3], s[4:5], 0x28
	s_lshl_b32 s26, s6, 5
	s_mov_b32 s17, 0
	s_or_b32 s16, s26, 31
	s_waitcnt lgkmcnt(0)
	v_cmp_le_i64_e64 s0, s[10:11], s[16:17]
	s_lshl_b32 s16, s7, 7
	v_cmp_gt_i64_e64 s7, s[8:9], s[16:17]
	s_and_b32 vcc_lo, exec_lo, s0
	v_cndmask_b32_e64 v2, 0, 1, s7
	v_cmp_ne_u32_e64 s0, 1, v2
	s_cbranch_vccz .LBB205_49
; %bb.1:
	v_mov_b32_e32 v85, 0
	s_and_b32 vcc_lo, exec_lo, s0
	s_cbranch_vccnz .LBB205_50
; %bb.2:
	v_lshlrev_b32_e32 v21, 3, v1
	v_mov_b32_e32 v2, 0
	v_add_nc_u32_e32 v5, s26, v0
	s_load_dword s1, s[4:5], 0x44
	s_add_u32 s18, s4, 64
	v_add_co_u32 v11, s0, v21, s16
	v_add_co_ci_u32_e64 v12, null, 0, 0, s0
	v_mov_b32_e32 v6, v2
	v_mul_lo_u32 v7, s11, v11
	v_mad_u64_u32 v[3:4], null, s10, v11, 0
	v_mul_lo_u32 v8, s10, v12
	v_cmp_gt_i64_e64 s0, s[10:11], v[5:6]
	v_lshlrev_b64 v[19:20], 1, v[5:6]
	s_addc_u32 s19, s5, 0
	v_mov_b32_e32 v54, 0
	s_mov_b64 s[24:25], s[16:17]
	v_add3_u32 v4, v4, v8, v7
	v_add_co_u32 v7, vcc_lo, v11, 7
	v_add_co_ci_u32_e64 v8, null, 0, v12, vcc_lo
	v_lshlrev_b64 v[5:6], 1, v[3:4]
	v_mul_lo_u32 v13, s11, v7
	s_waitcnt lgkmcnt(0)
	s_lshl_b32 s27, s1, 7
	v_mul_lo_u32 v14, s10, v8
	v_mad_u64_u32 v[7:8], null, s10, v7, 0
	v_add_co_u32 v22, vcc_lo, s12, v5
	v_add_co_ci_u32_e64 v23, null, s13, v6, vcc_lo
	v_add_co_u32 v9, vcc_lo, v11, 6
	v_add_co_ci_u32_e64 v10, null, 0, v12, vcc_lo
	v_add_co_u32 v24, vcc_lo, s14, v5
	v_mul_lo_u32 v15, s11, v9
	v_mul_lo_u32 v16, s10, v10
	v_mad_u64_u32 v[9:10], null, s10, v9, 0
	v_add3_u32 v8, v8, v14, v13
	v_add_co_ci_u32_e64 v25, null, s15, v6, vcc_lo
	v_add_co_u32 v13, vcc_lo, v11, 5
	v_add_co_ci_u32_e64 v14, null, 0, v12, vcc_lo
	v_add3_u32 v10, v10, v16, v15
	v_lshlrev_b64 v[5:6], 1, v[7:8]
	v_mul_lo_u32 v15, s11, v13
	v_mul_lo_u32 v14, s10, v14
	s_mul_i32 s1, s11, s27
	v_lshlrev_b64 v[7:8], 1, v[9:10]
	v_mad_u64_u32 v[9:10], null, s10, v13, 0
	v_add_co_u32 v26, vcc_lo, s12, v5
	v_add_co_ci_u32_e64 v27, null, s13, v6, vcc_lo
	v_add_co_u32 v28, vcc_lo, s14, v5
	v_add_co_ci_u32_e64 v29, null, s15, v6, vcc_lo
	v_add_co_u32 v30, vcc_lo, s12, v7
	v_add3_u32 v10, v10, v14, v15
	s_mul_hi_u32 s20, s10, s27
	v_add_co_ci_u32_e64 v31, null, s13, v8, vcc_lo
	v_add_co_u32 v13, vcc_lo, v11, 4
	s_add_i32 s21, s20, s1
	v_add_co_u32 v32, s1, s14, v7
	v_add_co_ci_u32_e64 v7, null, 0, v12, vcc_lo
	v_lshlrev_b64 v[5:6], 1, v[9:10]
	v_add_co_u32 v9, vcc_lo, v11, 3
	v_add_co_ci_u32_e64 v10, null, 0, v12, vcc_lo
	v_add_co_ci_u32_e64 v33, null, s15, v8, s1
	v_mul_lo_u32 v14, s11, v13
	v_mul_lo_u32 v15, s10, v7
	v_mad_u64_u32 v[7:8], null, s10, v13, 0
	v_mul_lo_u32 v13, s11, v9
	v_mul_lo_u32 v16, s10, v10
	v_mad_u64_u32 v[9:10], null, s10, v9, 0
	v_add_co_u32 v34, vcc_lo, s12, v5
	v_add_co_ci_u32_e64 v35, null, s13, v6, vcc_lo
	v_add3_u32 v8, v8, v15, v14
	v_add_co_u32 v36, vcc_lo, s14, v5
	v_add_co_ci_u32_e64 v37, null, s15, v6, vcc_lo
	v_add_co_u32 v11, vcc_lo, v11, 2
	v_add3_u32 v10, v10, v16, v13
	v_add_co_ci_u32_e64 v12, null, 0, v12, vcc_lo
	v_lshlrev_b64 v[5:6], 1, v[7:8]
	v_mul_lo_u32 v13, s11, v11
	v_lshlrev_b64 v[7:8], 1, v[9:10]
	v_mul_lo_u32 v12, s10, v12
	v_mad_u64_u32 v[9:10], null, s10, v11, 0
	v_add_co_u32 v38, vcc_lo, s12, v5
	v_add_co_ci_u32_e64 v39, null, s13, v6, vcc_lo
	v_add_co_u32 v40, vcc_lo, s14, v5
	v_add_co_ci_u32_e64 v41, null, s15, v6, vcc_lo
	;; [unrolled: 2-line block ×3, first 2 shown]
	v_add3_u32 v10, v10, v12, v13
	v_add_co_u32 v44, vcc_lo, s14, v7
	v_add_co_ci_u32_e64 v45, null, s15, v8, vcc_lo
	v_add_co_u32 v3, vcc_lo, v3, s10
	v_add_co_ci_u32_e64 v4, null, s11, v4, vcc_lo
	v_lshlrev_b64 v[5:6], 1, v[9:10]
	s_mul_i32 s20, s10, s27
	v_lshlrev_b64 v[3:4], 1, v[3:4]
	s_lshl_b64 s[20:21], s[20:21], 1
	s_add_u32 s22, s16, 0x7f
	v_add_co_u32 v46, vcc_lo, s12, v5
	v_add_co_ci_u32_e64 v47, null, s13, v6, vcc_lo
	v_add_co_u32 v48, vcc_lo, s14, v5
	v_add_co_ci_u32_e64 v49, null, s15, v6, vcc_lo
	;; [unrolled: 2-line block ×4, first 2 shown]
	s_addc_u32 s23, 0, 0
.LBB205_3:                              ; =>This Inner Loop Header: Depth=1
	v_cmp_ge_i64_e64 s1, s[22:23], s[8:9]
	v_add_co_u32 v55, s28, v21, s22
	v_add_co_ci_u32_e64 v56, null, 0, s23, s28
                                        ; implicit-def: $vgpr3_vgpr4_vgpr5_vgpr6_vgpr7_vgpr8_vgpr9_vgpr10
                                        ; implicit-def: $vgpr85
                                        ; implicit-def: $vgpr11_vgpr12_vgpr13_vgpr14_vgpr15_vgpr16_vgpr17_vgpr18
                                        ; implicit-def: $vgpr3
	s_and_b32 vcc_lo, exec_lo, s1
	s_mov_b32 s1, -1
	s_cbranch_vccz .LBB205_25
; %bb.4:                                ;   in Loop: Header=BB205_3 Depth=1
	s_load_dword s1, s[18:19], 0xc
	v_mov_b32_e32 v57, 0
	s_waitcnt lgkmcnt(0)
	s_and_b32 s1, s1, 0xffff
	v_mad_u32_u24 v3, v1, s1, v0
	s_mov_b32 s1, exec_lo
	v_and_b32_e32 v3, 31, v3
	v_cmpx_gt_u32_e32 8, v3
	s_cbranch_execz .LBB205_8
; %bb.5:                                ;   in Loop: Header=BB205_3 Depth=1
	v_add_co_u32 v3, vcc_lo, v55, v3
	v_add_co_ci_u32_e64 v4, null, 0, v56, vcc_lo
	v_mov_b32_e32 v57, 0
	v_add_co_u32 v3, vcc_lo, 0xffffff81, v3
	v_add_co_ci_u32_e64 v4, null, -1, v4, vcc_lo
	s_mov_b32 s28, exec_lo
	v_cmpx_gt_i64_e64 s[8:9], v[3:4]
	s_cbranch_execz .LBB205_7
; %bb.6:                                ;   in Loop: Header=BB205_3 Depth=1
	v_lshlrev_b64 v[3:4], 2, v[3:4]
	v_add_co_u32 v3, vcc_lo, s2, v3
	v_add_co_ci_u32_e64 v4, null, s3, v4, vcc_lo
	global_load_dword v57, v[3:4], off
.LBB205_7:                              ;   in Loop: Header=BB205_3 Depth=1
	s_or_b32 exec_lo, exec_lo, s28
.LBB205_8:                              ;   in Loop: Header=BB205_3 Depth=1
	s_or_b32 exec_lo, exec_lo, s1
	v_add_co_u32 v10, vcc_lo, 0xffffff81, v55
	v_add_co_ci_u32_e64 v11, null, -1, v56, vcc_lo
	v_mov_b32_e32 v9, v2
	v_mov_b32_e32 v3, v2
	v_mov_b32_e32 v4, v2
	v_mov_b32_e32 v5, v2
	v_mov_b32_e32 v6, v2
	v_mov_b32_e32 v7, v2
	v_mov_b32_e32 v8, v2
	v_cmp_gt_i64_e32 vcc_lo, s[8:9], v[10:11]
	v_mov_b32_e32 v18, v9
	v_mov_b32_e32 v15, v6
	;; [unrolled: 1-line block ×16, first 2 shown]
	s_and_b32 s28, s0, vcc_lo
	s_and_saveexec_b32 s1, s28
	s_cbranch_execz .LBB205_10
; %bb.9:                                ;   in Loop: Header=BB205_3 Depth=1
	v_add_co_u32 v3, vcc_lo, v22, v19
	v_add_co_ci_u32_e64 v4, null, v23, v20, vcc_lo
	v_add_co_u32 v5, vcc_lo, v24, v19
	v_add_co_ci_u32_e64 v6, null, v25, v20, vcc_lo
	global_load_ushort v3, v[3:4], off
	global_load_ushort v11, v[5:6], off
	v_mov_b32_e32 v4, v2
	v_mov_b32_e32 v5, v2
	;; [unrolled: 1-line block ×14, first 2 shown]
	s_waitcnt vmcnt(1)
	v_lshlrev_b32_e32 v3, 16, v3
	s_waitcnt vmcnt(0)
	v_lshlrev_b32_e32 v11, 16, v11
.LBB205_10:                             ;   in Loop: Header=BB205_3 Depth=1
	s_or_b32 exec_lo, exec_lo, s1
	v_add_co_u32 v58, vcc_lo, 0xffffff82, v55
	v_add_co_ci_u32_e64 v59, null, -1, v56, vcc_lo
	v_cmp_gt_i64_e32 vcc_lo, s[8:9], v[58:59]
	s_and_b32 s28, s0, vcc_lo
	s_and_saveexec_b32 s1, s28
	s_cbranch_execz .LBB205_12
; %bb.11:                               ;   in Loop: Header=BB205_3 Depth=1
	v_add_co_u32 v58, vcc_lo, v50, v19
	v_add_co_ci_u32_e64 v59, null, v51, v20, vcc_lo
	v_add_co_u32 v60, vcc_lo, v52, v19
	v_add_co_ci_u32_e64 v61, null, v53, v20, vcc_lo
	global_load_ushort v4, v[58:59], off
	global_load_ushort v12, v[60:61], off
	s_waitcnt vmcnt(1)
	v_lshlrev_b32_e32 v4, 16, v4
	s_waitcnt vmcnt(0)
	v_lshlrev_b32_e32 v12, 16, v12
.LBB205_12:                             ;   in Loop: Header=BB205_3 Depth=1
	s_or_b32 exec_lo, exec_lo, s1
	v_add_co_u32 v58, vcc_lo, 0xffffff83, v55
	v_add_co_ci_u32_e64 v59, null, -1, v56, vcc_lo
	v_cmp_gt_i64_e32 vcc_lo, s[8:9], v[58:59]
	s_and_b32 s28, s0, vcc_lo
	s_and_saveexec_b32 s1, s28
	s_cbranch_execz .LBB205_14
; %bb.13:                               ;   in Loop: Header=BB205_3 Depth=1
	v_add_co_u32 v58, vcc_lo, v46, v19
	v_add_co_ci_u32_e64 v59, null, v47, v20, vcc_lo
	v_add_co_u32 v60, vcc_lo, v48, v19
	v_add_co_ci_u32_e64 v61, null, v49, v20, vcc_lo
	global_load_ushort v5, v[58:59], off
	global_load_ushort v13, v[60:61], off
	s_waitcnt vmcnt(1)
	v_lshlrev_b32_e32 v5, 16, v5
	s_waitcnt vmcnt(0)
	v_lshlrev_b32_e32 v13, 16, v13
.LBB205_14:                             ;   in Loop: Header=BB205_3 Depth=1
	s_or_b32 exec_lo, exec_lo, s1
	v_add_co_u32 v58, vcc_lo, 0xffffff84, v55
	v_add_co_ci_u32_e64 v59, null, -1, v56, vcc_lo
	v_cmp_gt_i64_e32 vcc_lo, s[8:9], v[58:59]
	s_and_b32 s28, s0, vcc_lo
	s_and_saveexec_b32 s1, s28
	s_cbranch_execz .LBB205_16
; %bb.15:                               ;   in Loop: Header=BB205_3 Depth=1
	v_add_co_u32 v58, vcc_lo, v42, v19
	v_add_co_ci_u32_e64 v59, null, v43, v20, vcc_lo
	v_add_co_u32 v60, vcc_lo, v44, v19
	v_add_co_ci_u32_e64 v61, null, v45, v20, vcc_lo
	global_load_ushort v6, v[58:59], off
	global_load_ushort v14, v[60:61], off
	s_waitcnt vmcnt(1)
	v_lshlrev_b32_e32 v6, 16, v6
	s_waitcnt vmcnt(0)
	v_lshlrev_b32_e32 v14, 16, v14
.LBB205_16:                             ;   in Loop: Header=BB205_3 Depth=1
	s_or_b32 exec_lo, exec_lo, s1
	v_add_co_u32 v58, vcc_lo, 0xffffff85, v55
	v_add_co_ci_u32_e64 v59, null, -1, v56, vcc_lo
	v_cmp_gt_i64_e32 vcc_lo, s[8:9], v[58:59]
	s_and_b32 s28, s0, vcc_lo
	s_and_saveexec_b32 s1, s28
	s_cbranch_execz .LBB205_18
; %bb.17:                               ;   in Loop: Header=BB205_3 Depth=1
	v_add_co_u32 v58, vcc_lo, v38, v19
	v_add_co_ci_u32_e64 v59, null, v39, v20, vcc_lo
	v_add_co_u32 v60, vcc_lo, v40, v19
	v_add_co_ci_u32_e64 v61, null, v41, v20, vcc_lo
	global_load_ushort v7, v[58:59], off
	global_load_ushort v15, v[60:61], off
	s_waitcnt vmcnt(1)
	v_lshlrev_b32_e32 v7, 16, v7
	s_waitcnt vmcnt(0)
	v_lshlrev_b32_e32 v15, 16, v15
.LBB205_18:                             ;   in Loop: Header=BB205_3 Depth=1
	s_or_b32 exec_lo, exec_lo, s1
	v_add_co_u32 v58, vcc_lo, 0xffffff86, v55
	v_add_co_ci_u32_e64 v59, null, -1, v56, vcc_lo
	v_cmp_gt_i64_e32 vcc_lo, s[8:9], v[58:59]
	s_and_b32 s28, s0, vcc_lo
	s_and_saveexec_b32 s1, s28
	s_cbranch_execz .LBB205_20
; %bb.19:                               ;   in Loop: Header=BB205_3 Depth=1
	v_add_co_u32 v58, vcc_lo, v34, v19
	v_add_co_ci_u32_e64 v59, null, v35, v20, vcc_lo
	v_add_co_u32 v60, vcc_lo, v36, v19
	v_add_co_ci_u32_e64 v61, null, v37, v20, vcc_lo
	global_load_ushort v8, v[58:59], off
	global_load_ushort v16, v[60:61], off
	s_waitcnt vmcnt(1)
	v_lshlrev_b32_e32 v8, 16, v8
	s_waitcnt vmcnt(0)
	v_lshlrev_b32_e32 v16, 16, v16
.LBB205_20:                             ;   in Loop: Header=BB205_3 Depth=1
	s_or_b32 exec_lo, exec_lo, s1
	v_add_co_u32 v58, vcc_lo, 0xffffff87, v55
	v_add_co_ci_u32_e64 v59, null, -1, v56, vcc_lo
	v_cmp_gt_i64_e32 vcc_lo, s[8:9], v[58:59]
	s_and_b32 s28, s0, vcc_lo
	s_and_saveexec_b32 s1, s28
	s_cbranch_execz .LBB205_22
; %bb.21:                               ;   in Loop: Header=BB205_3 Depth=1
	v_add_co_u32 v58, vcc_lo, v30, v19
	v_add_co_ci_u32_e64 v59, null, v31, v20, vcc_lo
	v_add_co_u32 v60, vcc_lo, v32, v19
	v_add_co_ci_u32_e64 v61, null, v33, v20, vcc_lo
	global_load_ushort v9, v[58:59], off
	global_load_ushort v17, v[60:61], off
	s_waitcnt vmcnt(1)
	v_lshlrev_b32_e32 v9, 16, v9
	s_waitcnt vmcnt(0)
	v_lshlrev_b32_e32 v17, 16, v17
.LBB205_22:                             ;   in Loop: Header=BB205_3 Depth=1
	s_or_b32 exec_lo, exec_lo, s1
	v_add_co_u32 v58, vcc_lo, 0xffffff88, v55
	v_add_co_ci_u32_e64 v59, null, -1, v56, vcc_lo
	v_cmp_gt_i64_e32 vcc_lo, s[8:9], v[58:59]
	s_and_b32 s28, s0, vcc_lo
	s_and_saveexec_b32 s1, s28
	s_cbranch_execz .LBB205_24
; %bb.23:                               ;   in Loop: Header=BB205_3 Depth=1
	v_add_co_u32 v58, vcc_lo, v26, v19
	v_add_co_ci_u32_e64 v59, null, v27, v20, vcc_lo
	v_add_co_u32 v60, vcc_lo, v28, v19
	v_add_co_ci_u32_e64 v61, null, v29, v20, vcc_lo
	global_load_ushort v10, v[58:59], off
	global_load_ushort v18, v[60:61], off
	s_waitcnt vmcnt(1)
	v_lshlrev_b32_e32 v10, 16, v10
	s_waitcnt vmcnt(0)
	v_lshlrev_b32_e32 v18, 16, v18
.LBB205_24:                             ;   in Loop: Header=BB205_3 Depth=1
	s_or_b32 exec_lo, exec_lo, s1
	s_waitcnt vmcnt(0)
	ds_bpermute_b32 v58, v2, v57
	ds_bpermute_b32 v59, v2, v57 offset:4
	ds_bpermute_b32 v60, v2, v57 offset:8
	v_mul_f32_e32 v3, v11, v3
	ds_bpermute_b32 v11, v2, v57 offset:12
	v_mul_f32_e32 v4, v12, v4
	;; [unrolled: 2-line block ×3, first 2 shown]
	s_mov_b32 s1, 0
	s_waitcnt lgkmcnt(4)
	v_fma_f32 v85, v3, v58, v54
	v_mul_f32_e32 v3, v13, v5
	ds_bpermute_b32 v5, v2, v57 offset:20
	s_waitcnt lgkmcnt(4)
	v_fmac_f32_e32 v85, v4, v59
	v_mul_f32_e32 v4, v14, v6
	ds_bpermute_b32 v6, v2, v57 offset:24
	s_waitcnt lgkmcnt(4)
	v_fmac_f32_e32 v85, v3, v60
	ds_bpermute_b32 v3, v2, v57 offset:28
	s_waitcnt lgkmcnt(4)
	v_fmac_f32_e32 v85, v4, v11
	v_mul_f32_e32 v4, v16, v8
	s_waitcnt lgkmcnt(3)
	v_fmac_f32_e32 v85, v7, v12
	s_waitcnt lgkmcnt(2)
	v_fmac_f32_e32 v85, v4, v5
	v_mul_f32_e32 v4, v17, v9
	s_waitcnt lgkmcnt(1)
	v_fmac_f32_e32 v85, v4, v6
.LBB205_25:                             ;   in Loop: Header=BB205_3 Depth=1
	s_and_b32 vcc_lo, exec_lo, s1
	s_cbranch_vccz .LBB205_40
; %bb.26:                               ;   in Loop: Header=BB205_3 Depth=1
	s_load_dword s1, s[18:19], 0x0
	v_mov_b32_e32 v57, 0
	s_waitcnt lgkmcnt(0)
	s_cmp_lt_u32 s6, s1
	s_cselect_b32 s1, 12, 18
	s_add_u32 s28, s18, s1
	s_addc_u32 s29, s19, 0
	s_mov_b32 s1, exec_lo
	global_load_ushort v3, v2, s[28:29]
	s_waitcnt vmcnt(0)
	v_mad_u32_u24 v3, v1, v3, v0
	v_and_b32_e32 v3, 31, v3
	v_cmpx_gt_u32_e32 8, v3
	s_cbranch_execz .LBB205_30
; %bb.27:                               ;   in Loop: Header=BB205_3 Depth=1
	v_add_co_u32 v3, vcc_lo, v55, v3
	v_add_co_ci_u32_e64 v4, null, 0, v56, vcc_lo
	v_mov_b32_e32 v57, 0
	v_add_co_u32 v3, vcc_lo, 0xffffff81, v3
	v_add_co_ci_u32_e64 v4, null, -1, v4, vcc_lo
	s_mov_b32 s28, exec_lo
	v_cmpx_gt_i64_e64 s[8:9], v[3:4]
	s_cbranch_execz .LBB205_29
; %bb.28:                               ;   in Loop: Header=BB205_3 Depth=1
	v_lshlrev_b64 v[3:4], 2, v[3:4]
	v_add_co_u32 v3, vcc_lo, s2, v3
	v_add_co_ci_u32_e64 v4, null, s3, v4, vcc_lo
	global_load_dword v57, v[3:4], off
.LBB205_29:                             ;   in Loop: Header=BB205_3 Depth=1
	s_or_b32 exec_lo, exec_lo, s28
.LBB205_30:                             ;   in Loop: Header=BB205_3 Depth=1
	s_or_b32 exec_lo, exec_lo, s1
	v_mov_b32_e32 v9, v2
	v_mov_b32_e32 v3, v2
	;; [unrolled: 1-line block ×23, first 2 shown]
	s_and_saveexec_b32 s1, s0
	s_cbranch_execnz .LBB205_42
; %bb.31:                               ;   in Loop: Header=BB205_3 Depth=1
	s_or_b32 exec_lo, exec_lo, s1
	s_and_saveexec_b32 s1, s0
	s_cbranch_execnz .LBB205_43
.LBB205_32:                             ;   in Loop: Header=BB205_3 Depth=1
	s_or_b32 exec_lo, exec_lo, s1
	s_and_saveexec_b32 s1, s0
	s_cbranch_execnz .LBB205_44
.LBB205_33:                             ;   in Loop: Header=BB205_3 Depth=1
	s_or_b32 exec_lo, exec_lo, s1
	s_and_saveexec_b32 s1, s0
	s_cbranch_execnz .LBB205_45
.LBB205_34:                             ;   in Loop: Header=BB205_3 Depth=1
	s_or_b32 exec_lo, exec_lo, s1
	s_and_saveexec_b32 s1, s0
	s_cbranch_execnz .LBB205_46
.LBB205_35:                             ;   in Loop: Header=BB205_3 Depth=1
	s_or_b32 exec_lo, exec_lo, s1
	s_and_saveexec_b32 s1, s0
	s_cbranch_execnz .LBB205_47
.LBB205_36:                             ;   in Loop: Header=BB205_3 Depth=1
	s_or_b32 exec_lo, exec_lo, s1
	s_and_saveexec_b32 s1, s0
	s_cbranch_execnz .LBB205_48
.LBB205_37:                             ;   in Loop: Header=BB205_3 Depth=1
	s_or_b32 exec_lo, exec_lo, s1
	s_and_saveexec_b32 s1, s0
	s_cbranch_execz .LBB205_39
.LBB205_38:                             ;   in Loop: Header=BB205_3 Depth=1
	v_add_co_u32 v55, vcc_lo, v26, v19
	v_add_co_ci_u32_e64 v56, null, v27, v20, vcc_lo
	v_add_co_u32 v58, vcc_lo, v28, v19
	v_add_co_ci_u32_e64 v59, null, v29, v20, vcc_lo
	global_load_ushort v10, v[55:56], off
	global_load_ushort v18, v[58:59], off
	s_waitcnt vmcnt(1)
	v_lshlrev_b32_e32 v10, 16, v10
	s_waitcnt vmcnt(0)
	v_lshlrev_b32_e32 v18, 16, v18
.LBB205_39:                             ;   in Loop: Header=BB205_3 Depth=1
	s_or_b32 exec_lo, exec_lo, s1
	s_waitcnt vmcnt(0)
	ds_bpermute_b32 v55, v2, v57
	ds_bpermute_b32 v56, v2, v57 offset:4
	ds_bpermute_b32 v58, v2, v57 offset:8
	v_mul_f32_e32 v3, v11, v3
	ds_bpermute_b32 v11, v2, v57 offset:12
	v_mul_f32_e32 v4, v12, v4
	ds_bpermute_b32 v12, v2, v57 offset:16
	s_waitcnt lgkmcnt(4)
	v_fmac_f32_e32 v54, v3, v55
	v_mul_f32_e32 v3, v13, v5
	ds_bpermute_b32 v5, v2, v57 offset:20
	s_waitcnt lgkmcnt(4)
	v_fmac_f32_e32 v54, v4, v56
	;; [unrolled: 4-line block ×3, first 2 shown]
	v_mul_f32_e32 v3, v15, v7
	s_waitcnt lgkmcnt(3)
	v_fmac_f32_e32 v54, v4, v11
	v_mul_f32_e32 v4, v16, v8
	s_waitcnt lgkmcnt(2)
	v_fmac_f32_e32 v54, v3, v12
	ds_bpermute_b32 v3, v2, v57 offset:28
	s_waitcnt lgkmcnt(2)
	v_fmac_f32_e32 v54, v4, v5
	v_mul_f32_e32 v4, v17, v9
	s_waitcnt lgkmcnt(1)
	v_fmac_f32_e32 v54, v4, v6
	v_mov_b32_e32 v85, v54
.LBB205_40:                             ;   in Loop: Header=BB205_3 Depth=1
	v_add_co_u32 v22, vcc_lo, v22, s20
	v_add_co_ci_u32_e64 v23, null, s21, v23, vcc_lo
	v_add_co_u32 v24, vcc_lo, v24, s20
	v_add_co_ci_u32_e64 v25, null, s21, v25, vcc_lo
	;; [unrolled: 2-line block ×12, first 2 shown]
	v_add_co_u32 v46, vcc_lo, v46, s20
	s_add_u32 s24, s24, s27
	v_add_co_ci_u32_e64 v47, null, s21, v47, vcc_lo
	v_add_co_u32 v48, vcc_lo, v48, s20
	v_mul_f32_e32 v4, v10, v18
	s_addc_u32 s25, s25, 0
	v_add_co_ci_u32_e64 v49, null, s21, v49, vcc_lo
	v_add_co_u32 v50, vcc_lo, v50, s20
	v_cmp_lt_i64_e64 s1, s[24:25], s[8:9]
	v_add_co_ci_u32_e64 v51, null, s21, v51, vcc_lo
	v_add_co_u32 v52, vcc_lo, v52, s20
	s_waitcnt lgkmcnt(0)
	v_fmac_f32_e32 v85, v4, v3
	v_add_co_ci_u32_e64 v53, null, s21, v53, vcc_lo
	s_add_u32 s22, s22, s27
	s_addc_u32 s23, s23, 0
	s_and_b32 vcc_lo, exec_lo, s1
	s_cbranch_vccz .LBB205_50
; %bb.41:                               ;   in Loop: Header=BB205_3 Depth=1
	v_mov_b32_e32 v54, v85
	s_branch .LBB205_3
.LBB205_42:                             ;   in Loop: Header=BB205_3 Depth=1
	v_add_co_u32 v3, vcc_lo, v22, v19
	v_add_co_ci_u32_e64 v4, null, v23, v20, vcc_lo
	v_add_co_u32 v5, vcc_lo, v24, v19
	v_add_co_ci_u32_e64 v6, null, v25, v20, vcc_lo
	global_load_ushort v3, v[3:4], off
	global_load_ushort v11, v[5:6], off
	v_mov_b32_e32 v4, v2
	v_mov_b32_e32 v5, v2
	;; [unrolled: 1-line block ×14, first 2 shown]
	s_waitcnt vmcnt(1)
	v_lshlrev_b32_e32 v3, 16, v3
	s_waitcnt vmcnt(0)
	v_lshlrev_b32_e32 v11, 16, v11
	s_or_b32 exec_lo, exec_lo, s1
	s_and_saveexec_b32 s1, s0
	s_cbranch_execz .LBB205_32
.LBB205_43:                             ;   in Loop: Header=BB205_3 Depth=1
	v_add_co_u32 v55, vcc_lo, v50, v19
	v_add_co_ci_u32_e64 v56, null, v51, v20, vcc_lo
	v_add_co_u32 v58, vcc_lo, v52, v19
	v_add_co_ci_u32_e64 v59, null, v53, v20, vcc_lo
	global_load_ushort v4, v[55:56], off
	global_load_ushort v12, v[58:59], off
	s_waitcnt vmcnt(1)
	v_lshlrev_b32_e32 v4, 16, v4
	s_waitcnt vmcnt(0)
	v_lshlrev_b32_e32 v12, 16, v12
	s_or_b32 exec_lo, exec_lo, s1
	s_and_saveexec_b32 s1, s0
	s_cbranch_execz .LBB205_33
.LBB205_44:                             ;   in Loop: Header=BB205_3 Depth=1
	v_add_co_u32 v55, vcc_lo, v46, v19
	v_add_co_ci_u32_e64 v56, null, v47, v20, vcc_lo
	v_add_co_u32 v58, vcc_lo, v48, v19
	v_add_co_ci_u32_e64 v59, null, v49, v20, vcc_lo
	global_load_ushort v5, v[55:56], off
	global_load_ushort v13, v[58:59], off
	s_waitcnt vmcnt(1)
	v_lshlrev_b32_e32 v5, 16, v5
	s_waitcnt vmcnt(0)
	v_lshlrev_b32_e32 v13, 16, v13
	s_or_b32 exec_lo, exec_lo, s1
	s_and_saveexec_b32 s1, s0
	s_cbranch_execz .LBB205_34
.LBB205_45:                             ;   in Loop: Header=BB205_3 Depth=1
	v_add_co_u32 v55, vcc_lo, v42, v19
	v_add_co_ci_u32_e64 v56, null, v43, v20, vcc_lo
	v_add_co_u32 v58, vcc_lo, v44, v19
	v_add_co_ci_u32_e64 v59, null, v45, v20, vcc_lo
	global_load_ushort v6, v[55:56], off
	global_load_ushort v14, v[58:59], off
	s_waitcnt vmcnt(1)
	v_lshlrev_b32_e32 v6, 16, v6
	s_waitcnt vmcnt(0)
	v_lshlrev_b32_e32 v14, 16, v14
	s_or_b32 exec_lo, exec_lo, s1
	s_and_saveexec_b32 s1, s0
	s_cbranch_execz .LBB205_35
.LBB205_46:                             ;   in Loop: Header=BB205_3 Depth=1
	v_add_co_u32 v55, vcc_lo, v38, v19
	v_add_co_ci_u32_e64 v56, null, v39, v20, vcc_lo
	v_add_co_u32 v58, vcc_lo, v40, v19
	v_add_co_ci_u32_e64 v59, null, v41, v20, vcc_lo
	global_load_ushort v7, v[55:56], off
	global_load_ushort v15, v[58:59], off
	s_waitcnt vmcnt(1)
	v_lshlrev_b32_e32 v7, 16, v7
	s_waitcnt vmcnt(0)
	v_lshlrev_b32_e32 v15, 16, v15
	s_or_b32 exec_lo, exec_lo, s1
	s_and_saveexec_b32 s1, s0
	s_cbranch_execz .LBB205_36
.LBB205_47:                             ;   in Loop: Header=BB205_3 Depth=1
	v_add_co_u32 v55, vcc_lo, v34, v19
	v_add_co_ci_u32_e64 v56, null, v35, v20, vcc_lo
	v_add_co_u32 v58, vcc_lo, v36, v19
	v_add_co_ci_u32_e64 v59, null, v37, v20, vcc_lo
	global_load_ushort v8, v[55:56], off
	global_load_ushort v16, v[58:59], off
	s_waitcnt vmcnt(1)
	v_lshlrev_b32_e32 v8, 16, v8
	s_waitcnt vmcnt(0)
	v_lshlrev_b32_e32 v16, 16, v16
	s_or_b32 exec_lo, exec_lo, s1
	s_and_saveexec_b32 s1, s0
	s_cbranch_execz .LBB205_37
.LBB205_48:                             ;   in Loop: Header=BB205_3 Depth=1
	v_add_co_u32 v55, vcc_lo, v30, v19
	v_add_co_ci_u32_e64 v56, null, v31, v20, vcc_lo
	v_add_co_u32 v58, vcc_lo, v32, v19
	v_add_co_ci_u32_e64 v59, null, v33, v20, vcc_lo
	global_load_ushort v9, v[55:56], off
	global_load_ushort v17, v[58:59], off
	s_waitcnt vmcnt(1)
	v_lshlrev_b32_e32 v9, 16, v9
	s_waitcnt vmcnt(0)
	v_lshlrev_b32_e32 v17, 16, v17
	s_or_b32 exec_lo, exec_lo, s1
	s_and_saveexec_b32 s1, s0
	s_cbranch_execnz .LBB205_38
	s_branch .LBB205_39
.LBB205_49:
                                        ; implicit-def: $vgpr85
	s_branch .LBB205_51
.LBB205_50:
	s_cbranch_execnz .LBB205_83
.LBB205_51:
	v_mov_b32_e32 v85, 0
	s_andn2_b32 vcc_lo, exec_lo, s7
	s_cbranch_vccnz .LBB205_83
; %bb.52:
	s_load_dword s7, s[4:5], 0x44
	v_lshlrev_b32_e32 v49, 3, v1
	v_lshlrev_b32_e32 v6, 4, v1
	v_mov_b32_e32 v82, 0
	v_add_co_u32 v10, s0, v49, s16
	v_add_co_ci_u32_e64 v11, null, 0, 0, s0
	s_add_u32 s0, s4, 64
	v_mul_lo_u32 v4, s11, v10
	v_mad_u64_u32 v[2:3], null, s10, v10, 0
	v_mul_lo_u32 v5, s10, v11
	s_addc_u32 s1, s5, 0
	s_waitcnt lgkmcnt(0)
	s_lshl_b32 s7, s7, 7
	v_add3_u32 v3, v3, v5, v4
	s_mul_i32 s19, s11, s7
	s_mul_hi_u32 s20, s10, s7
	s_mul_i32 s18, s10, s7
	s_add_i32 s19, s20, s19
	v_lshlrev_b64 v[4:5], 1, v[2:3]
	s_lshl_b64 s[18:19], s[18:19], 1
	s_add_u32 s20, s16, 0x7f
	s_addc_u32 s21, 0, 0
	s_lshl_b64 s[22:23], s[16:17], 1
	v_add_co_u32 v6, s22, v6, s22
	v_add_co_ci_u32_e64 v7, null, 0, s23, s22
	v_add_co_u32 v8, vcc_lo, v6, 2
	v_add_co_ci_u32_e64 v9, null, 0, v7, vcc_lo
	v_add_co_u32 v50, vcc_lo, s12, v4
	v_add_co_ci_u32_e64 v51, null, s13, v5, vcc_lo
	;; [unrolled: 2-line block ×6, first 2 shown]
	v_add_co_u32 v41, vcc_lo, v6, 10
	v_mad_u64_u32 v[21:22], null, s10, v4, s[12:13]
	v_mul_lo_u32 v5, s10, v5
	v_mul_lo_u32 v15, s11, v4
	v_mad_u64_u32 v[35:36], null, s10, v4, s[14:15]
	v_add_co_ci_u32_e64 v29, null, 0, v7, vcc_lo
	v_add_co_u32 v43, vcc_lo, v6, 12
	v_add_co_ci_u32_e64 v31, null, 0, v7, vcc_lo
	v_add_co_u32 v6, vcc_lo, v6, 14
	v_mad_u64_u32 v[19:20], null, s10, v8, s[12:13]
	v_mul_lo_u32 v9, s10, v9
	v_mul_lo_u32 v12, s11, v8
	v_mad_u64_u32 v[33:34], null, s10, v8, s[14:15]
	v_add_co_ci_u32_e64 v7, null, 0, v7, vcc_lo
	v_add_co_u32 v4, vcc_lo, v10, 7
	v_add3_u32 v22, v15, v22, v5
	v_add3_u32 v36, v15, v36, v5
	v_add_co_ci_u32_e64 v5, null, 0, v11, vcc_lo
	v_mul_lo_u32 v57, s10, v7
	v_add_co_u32 v7, vcc_lo, v10, 6
	v_add3_u32 v20, v12, v20, v9
	v_add3_u32 v34, v12, v34, v9
	v_add_co_ci_u32_e64 v12, null, 0, v11, vcc_lo
	v_mul_lo_u32 v8, s11, v4
	v_mul_lo_u32 v9, s10, v5
	v_mad_u64_u32 v[4:5], null, s10, v4, 0
	v_mad_u64_u32 v[23:24], null, s10, v13, s[12:13]
	v_mul_lo_u32 v17, s11, v13
	v_mul_lo_u32 v55, s10, v31
	v_mad_u64_u32 v[31:32], null, s10, v6, s[12:13]
	v_mul_lo_u32 v58, s11, v6
	v_mad_u64_u32 v[37:38], null, s10, v13, s[14:15]
	v_mad_u64_u32 v[45:46], null, s10, v6, s[14:15]
	v_mul_lo_u32 v13, s11, v7
	v_mul_lo_u32 v12, s10, v12
	v_mad_u64_u32 v[6:7], null, s10, v7, 0
	v_add3_u32 v5, v5, v9, v8
	v_add_co_u32 v8, vcc_lo, v10, 5
	v_mad_u64_u32 v[27:28], null, s10, v41, s[12:13]
	v_mul_lo_u32 v48, s10, v29
	v_mul_lo_u32 v54, s11, v41
	v_mad_u64_u32 v[41:42], null, s10, v41, s[14:15]
	v_add3_u32 v7, v7, v12, v13
	v_add_co_ci_u32_e64 v9, null, 0, v11, vcc_lo
	v_mad_u64_u32 v[29:30], null, s10, v43, s[12:13]
	v_mul_lo_u32 v56, s11, v43
	v_mad_u64_u32 v[43:44], null, s10, v43, s[14:15]
	v_lshlrev_b64 v[4:5], 1, v[4:5]
	v_lshlrev_b64 v[6:7], 1, v[6:7]
	v_mul_lo_u32 v12, s11, v8
	v_mul_lo_u32 v13, s10, v9
	v_mad_u64_u32 v[8:9], null, s10, v8, 0
	v_add3_u32 v28, v54, v28, v48
	v_add3_u32 v42, v54, v42, v48
	v_add_co_u32 v54, vcc_lo, s12, v4
	v_add3_u32 v30, v56, v30, v55
	v_add3_u32 v44, v56, v44, v55
	v_add_co_ci_u32_e64 v55, null, s13, v5, vcc_lo
	v_add_co_u32 v56, vcc_lo, s14, v4
	v_add3_u32 v32, v58, v32, v57
	v_add3_u32 v46, v58, v46, v57
	v_add_co_ci_u32_e64 v57, null, s15, v5, vcc_lo
	v_add_co_u32 v58, vcc_lo, s12, v6
	v_add_co_ci_u32_e64 v59, null, s13, v7, vcc_lo
	v_add3_u32 v9, v9, v13, v12
	v_add_co_u32 v12, vcc_lo, v10, 4
	v_add_co_ci_u32_e64 v13, null, 0, v11, vcc_lo
	v_add_co_u32 v60, vcc_lo, s14, v6
	v_add_co_ci_u32_e64 v61, null, s15, v7, vcc_lo
	v_lshlrev_b64 v[4:5], 1, v[8:9]
	v_mul_lo_u32 v8, s11, v12
	v_mul_lo_u32 v9, s10, v13
	v_mad_u64_u32 v[6:7], null, s10, v12, 0
	v_mul_lo_u32 v14, s10, v14
	v_add_co_u32 v12, vcc_lo, v10, 3
	v_add_co_ci_u32_e64 v13, null, 0, v11, vcc_lo
	v_add_co_u32 v62, vcc_lo, s12, v4
	v_add_co_ci_u32_e64 v63, null, s13, v5, vcc_lo
	v_add3_u32 v7, v7, v9, v8
	v_add_co_u32 v10, vcc_lo, v10, 2
	v_add3_u32 v24, v17, v24, v14
	v_add3_u32 v38, v17, v38, v14
	v_mul_lo_u32 v14, s11, v12
	v_mul_lo_u32 v13, s10, v13
	v_mad_u64_u32 v[8:9], null, s10, v12, 0
	v_add_co_ci_u32_e64 v11, null, 0, v11, vcc_lo
	v_add_co_u32 v64, vcc_lo, s14, v4
	v_add_co_ci_u32_e64 v65, null, s15, v5, vcc_lo
	v_lshlrev_b64 v[4:5], 1, v[6:7]
	v_mul_lo_u32 v12, s11, v10
	v_mul_lo_u32 v11, s10, v11
	v_mad_u64_u32 v[6:7], null, s10, v10, 0
	v_add3_u32 v9, v9, v13, v14
	v_add_co_u32 v66, vcc_lo, s12, v4
	v_add_co_ci_u32_e64 v67, null, s13, v5, vcc_lo
	v_add_co_u32 v68, vcc_lo, s14, v4
	v_add_co_ci_u32_e64 v69, null, s15, v5, vcc_lo
	v_lshlrev_b64 v[4:5], 1, v[8:9]
	v_add3_u32 v7, v7, v11, v12
	v_add_co_u32 v2, vcc_lo, v2, s10
	v_add_co_ci_u32_e64 v3, null, s11, v3, vcc_lo
	v_lshlrev_b64 v[6:7], 1, v[6:7]
	v_add_co_u32 v70, vcc_lo, s12, v4
	v_add_co_ci_u32_e64 v71, null, s13, v5, vcc_lo
	v_add_co_u32 v72, vcc_lo, s14, v4
	v_lshlrev_b64 v[3:4], 1, v[2:3]
	v_mov_b32_e32 v2, 0
	v_mad_u64_u32 v[25:26], null, s10, v16, s[12:13]
	v_mul_lo_u32 v18, s10, v18
	v_mul_lo_u32 v47, s11, v16
	v_mad_u64_u32 v[39:40], null, s10, v16, s[14:15]
	v_add_co_ci_u32_e64 v73, null, s15, v5, vcc_lo
	v_add_co_u32 v74, vcc_lo, s12, v6
	v_add_co_ci_u32_e64 v75, null, s13, v7, vcc_lo
	v_add_co_u32 v76, vcc_lo, s14, v6
	v_add_nc_u32_e32 v5, s26, v0
	v_mov_b32_e32 v6, v2
	v_add_co_ci_u32_e64 v77, null, s15, v7, vcc_lo
	v_add_co_u32 v78, vcc_lo, s12, v3
	v_add_co_ci_u32_e64 v79, null, s13, v4, vcc_lo
	v_add_co_u32 v80, vcc_lo, s14, v3
	v_add3_u32 v26, v47, v26, v18
	v_add3_u32 v40, v47, v40, v18
	v_lshlrev_b64 v[47:48], 1, v[5:6]
	v_add_co_ci_u32_e64 v81, null, s15, v4, vcc_lo
.LBB205_53:                             ; =>This Inner Loop Header: Depth=1
	v_cmp_ge_i64_e64 s12, s[20:21], s[8:9]
	v_add_co_u32 v83, s13, v49, s20
	v_add_co_ci_u32_e64 v84, null, 0, s21, s13
                                        ; implicit-def: $vgpr85
	s_and_b32 vcc_lo, exec_lo, s12
	s_mov_b32 s12, -1
	s_cbranch_vccz .LBB205_75
; %bb.54:                               ;   in Loop: Header=BB205_53 Depth=1
	s_load_dword s12, s[0:1], 0xc
	v_mov_b32_e32 v86, 0
	s_waitcnt lgkmcnt(0)
	s_and_b32 s12, s12, 0xffff
	v_mad_u32_u24 v3, v1, s12, v0
	s_mov_b32 s12, exec_lo
	v_and_b32_e32 v3, 31, v3
	v_cmpx_gt_u32_e32 8, v3
	s_cbranch_execz .LBB205_58
; %bb.55:                               ;   in Loop: Header=BB205_53 Depth=1
	v_add_co_u32 v3, vcc_lo, v83, v3
	v_add_co_ci_u32_e64 v4, null, 0, v84, vcc_lo
	v_mov_b32_e32 v86, 0
	v_add_co_u32 v3, vcc_lo, 0xffffff81, v3
	v_add_co_ci_u32_e64 v4, null, -1, v4, vcc_lo
	s_mov_b32 s13, exec_lo
	v_cmpx_gt_i64_e64 s[8:9], v[3:4]
	s_cbranch_execz .LBB205_57
; %bb.56:                               ;   in Loop: Header=BB205_53 Depth=1
	v_lshlrev_b64 v[3:4], 2, v[3:4]
	v_add_co_u32 v3, vcc_lo, s2, v3
	v_add_co_ci_u32_e64 v4, null, s3, v4, vcc_lo
	global_load_dword v86, v[3:4], off
.LBB205_57:                             ;   in Loop: Header=BB205_53 Depth=1
	s_or_b32 exec_lo, exec_lo, s13
.LBB205_58:                             ;   in Loop: Header=BB205_53 Depth=1
	s_or_b32 exec_lo, exec_lo, s12
	v_add_co_u32 v10, vcc_lo, 0xffffff81, v83
	v_add_co_ci_u32_e64 v11, null, -1, v84, vcc_lo
	v_mov_b32_e32 v9, v2
	v_mov_b32_e32 v3, v2
	;; [unrolled: 1-line block ×7, first 2 shown]
	v_cmp_gt_i64_e32 vcc_lo, s[8:9], v[10:11]
	v_mov_b32_e32 v18, v9
	v_mov_b32_e32 v15, v6
	;; [unrolled: 1-line block ×16, first 2 shown]
	s_and_saveexec_b32 s12, vcc_lo
	s_cbranch_execz .LBB205_60
; %bb.59:                               ;   in Loop: Header=BB205_53 Depth=1
	v_add_co_u32 v3, vcc_lo, v50, v47
	v_add_co_ci_u32_e64 v4, null, v51, v48, vcc_lo
	v_add_co_u32 v5, vcc_lo, v52, v47
	v_add_co_ci_u32_e64 v6, null, v53, v48, vcc_lo
	global_load_ushort v3, v[3:4], off
	global_load_ushort v11, v[5:6], off
	v_mov_b32_e32 v4, v2
	v_mov_b32_e32 v5, v2
	;; [unrolled: 1-line block ×14, first 2 shown]
	s_waitcnt vmcnt(1)
	v_lshlrev_b32_e32 v3, 16, v3
	s_waitcnt vmcnt(0)
	v_lshlrev_b32_e32 v11, 16, v11
.LBB205_60:                             ;   in Loop: Header=BB205_53 Depth=1
	s_or_b32 exec_lo, exec_lo, s12
	v_add_co_u32 v87, vcc_lo, 0xffffff82, v83
	v_add_co_ci_u32_e64 v88, null, -1, v84, vcc_lo
	s_mov_b32 s12, exec_lo
	v_cmpx_gt_i64_e64 s[8:9], v[87:88]
	s_cbranch_execz .LBB205_62
; %bb.61:                               ;   in Loop: Header=BB205_53 Depth=1
	v_add_co_u32 v87, vcc_lo, v78, v47
	v_add_co_ci_u32_e64 v88, null, v79, v48, vcc_lo
	v_add_co_u32 v89, vcc_lo, v80, v47
	v_add_co_ci_u32_e64 v90, null, v81, v48, vcc_lo
	global_load_ushort v4, v[87:88], off
	global_load_ushort v12, v[89:90], off
	s_waitcnt vmcnt(1)
	v_lshlrev_b32_e32 v4, 16, v4
	s_waitcnt vmcnt(0)
	v_lshlrev_b32_e32 v12, 16, v12
.LBB205_62:                             ;   in Loop: Header=BB205_53 Depth=1
	s_or_b32 exec_lo, exec_lo, s12
	v_add_co_u32 v87, vcc_lo, 0xffffff83, v83
	v_add_co_ci_u32_e64 v88, null, -1, v84, vcc_lo
	s_mov_b32 s12, exec_lo
	v_cmpx_gt_i64_e64 s[8:9], v[87:88]
	s_cbranch_execz .LBB205_64
; %bb.63:                               ;   in Loop: Header=BB205_53 Depth=1
	v_add_co_u32 v87, vcc_lo, v74, v47
	v_add_co_ci_u32_e64 v88, null, v75, v48, vcc_lo
	v_add_co_u32 v89, vcc_lo, v76, v47
	v_add_co_ci_u32_e64 v90, null, v77, v48, vcc_lo
	global_load_ushort v5, v[87:88], off
	global_load_ushort v13, v[89:90], off
	s_waitcnt vmcnt(1)
	v_lshlrev_b32_e32 v5, 16, v5
	s_waitcnt vmcnt(0)
	v_lshlrev_b32_e32 v13, 16, v13
.LBB205_64:                             ;   in Loop: Header=BB205_53 Depth=1
	;; [unrolled: 18-line block ×7, first 2 shown]
	s_or_b32 exec_lo, exec_lo, s12
	s_waitcnt vmcnt(0)
	ds_bpermute_b32 v85, v2, v86
	ds_bpermute_b32 v87, v2, v86 offset:4
	ds_bpermute_b32 v88, v2, v86 offset:8
	v_mul_f32_e32 v3, v11, v3
	ds_bpermute_b32 v11, v2, v86 offset:12
	v_mul_f32_e32 v4, v12, v4
	ds_bpermute_b32 v12, v2, v86 offset:16
	s_mov_b32 s12, 0
	s_waitcnt lgkmcnt(4)
	v_fma_f32 v85, v3, v85, v82
	v_mul_f32_e32 v3, v13, v5
	ds_bpermute_b32 v5, v2, v86 offset:20
	s_waitcnt lgkmcnt(4)
	v_fmac_f32_e32 v85, v4, v87
	v_mul_f32_e32 v4, v14, v6
	ds_bpermute_b32 v6, v2, v86 offset:24
	s_waitcnt lgkmcnt(4)
	v_fmac_f32_e32 v85, v3, v88
	v_mul_f32_e32 v3, v15, v7
	v_mul_f32_e32 v7, v16, v8
	s_waitcnt lgkmcnt(3)
	v_fmac_f32_e32 v85, v4, v11
	ds_bpermute_b32 v4, v2, v86 offset:28
	s_waitcnt lgkmcnt(3)
	v_fmac_f32_e32 v85, v3, v12
	v_mul_f32_e32 v3, v17, v9
	s_waitcnt lgkmcnt(2)
	v_fmac_f32_e32 v85, v7, v5
	s_waitcnt lgkmcnt(1)
	v_fmac_f32_e32 v85, v3, v6
	v_mul_f32_e32 v3, v18, v10
	s_waitcnt lgkmcnt(0)
	v_fmac_f32_e32 v85, v3, v4
.LBB205_75:                             ;   in Loop: Header=BB205_53 Depth=1
	s_and_b32 vcc_lo, exec_lo, s12
	s_cbranch_vccz .LBB205_81
; %bb.76:                               ;   in Loop: Header=BB205_53 Depth=1
	s_load_dword s12, s[0:1], 0x0
	v_mov_b32_e32 v5, 0
	s_waitcnt lgkmcnt(0)
	s_cmp_lt_u32 s6, s12
	s_cselect_b32 s12, 12, 18
	s_add_u32 s12, s0, s12
	s_addc_u32 s13, s1, 0
	global_load_ushort v3, v2, s[12:13]
	s_mov_b32 s12, exec_lo
	s_waitcnt vmcnt(0)
	v_mad_u32_u24 v3, v1, v3, v0
	v_and_b32_e32 v3, 31, v3
	v_cmpx_gt_u32_e32 8, v3
	s_cbranch_execz .LBB205_80
; %bb.77:                               ;   in Loop: Header=BB205_53 Depth=1
	v_add_co_u32 v3, vcc_lo, v83, v3
	v_add_co_ci_u32_e64 v4, null, 0, v84, vcc_lo
	v_mov_b32_e32 v5, 0
	v_add_co_u32 v3, vcc_lo, 0xffffff81, v3
	v_add_co_ci_u32_e64 v4, null, -1, v4, vcc_lo
	s_mov_b32 s13, exec_lo
	v_cmpx_gt_i64_e64 s[8:9], v[3:4]
	s_cbranch_execz .LBB205_79
; %bb.78:                               ;   in Loop: Header=BB205_53 Depth=1
	v_lshlrev_b64 v[3:4], 2, v[3:4]
	v_add_co_u32 v3, vcc_lo, s2, v3
	v_add_co_ci_u32_e64 v4, null, s3, v4, vcc_lo
	global_load_dword v5, v[3:4], off
.LBB205_79:                             ;   in Loop: Header=BB205_53 Depth=1
	s_or_b32 exec_lo, exec_lo, s13
.LBB205_80:                             ;   in Loop: Header=BB205_53 Depth=1
	s_or_b32 exec_lo, exec_lo, s12
	v_add_co_u32 v3, vcc_lo, v50, v47
	v_add_co_ci_u32_e64 v4, null, v51, v48, vcc_lo
	v_add_co_u32 v6, vcc_lo, v52, v47
	v_add_co_ci_u32_e64 v7, null, v53, v48, vcc_lo
	;; [unrolled: 2-line block ×4, first 2 shown]
	global_load_ushort v14, v[3:4], off
	global_load_ushort v15, v[6:7], off
	;; [unrolled: 1-line block ×4, first 2 shown]
	v_add_co_u32 v3, vcc_lo, v21, v47
	v_add_co_ci_u32_e64 v4, null, v22, v48, vcc_lo
	v_add_co_u32 v6, vcc_lo, v35, v47
	v_add_co_ci_u32_e64 v7, null, v36, v48, vcc_lo
	global_load_ushort v18, v[3:4], off
	v_add_co_u32 v3, vcc_lo, v23, v47
	v_add_co_ci_u32_e64 v4, null, v24, v48, vcc_lo
	v_add_co_u32 v8, vcc_lo, v37, v47
	v_add_co_ci_u32_e64 v9, null, v38, v48, vcc_lo
	;; [unrolled: 2-line block ×4, first 2 shown]
	global_load_ushort v83, v[6:7], off
	global_load_ushort v84, v[3:4], off
	;; [unrolled: 1-line block ×5, first 2 shown]
	v_add_co_u32 v3, vcc_lo, v27, v47
	v_add_co_ci_u32_e64 v4, null, v28, v48, vcc_lo
	v_add_co_u32 v6, vcc_lo, v41, v47
	v_add_co_ci_u32_e64 v7, null, v42, v48, vcc_lo
	;; [unrolled: 2-line block ×4, first 2 shown]
	global_load_ushort v13, v[3:4], off
	global_load_ushort v87, v[6:7], off
	;; [unrolled: 1-line block ×4, first 2 shown]
	v_add_co_u32 v3, vcc_lo, v45, v47
	v_add_co_ci_u32_e64 v4, null, v46, v48, vcc_lo
	v_add_co_u32 v6, vcc_lo, v31, v47
	v_add_co_ci_u32_e64 v7, null, v32, v48, vcc_lo
	global_load_ushort v3, v[3:4], off
	global_load_ushort v4, v[6:7], off
	s_waitcnt vmcnt(16)
	ds_bpermute_b32 v6, v2, v5
	ds_bpermute_b32 v7, v2, v5 offset:4
	ds_bpermute_b32 v10, v2, v5 offset:8
	s_waitcnt vmcnt(15)
	v_lshlrev_b32_e32 v14, 16, v14
	s_waitcnt vmcnt(14)
	v_lshlrev_b32_e32 v11, 16, v15
	ds_bpermute_b32 v15, v2, v5 offset:12
	s_waitcnt vmcnt(12)
	v_lshlrev_b32_e32 v17, 16, v17
	v_lshlrev_b32_e32 v16, 16, v16
	v_mul_f32_e32 v11, v14, v11
	ds_bpermute_b32 v14, v2, v5 offset:16
	v_mul_f32_e32 v16, v16, v17
	s_waitcnt lgkmcnt(4)
	v_fmac_f32_e32 v82, v11, v6
	s_waitcnt vmcnt(11)
	v_lshlrev_b32_e32 v18, 16, v18
	ds_bpermute_b32 v6, v2, v5 offset:20
	s_waitcnt lgkmcnt(4)
	v_fmac_f32_e32 v82, v16, v7
	ds_bpermute_b32 v7, v2, v5 offset:24
	ds_bpermute_b32 v5, v2, v5 offset:28
	s_waitcnt vmcnt(10)
	v_lshlrev_b32_e32 v83, 16, v83
	s_waitcnt vmcnt(9)
	v_lshlrev_b32_e32 v17, 16, v84
	;; [unrolled: 2-line block ×5, first 2 shown]
	v_mul_f32_e32 v18, v18, v83
	v_mul_f32_e32 v11, v17, v11
	;; [unrolled: 1-line block ×3, first 2 shown]
	s_waitcnt lgkmcnt(5)
	v_fmac_f32_e32 v82, v18, v10
	s_waitcnt lgkmcnt(4)
	v_fmac_f32_e32 v82, v11, v15
	s_waitcnt vmcnt(5)
	v_lshlrev_b32_e32 v13, 16, v13
	s_waitcnt vmcnt(4)
	v_lshlrev_b32_e32 v10, 16, v87
	;; [unrolled: 2-line block ×4, first 2 shown]
	s_waitcnt lgkmcnt(3)
	v_fmac_f32_e32 v82, v12, v14
	v_mul_f32_e32 v10, v13, v10
	v_mul_f32_e32 v8, v8, v9
	s_waitcnt lgkmcnt(2)
	v_fmac_f32_e32 v82, v10, v6
	s_waitcnt vmcnt(1)
	v_lshlrev_b32_e32 v3, 16, v3
	s_waitcnt vmcnt(0)
	v_lshlrev_b32_e32 v4, 16, v4
	s_waitcnt lgkmcnt(1)
	v_fmac_f32_e32 v82, v8, v7
	v_mul_f32_e32 v3, v4, v3
	s_waitcnt lgkmcnt(0)
	v_fmac_f32_e32 v82, v3, v5
	v_mov_b32_e32 v85, v82
.LBB205_81:                             ;   in Loop: Header=BB205_53 Depth=1
	v_add_co_u32 v50, vcc_lo, v50, s18
	v_add_co_ci_u32_e64 v51, null, s19, v51, vcc_lo
	v_add_co_u32 v52, vcc_lo, v52, s18
	v_add_co_ci_u32_e64 v53, null, s19, v53, vcc_lo
	;; [unrolled: 2-line block ×26, first 2 shown]
	v_add_co_u32 v74, vcc_lo, v74, s18
	s_add_u32 s16, s16, s7
	v_add_co_ci_u32_e64 v75, null, s19, v75, vcc_lo
	v_add_co_u32 v76, vcc_lo, v76, s18
	s_addc_u32 s17, s17, 0
	v_add_co_ci_u32_e64 v77, null, s19, v77, vcc_lo
	v_add_co_u32 v78, vcc_lo, v78, s18
	v_cmp_ge_i64_e64 s12, s[16:17], s[8:9]
	v_add_co_ci_u32_e64 v79, null, s19, v79, vcc_lo
	v_add_co_u32 v80, vcc_lo, v80, s18
	v_add_co_ci_u32_e64 v81, null, s19, v81, vcc_lo
	s_add_u32 s20, s20, s7
	s_addc_u32 s21, s21, 0
	s_and_b32 vcc_lo, exec_lo, s12
	s_cbranch_vccnz .LBB205_83
; %bb.82:                               ;   in Loop: Header=BB205_53 Depth=1
	v_mov_b32_e32 v82, v85
	s_branch .LBB205_53
.LBB205_83:
	v_mad_u32_u24 v2, v1, 33, v0
	v_lshrrev_b32_e32 v3, 5, v0
	s_mov_b32 s0, exec_lo
	v_lshl_add_u32 v2, v2, 2, 0
	v_add_nc_u32_e32 v3, v3, v1
	v_mov_b32_e32 v1, 0
	ds_write_b32 v2, v85
	ds_write_b32 v2, v1 offset:2112
	s_waitcnt lgkmcnt(0)
	s_barrier
	buffer_gl0_inv
	v_cmpx_gt_u32_e32 32, v3
	s_cbranch_execz .LBB205_93
; %bb.84:
	s_load_dwordx2 s[2:3], s[4:5], 0x30
	v_and_b32_e32 v1, 31, v0
	v_cmp_gt_u32_e64 s0, 16, v1
	v_mul_u32_u24_e32 v4, 33, v1
                                        ; implicit-def: $vgpr1
	s_and_saveexec_b32 s1, s0
	s_cbranch_execz .LBB205_86
; %bb.85:
	v_lshlrev_b32_e32 v1, 2, v3
	v_lshlrev_b32_e32 v2, 2, v4
	v_add3_u32 v1, 0, v1, v2
	ds_read_b32 v1, v1
.LBB205_86:
	s_or_b32 exec_lo, exec_lo, s1
	v_mbcnt_lo_u32_b32 v2, -1, 0
	s_mov_b32 s7, 0
	v_cmp_ne_u32_e64 s1, 0, v0
	s_lshl_b64 s[4:5], s[6:7], 5
	s_waitcnt lgkmcnt(0)
	s_cmp_eq_u64 s[2:3], 0
	v_xor_b32_e32 v5, 8, v2
	v_xor_b32_e32 v6, 4, v2
	;; [unrolled: 1-line block ×3, first 2 shown]
	s_cselect_b32 s6, -1, 0
	v_cmp_gt_i32_e32 vcc_lo, 32, v5
	v_cndmask_b32_e32 v5, v2, v5, vcc_lo
	v_cmp_gt_i32_e32 vcc_lo, 32, v6
	v_lshlrev_b32_e32 v5, 2, v5
	v_cndmask_b32_e32 v6, v2, v6, vcc_lo
	ds_bpermute_b32 v7, v5, v1
	v_lshlrev_b32_e32 v6, 2, v6
	s_waitcnt lgkmcnt(0)
	v_add_f32_e32 v1, v1, v7
	v_xor_b32_e32 v7, 2, v2
	ds_bpermute_b32 v8, v6, v1
	v_cmp_gt_i32_e32 vcc_lo, 32, v7
	v_cndmask_b32_e32 v7, v2, v7, vcc_lo
	v_cmp_gt_i32_e32 vcc_lo, 32, v9
	v_lshlrev_b32_e32 v7, 2, v7
	v_cndmask_b32_e32 v2, v2, v9, vcc_lo
	s_waitcnt lgkmcnt(0)
	v_add_f32_e32 v1, v1, v8
	ds_bpermute_b32 v8, v7, v1
	s_waitcnt lgkmcnt(0)
	v_add_f32_e32 v9, v1, v8
	v_lshlrev_b32_e32 v8, 2, v2
	v_or_b32_e32 v1, s4, v3
	v_mov_b32_e32 v2, s5
	ds_bpermute_b32 v10, v8, v9
	v_cmp_le_i64_e32 vcc_lo, s[10:11], v[1:2]
	s_or_b32 s7, s1, vcc_lo
	s_nor_b32 s8, s6, s7
	s_waitcnt lgkmcnt(0)
	v_add_f32_e32 v0, v9, v10
	s_and_saveexec_b32 s7, s8
	s_cbranch_execz .LBB205_88
; %bb.87:
	v_bfe_u32 v9, v0, 16, 1
	v_lshlrev_b64 v[1:2], 1, v[1:2]
	v_cmp_o_f32_e32 vcc_lo, v0, v0
	v_mov_b32_e32 v10, 0x7fc0
	v_add3_u32 v9, v0, v9, 0x7fff
	v_cndmask_b32_sdwa v9, v10, v9, vcc_lo dst_sel:DWORD dst_unused:UNUSED_PAD src0_sel:DWORD src1_sel:WORD_1
	v_add_co_u32 v1, vcc_lo, s2, v1
	v_add_co_ci_u32_e64 v2, null, s3, v2, vcc_lo
	global_store_short v[1:2], v9, off
.LBB205_88:
	s_or_b32 exec_lo, exec_lo, s7
	v_cmp_gt_u32_e32 vcc_lo, 16, v3
	s_and_b32 exec_lo, exec_lo, vcc_lo
	s_cbranch_execz .LBB205_93
; %bb.89:
	s_and_saveexec_b32 s7, s0
	s_cbranch_execz .LBB205_91
; %bb.90:
	v_lshlrev_b32_e32 v0, 2, v3
	v_lshlrev_b32_e32 v1, 2, v4
	v_add3_u32 v0, 0, v0, v1
	ds_read_b32 v0, v0 offset:64
.LBB205_91:
	s_or_b32 exec_lo, exec_lo, s7
	s_waitcnt lgkmcnt(0)
	ds_bpermute_b32 v1, v5, v0
	v_add_nc_u32_e32 v2, 16, v3
	v_mov_b32_e32 v5, s5
	v_or_b32_e32 v4, s4, v2
	v_cmp_le_i64_e32 vcc_lo, s[10:11], v[4:5]
	s_or_b32 s0, s1, vcc_lo
	s_nor_b32 s0, s6, s0
	s_waitcnt lgkmcnt(0)
	v_add_f32_e32 v0, v0, v1
	ds_bpermute_b32 v1, v6, v0
	s_waitcnt lgkmcnt(0)
	v_add_f32_e32 v0, v0, v1
	ds_bpermute_b32 v1, v7, v0
	;; [unrolled: 3-line block ×3, first 2 shown]
	s_and_saveexec_b32 s1, s0
	s_xor_b32 s1, exec_lo, s1
	s_cbranch_execz .LBB205_93
; %bb.92:
	s_waitcnt lgkmcnt(0)
	v_add_f32_e32 v2, v0, v1
	v_add_co_u32 v0, s0, s4, v3
	v_add_co_ci_u32_e64 v1, null, s5, 0, s0
	v_bfe_u32 v4, v2, 16, 1
	v_cmp_o_f32_e32 vcc_lo, v2, v2
	v_mov_b32_e32 v3, 0x7fc0
	v_lshlrev_b64 v[0:1], 1, v[0:1]
	v_add3_u32 v2, v2, v4, 0x7fff
	v_cndmask_b32_sdwa v2, v3, v2, vcc_lo dst_sel:DWORD dst_unused:UNUSED_PAD src0_sel:DWORD src1_sel:WORD_1
	v_add_co_u32 v0, vcc_lo, s2, v0
	v_add_co_ci_u32_e64 v1, null, s3, v1, vcc_lo
	global_store_short v[0:1], v2, off offset:32
.LBB205_93:
	s_endpgm
	.section	.rodata,"a",@progbits
	.p2align	6, 0x0
	.amdhsa_kernel _ZN2at6native12_GLOBAL__N_135GammaBetaBackwardCUDAKernelTemplateIN3c108BFloat16EfLj32ELj16ELj128ELb0ELb0ELb1EEEvllPKT_S7_PKT0_SA_PS5_SB_
		.amdhsa_group_segment_fixed_size 0
		.amdhsa_private_segment_fixed_size 0
		.amdhsa_kernarg_size 320
		.amdhsa_user_sgpr_count 6
		.amdhsa_user_sgpr_private_segment_buffer 1
		.amdhsa_user_sgpr_dispatch_ptr 0
		.amdhsa_user_sgpr_queue_ptr 0
		.amdhsa_user_sgpr_kernarg_segment_ptr 1
		.amdhsa_user_sgpr_dispatch_id 0
		.amdhsa_user_sgpr_flat_scratch_init 0
		.amdhsa_user_sgpr_private_segment_size 0
		.amdhsa_wavefront_size32 1
		.amdhsa_uses_dynamic_stack 0
		.amdhsa_system_sgpr_private_segment_wavefront_offset 0
		.amdhsa_system_sgpr_workgroup_id_x 1
		.amdhsa_system_sgpr_workgroup_id_y 1
		.amdhsa_system_sgpr_workgroup_id_z 0
		.amdhsa_system_sgpr_workgroup_info 0
		.amdhsa_system_vgpr_workitem_id 1
		.amdhsa_next_free_vgpr 91
		.amdhsa_next_free_sgpr 30
		.amdhsa_reserve_vcc 1
		.amdhsa_reserve_flat_scratch 0
		.amdhsa_float_round_mode_32 0
		.amdhsa_float_round_mode_16_64 0
		.amdhsa_float_denorm_mode_32 3
		.amdhsa_float_denorm_mode_16_64 3
		.amdhsa_dx10_clamp 1
		.amdhsa_ieee_mode 1
		.amdhsa_fp16_overflow 0
		.amdhsa_workgroup_processor_mode 1
		.amdhsa_memory_ordered 1
		.amdhsa_forward_progress 1
		.amdhsa_shared_vgpr_count 0
		.amdhsa_exception_fp_ieee_invalid_op 0
		.amdhsa_exception_fp_denorm_src 0
		.amdhsa_exception_fp_ieee_div_zero 0
		.amdhsa_exception_fp_ieee_overflow 0
		.amdhsa_exception_fp_ieee_underflow 0
		.amdhsa_exception_fp_ieee_inexact 0
		.amdhsa_exception_int_div_zero 0
	.end_amdhsa_kernel
	.section	.text._ZN2at6native12_GLOBAL__N_135GammaBetaBackwardCUDAKernelTemplateIN3c108BFloat16EfLj32ELj16ELj128ELb0ELb0ELb1EEEvllPKT_S7_PKT0_SA_PS5_SB_,"axG",@progbits,_ZN2at6native12_GLOBAL__N_135GammaBetaBackwardCUDAKernelTemplateIN3c108BFloat16EfLj32ELj16ELj128ELb0ELb0ELb1EEEvllPKT_S7_PKT0_SA_PS5_SB_,comdat
.Lfunc_end205:
	.size	_ZN2at6native12_GLOBAL__N_135GammaBetaBackwardCUDAKernelTemplateIN3c108BFloat16EfLj32ELj16ELj128ELb0ELb0ELb1EEEvllPKT_S7_PKT0_SA_PS5_SB_, .Lfunc_end205-_ZN2at6native12_GLOBAL__N_135GammaBetaBackwardCUDAKernelTemplateIN3c108BFloat16EfLj32ELj16ELj128ELb0ELb0ELb1EEEvllPKT_S7_PKT0_SA_PS5_SB_
                                        ; -- End function
	.set _ZN2at6native12_GLOBAL__N_135GammaBetaBackwardCUDAKernelTemplateIN3c108BFloat16EfLj32ELj16ELj128ELb0ELb0ELb1EEEvllPKT_S7_PKT0_SA_PS5_SB_.num_vgpr, 91
	.set _ZN2at6native12_GLOBAL__N_135GammaBetaBackwardCUDAKernelTemplateIN3c108BFloat16EfLj32ELj16ELj128ELb0ELb0ELb1EEEvllPKT_S7_PKT0_SA_PS5_SB_.num_agpr, 0
	.set _ZN2at6native12_GLOBAL__N_135GammaBetaBackwardCUDAKernelTemplateIN3c108BFloat16EfLj32ELj16ELj128ELb0ELb0ELb1EEEvllPKT_S7_PKT0_SA_PS5_SB_.numbered_sgpr, 30
	.set _ZN2at6native12_GLOBAL__N_135GammaBetaBackwardCUDAKernelTemplateIN3c108BFloat16EfLj32ELj16ELj128ELb0ELb0ELb1EEEvllPKT_S7_PKT0_SA_PS5_SB_.num_named_barrier, 0
	.set _ZN2at6native12_GLOBAL__N_135GammaBetaBackwardCUDAKernelTemplateIN3c108BFloat16EfLj32ELj16ELj128ELb0ELb0ELb1EEEvllPKT_S7_PKT0_SA_PS5_SB_.private_seg_size, 0
	.set _ZN2at6native12_GLOBAL__N_135GammaBetaBackwardCUDAKernelTemplateIN3c108BFloat16EfLj32ELj16ELj128ELb0ELb0ELb1EEEvllPKT_S7_PKT0_SA_PS5_SB_.uses_vcc, 1
	.set _ZN2at6native12_GLOBAL__N_135GammaBetaBackwardCUDAKernelTemplateIN3c108BFloat16EfLj32ELj16ELj128ELb0ELb0ELb1EEEvllPKT_S7_PKT0_SA_PS5_SB_.uses_flat_scratch, 0
	.set _ZN2at6native12_GLOBAL__N_135GammaBetaBackwardCUDAKernelTemplateIN3c108BFloat16EfLj32ELj16ELj128ELb0ELb0ELb1EEEvllPKT_S7_PKT0_SA_PS5_SB_.has_dyn_sized_stack, 0
	.set _ZN2at6native12_GLOBAL__N_135GammaBetaBackwardCUDAKernelTemplateIN3c108BFloat16EfLj32ELj16ELj128ELb0ELb0ELb1EEEvllPKT_S7_PKT0_SA_PS5_SB_.has_recursion, 0
	.set _ZN2at6native12_GLOBAL__N_135GammaBetaBackwardCUDAKernelTemplateIN3c108BFloat16EfLj32ELj16ELj128ELb0ELb0ELb1EEEvllPKT_S7_PKT0_SA_PS5_SB_.has_indirect_call, 0
	.section	.AMDGPU.csdata,"",@progbits
; Kernel info:
; codeLenInByte = 8248
; TotalNumSgprs: 32
; NumVgprs: 91
; ScratchSize: 0
; MemoryBound: 0
; FloatMode: 240
; IeeeMode: 1
; LDSByteSize: 0 bytes/workgroup (compile time only)
; SGPRBlocks: 0
; VGPRBlocks: 11
; NumSGPRsForWavesPerEU: 32
; NumVGPRsForWavesPerEU: 91
; Occupancy: 10
; WaveLimiterHint : 0
; COMPUTE_PGM_RSRC2:SCRATCH_EN: 0
; COMPUTE_PGM_RSRC2:USER_SGPR: 6
; COMPUTE_PGM_RSRC2:TRAP_HANDLER: 0
; COMPUTE_PGM_RSRC2:TGID_X_EN: 1
; COMPUTE_PGM_RSRC2:TGID_Y_EN: 1
; COMPUTE_PGM_RSRC2:TGID_Z_EN: 0
; COMPUTE_PGM_RSRC2:TIDIG_COMP_CNT: 1
	.section	.text._ZN2at6native12_GLOBAL__N_135GammaBetaBackwardCUDAKernelTemplateIN3c108BFloat16EfLj32ELj32ELj256ELb0ELb1ELb1EEEvllPKT_S7_PKT0_SA_PS5_SB_,"axG",@progbits,_ZN2at6native12_GLOBAL__N_135GammaBetaBackwardCUDAKernelTemplateIN3c108BFloat16EfLj32ELj32ELj256ELb0ELb1ELb1EEEvllPKT_S7_PKT0_SA_PS5_SB_,comdat
	.globl	_ZN2at6native12_GLOBAL__N_135GammaBetaBackwardCUDAKernelTemplateIN3c108BFloat16EfLj32ELj32ELj256ELb0ELb1ELb1EEEvllPKT_S7_PKT0_SA_PS5_SB_ ; -- Begin function _ZN2at6native12_GLOBAL__N_135GammaBetaBackwardCUDAKernelTemplateIN3c108BFloat16EfLj32ELj32ELj256ELb0ELb1ELb1EEEvllPKT_S7_PKT0_SA_PS5_SB_
	.p2align	8
	.type	_ZN2at6native12_GLOBAL__N_135GammaBetaBackwardCUDAKernelTemplateIN3c108BFloat16EfLj32ELj32ELj256ELb0ELb1ELb1EEEvllPKT_S7_PKT0_SA_PS5_SB_,@function
_ZN2at6native12_GLOBAL__N_135GammaBetaBackwardCUDAKernelTemplateIN3c108BFloat16EfLj32ELj32ELj256ELb0ELb1ELb1EEEvllPKT_S7_PKT0_SA_PS5_SB_: ; @_ZN2at6native12_GLOBAL__N_135GammaBetaBackwardCUDAKernelTemplateIN3c108BFloat16EfLj32ELj32ELj256ELb0ELb1ELb1EEEvllPKT_S7_PKT0_SA_PS5_SB_
; %bb.0:
	s_load_dwordx4 s[8:11], s[4:5], 0x0
	s_lshl_b32 s16, s7, 8
	s_mov_b32 s17, 0
	s_waitcnt lgkmcnt(0)
	v_cmp_gt_i64_e64 s0, s[8:9], s[16:17]
	s_and_b32 vcc_lo, exec_lo, s0
	s_cbranch_vccnz .LBB206_2
; %bb.1:
	s_mov_b32 s0, s17
	s_load_dwordx2 s[2:3], s[4:5], 0x30
	v_mov_b32_e32 v2, 0
	s_andn2_b32 vcc_lo, exec_lo, s0
	s_cbranch_vccz .LBB206_3
	s_branch .LBB206_9
.LBB206_2:
	s_load_dwordx2 s[2:3], s[4:5], 0x30
	v_mov_b32_e32 v2, 0
.LBB206_3:
	s_clause 0x3
	s_load_dword s0, s[4:5], 0x4c
	s_load_dword s1, s[4:5], 0x44
	s_load_dwordx4 s[12:15], s[4:5], 0x10
	s_load_dwordx2 s[18:19], s[4:5], 0x28
	v_lshlrev_b32_e32 v4, 3, v1
	v_mov_b32_e32 v3, 0
	v_lshl_add_u32 v2, s6, 5, v0
	v_mov_b32_e32 v8, 4
	v_mov_b32_e32 v9, 8
	v_add_co_u32 v4, s4, v4, s16
	v_add_co_ci_u32_e64 v5, null, 0, 0, s4
	v_lshlrev_b64 v[15:16], 1, v[2:3]
	v_mul_lo_u32 v17, s11, v4
	v_mov_b32_e32 v10, 12
	v_mul_lo_u32 v18, s10, v5
	v_mov_b32_e32 v11, 16
	v_mov_b32_e32 v12, 20
	;; [unrolled: 1-line block ×3, first 2 shown]
	s_waitcnt lgkmcnt(0)
	s_and_b32 s0, s0, 0xffff
	s_lshl_b32 s4, s1, 8
	v_mad_u32_u24 v6, v1, s0, v0
	s_mul_i32 s1, s11, s4
	s_mul_hi_u32 s7, s10, s4
	v_mov_b32_e32 v14, 28
	v_mov_b32_e32 v2, 0
	v_and_b32_e32 v21, 31, v6
	v_mad_u64_u32 v[6:7], null, s10, v4, 0
	s_mov_b32 s5, 0
	s_add_i32 s21, s7, s1
	v_add_co_u32 v4, vcc_lo, v4, v21
	v_add_co_ci_u32_e64 v5, null, 0, v5, vcc_lo
	v_add3_u32 v7, v7, v18, v17
	v_cmp_gt_u32_e64 s0, 8, v21
	s_mul_i32 s20, s10, s4
	v_lshlrev_b64 v[17:18], 2, v[4:5]
	s_lshl_b64 s[20:21], s[20:21], 1
	v_lshlrev_b64 v[19:20], 1, v[6:7]
	s_lshl_b64 s[10:11], s[10:11], 1
	v_add_co_u32 v6, vcc_lo, s18, v17
	v_add_co_ci_u32_e64 v7, null, s19, v18, vcc_lo
	v_add_co_u32 v15, vcc_lo, v19, v15
	v_add_co_ci_u32_e64 v16, null, v20, v16, vcc_lo
	s_lshl_b64 s[18:19], s[4:5], 2
	s_branch .LBB206_6
.LBB206_4:                              ;   in Loop: Header=BB206_6 Depth=1
	s_or_b32 exec_lo, exec_lo, s5
.LBB206_5:                              ;   in Loop: Header=BB206_6 Depth=1
	s_or_b32 exec_lo, exec_lo, s1
	v_add_co_u32 v18, vcc_lo, s12, v15
	v_add_co_ci_u32_e64 v19, null, s13, v16, vcc_lo
	v_add_co_u32 v20, vcc_lo, s14, v15
	v_add_co_ci_u32_e64 v21, null, s15, v16, vcc_lo
	global_load_ushort v28, v[18:19], off
	v_add_co_u32 v18, vcc_lo, v18, s10
	v_add_co_ci_u32_e64 v19, null, s11, v19, vcc_lo
	v_add_co_u32 v22, vcc_lo, v20, s10
	v_add_co_ci_u32_e64 v23, null, s11, v21, vcc_lo
	;; [unrolled: 2-line block ×4, first 2 shown]
	global_load_ushort v29, v[20:21], off
	global_load_ushort v30, v[18:19], off
	;; [unrolled: 1-line block ×5, first 2 shown]
	v_add_co_u32 v18, vcc_lo, v24, s10
	v_add_co_ci_u32_e64 v19, null, s11, v25, vcc_lo
	v_add_co_u32 v20, vcc_lo, v26, s10
	v_add_co_ci_u32_e64 v21, null, s11, v27, vcc_lo
	global_load_ushort v34, v[18:19], off
	v_add_co_u32 v18, vcc_lo, v18, s10
	v_add_co_ci_u32_e64 v19, null, s11, v19, vcc_lo
	v_add_co_u32 v22, vcc_lo, v20, s10
	v_add_co_ci_u32_e64 v23, null, s11, v21, vcc_lo
	;; [unrolled: 2-line block ×4, first 2 shown]
	global_load_ushort v35, v[20:21], off
	global_load_ushort v36, v[18:19], off
	;; [unrolled: 1-line block ×5, first 2 shown]
	v_add_co_u32 v18, vcc_lo, v26, s10
	v_add_co_ci_u32_e64 v19, null, s11, v27, vcc_lo
	v_add_co_u32 v20, vcc_lo, v24, s10
	v_add_co_ci_u32_e64 v21, null, s11, v25, vcc_lo
	global_load_ushort v24, v[18:19], off
	v_add_co_u32 v18, vcc_lo, v18, s10
	v_add_co_ci_u32_e64 v19, null, s11, v19, vcc_lo
	v_add_co_u32 v22, vcc_lo, v20, s10
	v_add_co_ci_u32_e64 v23, null, s11, v21, vcc_lo
	global_load_ushort v20, v[20:21], off
	global_load_ushort v18, v[18:19], off
	;; [unrolled: 1-line block ×3, first 2 shown]
	s_waitcnt vmcnt(16)
	ds_bpermute_b32 v21, v3, v17
	ds_bpermute_b32 v22, v8, v17
	;; [unrolled: 1-line block ×3, first 2 shown]
	s_add_u32 s16, s16, s4
	v_add_co_u32 v6, vcc_lo, v6, s18
	s_addc_u32 s17, s17, 0
	v_add_co_ci_u32_e64 v7, null, s19, v7, vcc_lo
	v_add_co_u32 v4, vcc_lo, v4, s4
	v_cmp_lt_i64_e64 s1, s[16:17], s[8:9]
	v_add_co_ci_u32_e64 v5, null, 0, v5, vcc_lo
	v_add_co_u32 v15, vcc_lo, v15, s20
	v_add_co_ci_u32_e64 v16, null, s21, v16, vcc_lo
	s_and_b32 vcc_lo, exec_lo, s1
	s_waitcnt vmcnt(15)
	v_lshlrev_b32_e32 v25, 16, v28
	ds_bpermute_b32 v28, v10, v17
	s_waitcnt vmcnt(14)
	v_lshlrev_b32_e32 v23, 16, v29
	s_waitcnt vmcnt(12)
	v_lshlrev_b32_e32 v27, 16, v31
	;; [unrolled: 2-line block ×3, first 2 shown]
	v_mul_f32_e32 v23, v25, v23
	v_lshlrev_b32_e32 v25, 16, v30
	s_waitcnt lgkmcnt(3)
	v_fmac_f32_e32 v2, v23, v21
	v_mul_f32_e32 v21, v25, v27
	v_lshlrev_b32_e32 v23, 16, v32
	ds_bpermute_b32 v25, v11, v17
	ds_bpermute_b32 v27, v12, v17
	s_waitcnt lgkmcnt(4)
	v_fmac_f32_e32 v2, v21, v22
	v_mul_f32_e32 v21, v23, v29
	s_waitcnt vmcnt(9)
	v_lshlrev_b32_e32 v22, 16, v34
	ds_bpermute_b32 v23, v13, v17
	ds_bpermute_b32 v17, v14, v17
	s_waitcnt lgkmcnt(5)
	v_fmac_f32_e32 v2, v21, v26
	s_waitcnt vmcnt(8)
	v_lshlrev_b32_e32 v30, 16, v35
	s_waitcnt vmcnt(6)
	v_lshlrev_b32_e32 v29, 16, v37
	;; [unrolled: 2-line block ×3, first 2 shown]
	v_mul_f32_e32 v21, v22, v30
	v_lshlrev_b32_e32 v22, 16, v36
	v_lshlrev_b32_e32 v30, 16, v38
	s_waitcnt lgkmcnt(4)
	v_fmac_f32_e32 v2, v21, v28
	v_mul_f32_e32 v21, v22, v29
	s_waitcnt vmcnt(3)
	v_lshlrev_b32_e32 v22, 16, v24
	s_waitcnt lgkmcnt(3)
	v_fmac_f32_e32 v2, v21, v25
	v_mul_f32_e32 v21, v30, v26
	s_waitcnt vmcnt(2)
	v_lshlrev_b32_e32 v20, 16, v20
	s_waitcnt vmcnt(1)
	v_lshlrev_b32_e32 v18, 16, v18
	;; [unrolled: 2-line block ×3, first 2 shown]
	s_waitcnt lgkmcnt(2)
	v_fmac_f32_e32 v2, v21, v27
	v_mul_f32_e32 v20, v20, v22
	v_mul_f32_e32 v18, v19, v18
	s_waitcnt lgkmcnt(1)
	v_fmac_f32_e32 v2, v20, v23
	s_waitcnt lgkmcnt(0)
	v_fmac_f32_e32 v2, v18, v17
	s_cbranch_vccz .LBB206_9
.LBB206_6:                              ; =>This Inner Loop Header: Depth=1
	v_mov_b32_e32 v17, 0
	s_and_saveexec_b32 s1, s0
	s_cbranch_execz .LBB206_5
; %bb.7:                                ;   in Loop: Header=BB206_6 Depth=1
	v_mov_b32_e32 v17, 0
	s_mov_b32 s5, exec_lo
	v_cmpx_gt_i64_e64 s[8:9], v[4:5]
	s_cbranch_execz .LBB206_4
; %bb.8:                                ;   in Loop: Header=BB206_6 Depth=1
	global_load_dword v17, v[6:7], off
	s_branch .LBB206_4
.LBB206_9:
	v_mad_u32_u24 v3, v1, 33, v0
	v_lshrrev_b32_e32 v4, 5, v0
	s_mov_b32 s0, exec_lo
	v_lshl_add_u32 v3, v3, 2, 0
	v_add_nc_u32_e32 v1, v4, v1
	v_mov_b32_e32 v4, 0
	ds_write_b32 v3, v2
	ds_write_b32 v3, v4 offset:4224
	s_waitcnt lgkmcnt(0)
	s_barrier
	buffer_gl0_inv
	v_cmpx_gt_u32_e32 32, v1
	s_cbranch_execz .LBB206_12
; %bb.10:
	v_and_b32_e32 v2, 31, v0
	v_lshlrev_b32_e32 v3, 2, v1
	s_cmp_lg_u64 s[2:3], 0
	s_cselect_b32 s0, -1, 0
	v_mul_u32_u24_e32 v2, 0x84, v2
	v_add3_u32 v2, 0, v3, v2
	v_mbcnt_lo_u32_b32 v3, -1, 0
	ds_read_b32 v2, v2
	v_xor_b32_e32 v4, 16, v3
	v_xor_b32_e32 v5, 8, v3
	v_cmp_gt_i32_e32 vcc_lo, 32, v4
	v_cndmask_b32_e32 v4, v3, v4, vcc_lo
	v_cmp_gt_i32_e32 vcc_lo, 32, v5
	v_lshlrev_b32_e32 v4, 2, v4
	v_cndmask_b32_e32 v5, v3, v5, vcc_lo
	s_waitcnt lgkmcnt(0)
	ds_bpermute_b32 v4, v4, v2
	v_lshlrev_b32_e32 v5, 2, v5
	s_waitcnt lgkmcnt(0)
	v_add_f32_e32 v2, v2, v4
	ds_bpermute_b32 v4, v5, v2
	v_xor_b32_e32 v5, 4, v3
	v_cmp_gt_i32_e32 vcc_lo, 32, v5
	v_cndmask_b32_e32 v5, v3, v5, vcc_lo
	v_lshlrev_b32_e32 v5, 2, v5
	s_waitcnt lgkmcnt(0)
	v_add_f32_e32 v2, v2, v4
	ds_bpermute_b32 v4, v5, v2
	v_xor_b32_e32 v5, 2, v3
	v_cmp_gt_i32_e32 vcc_lo, 32, v5
	v_cndmask_b32_e32 v5, v3, v5, vcc_lo
	;; [unrolled: 7-line block ×3, first 2 shown]
	v_cmp_eq_u32_e32 vcc_lo, 0, v0
	v_lshlrev_b32_e32 v3, 2, v3
	s_and_b32 s0, vcc_lo, s0
	s_waitcnt lgkmcnt(0)
	v_add_f32_e32 v2, v2, v4
	ds_bpermute_b32 v3, v3, v2
	s_and_b32 exec_lo, exec_lo, s0
	s_cbranch_execz .LBB206_12
; %bb.11:
	s_waitcnt lgkmcnt(0)
	v_add_f32_e32 v0, v2, v3
	v_mov_b32_e32 v2, 0
	s_mov_b32 s7, 0
	v_mov_b32_e32 v4, 0x7fc0
	s_lshl_b64 s[0:1], s[6:7], 6
	v_bfe_u32 v3, v0, 16, 1
	v_cmp_o_f32_e32 vcc_lo, v0, v0
	s_add_u32 s0, s2, s0
	s_addc_u32 s1, s3, s1
	v_add3_u32 v3, v0, v3, 0x7fff
	v_lshlrev_b64 v[0:1], 1, v[1:2]
	v_cndmask_b32_sdwa v2, v4, v3, vcc_lo dst_sel:DWORD dst_unused:UNUSED_PAD src0_sel:DWORD src1_sel:WORD_1
	v_add_co_u32 v0, vcc_lo, s0, v0
	v_add_co_ci_u32_e64 v1, null, s1, v1, vcc_lo
	global_store_short v[0:1], v2, off
.LBB206_12:
	s_endpgm
	.section	.rodata,"a",@progbits
	.p2align	6, 0x0
	.amdhsa_kernel _ZN2at6native12_GLOBAL__N_135GammaBetaBackwardCUDAKernelTemplateIN3c108BFloat16EfLj32ELj32ELj256ELb0ELb1ELb1EEEvllPKT_S7_PKT0_SA_PS5_SB_
		.amdhsa_group_segment_fixed_size 0
		.amdhsa_private_segment_fixed_size 0
		.amdhsa_kernarg_size 320
		.amdhsa_user_sgpr_count 6
		.amdhsa_user_sgpr_private_segment_buffer 1
		.amdhsa_user_sgpr_dispatch_ptr 0
		.amdhsa_user_sgpr_queue_ptr 0
		.amdhsa_user_sgpr_kernarg_segment_ptr 1
		.amdhsa_user_sgpr_dispatch_id 0
		.amdhsa_user_sgpr_flat_scratch_init 0
		.amdhsa_user_sgpr_private_segment_size 0
		.amdhsa_wavefront_size32 1
		.amdhsa_uses_dynamic_stack 0
		.amdhsa_system_sgpr_private_segment_wavefront_offset 0
		.amdhsa_system_sgpr_workgroup_id_x 1
		.amdhsa_system_sgpr_workgroup_id_y 1
		.amdhsa_system_sgpr_workgroup_id_z 0
		.amdhsa_system_sgpr_workgroup_info 0
		.amdhsa_system_vgpr_workitem_id 1
		.amdhsa_next_free_vgpr 40
		.amdhsa_next_free_sgpr 22
		.amdhsa_reserve_vcc 1
		.amdhsa_reserve_flat_scratch 0
		.amdhsa_float_round_mode_32 0
		.amdhsa_float_round_mode_16_64 0
		.amdhsa_float_denorm_mode_32 3
		.amdhsa_float_denorm_mode_16_64 3
		.amdhsa_dx10_clamp 1
		.amdhsa_ieee_mode 1
		.amdhsa_fp16_overflow 0
		.amdhsa_workgroup_processor_mode 1
		.amdhsa_memory_ordered 1
		.amdhsa_forward_progress 1
		.amdhsa_shared_vgpr_count 0
		.amdhsa_exception_fp_ieee_invalid_op 0
		.amdhsa_exception_fp_denorm_src 0
		.amdhsa_exception_fp_ieee_div_zero 0
		.amdhsa_exception_fp_ieee_overflow 0
		.amdhsa_exception_fp_ieee_underflow 0
		.amdhsa_exception_fp_ieee_inexact 0
		.amdhsa_exception_int_div_zero 0
	.end_amdhsa_kernel
	.section	.text._ZN2at6native12_GLOBAL__N_135GammaBetaBackwardCUDAKernelTemplateIN3c108BFloat16EfLj32ELj32ELj256ELb0ELb1ELb1EEEvllPKT_S7_PKT0_SA_PS5_SB_,"axG",@progbits,_ZN2at6native12_GLOBAL__N_135GammaBetaBackwardCUDAKernelTemplateIN3c108BFloat16EfLj32ELj32ELj256ELb0ELb1ELb1EEEvllPKT_S7_PKT0_SA_PS5_SB_,comdat
.Lfunc_end206:
	.size	_ZN2at6native12_GLOBAL__N_135GammaBetaBackwardCUDAKernelTemplateIN3c108BFloat16EfLj32ELj32ELj256ELb0ELb1ELb1EEEvllPKT_S7_PKT0_SA_PS5_SB_, .Lfunc_end206-_ZN2at6native12_GLOBAL__N_135GammaBetaBackwardCUDAKernelTemplateIN3c108BFloat16EfLj32ELj32ELj256ELb0ELb1ELb1EEEvllPKT_S7_PKT0_SA_PS5_SB_
                                        ; -- End function
	.set _ZN2at6native12_GLOBAL__N_135GammaBetaBackwardCUDAKernelTemplateIN3c108BFloat16EfLj32ELj32ELj256ELb0ELb1ELb1EEEvllPKT_S7_PKT0_SA_PS5_SB_.num_vgpr, 40
	.set _ZN2at6native12_GLOBAL__N_135GammaBetaBackwardCUDAKernelTemplateIN3c108BFloat16EfLj32ELj32ELj256ELb0ELb1ELb1EEEvllPKT_S7_PKT0_SA_PS5_SB_.num_agpr, 0
	.set _ZN2at6native12_GLOBAL__N_135GammaBetaBackwardCUDAKernelTemplateIN3c108BFloat16EfLj32ELj32ELj256ELb0ELb1ELb1EEEvllPKT_S7_PKT0_SA_PS5_SB_.numbered_sgpr, 22
	.set _ZN2at6native12_GLOBAL__N_135GammaBetaBackwardCUDAKernelTemplateIN3c108BFloat16EfLj32ELj32ELj256ELb0ELb1ELb1EEEvllPKT_S7_PKT0_SA_PS5_SB_.num_named_barrier, 0
	.set _ZN2at6native12_GLOBAL__N_135GammaBetaBackwardCUDAKernelTemplateIN3c108BFloat16EfLj32ELj32ELj256ELb0ELb1ELb1EEEvllPKT_S7_PKT0_SA_PS5_SB_.private_seg_size, 0
	.set _ZN2at6native12_GLOBAL__N_135GammaBetaBackwardCUDAKernelTemplateIN3c108BFloat16EfLj32ELj32ELj256ELb0ELb1ELb1EEEvllPKT_S7_PKT0_SA_PS5_SB_.uses_vcc, 1
	.set _ZN2at6native12_GLOBAL__N_135GammaBetaBackwardCUDAKernelTemplateIN3c108BFloat16EfLj32ELj32ELj256ELb0ELb1ELb1EEEvllPKT_S7_PKT0_SA_PS5_SB_.uses_flat_scratch, 0
	.set _ZN2at6native12_GLOBAL__N_135GammaBetaBackwardCUDAKernelTemplateIN3c108BFloat16EfLj32ELj32ELj256ELb0ELb1ELb1EEEvllPKT_S7_PKT0_SA_PS5_SB_.has_dyn_sized_stack, 0
	.set _ZN2at6native12_GLOBAL__N_135GammaBetaBackwardCUDAKernelTemplateIN3c108BFloat16EfLj32ELj32ELj256ELb0ELb1ELb1EEEvllPKT_S7_PKT0_SA_PS5_SB_.has_recursion, 0
	.set _ZN2at6native12_GLOBAL__N_135GammaBetaBackwardCUDAKernelTemplateIN3c108BFloat16EfLj32ELj32ELj256ELb0ELb1ELb1EEEvllPKT_S7_PKT0_SA_PS5_SB_.has_indirect_call, 0
	.section	.AMDGPU.csdata,"",@progbits
; Kernel info:
; codeLenInByte = 1532
; TotalNumSgprs: 24
; NumVgprs: 40
; ScratchSize: 0
; MemoryBound: 0
; FloatMode: 240
; IeeeMode: 1
; LDSByteSize: 0 bytes/workgroup (compile time only)
; SGPRBlocks: 0
; VGPRBlocks: 4
; NumSGPRsForWavesPerEU: 24
; NumVGPRsForWavesPerEU: 40
; Occupancy: 16
; WaveLimiterHint : 0
; COMPUTE_PGM_RSRC2:SCRATCH_EN: 0
; COMPUTE_PGM_RSRC2:USER_SGPR: 6
; COMPUTE_PGM_RSRC2:TRAP_HANDLER: 0
; COMPUTE_PGM_RSRC2:TGID_X_EN: 1
; COMPUTE_PGM_RSRC2:TGID_Y_EN: 1
; COMPUTE_PGM_RSRC2:TGID_Z_EN: 0
; COMPUTE_PGM_RSRC2:TIDIG_COMP_CNT: 1
	.section	.text._ZN2at6native12_GLOBAL__N_135GammaBetaBackwardCUDAKernelTemplateIN3c108BFloat16EfLj32ELj32ELj256ELb0ELb0ELb1EEEvllPKT_S7_PKT0_SA_PS5_SB_,"axG",@progbits,_ZN2at6native12_GLOBAL__N_135GammaBetaBackwardCUDAKernelTemplateIN3c108BFloat16EfLj32ELj32ELj256ELb0ELb0ELb1EEEvllPKT_S7_PKT0_SA_PS5_SB_,comdat
	.globl	_ZN2at6native12_GLOBAL__N_135GammaBetaBackwardCUDAKernelTemplateIN3c108BFloat16EfLj32ELj32ELj256ELb0ELb0ELb1EEEvllPKT_S7_PKT0_SA_PS5_SB_ ; -- Begin function _ZN2at6native12_GLOBAL__N_135GammaBetaBackwardCUDAKernelTemplateIN3c108BFloat16EfLj32ELj32ELj256ELb0ELb0ELb1EEEvllPKT_S7_PKT0_SA_PS5_SB_
	.p2align	8
	.type	_ZN2at6native12_GLOBAL__N_135GammaBetaBackwardCUDAKernelTemplateIN3c108BFloat16EfLj32ELj32ELj256ELb0ELb0ELb1EEEvllPKT_S7_PKT0_SA_PS5_SB_,@function
_ZN2at6native12_GLOBAL__N_135GammaBetaBackwardCUDAKernelTemplateIN3c108BFloat16EfLj32ELj32ELj256ELb0ELb0ELb1EEEvllPKT_S7_PKT0_SA_PS5_SB_: ; @_ZN2at6native12_GLOBAL__N_135GammaBetaBackwardCUDAKernelTemplateIN3c108BFloat16EfLj32ELj32ELj256ELb0ELb0ELb1EEEvllPKT_S7_PKT0_SA_PS5_SB_
; %bb.0:
	s_clause 0x1
	s_load_dwordx8 s[8:15], s[4:5], 0x0
	s_load_dwordx2 s[2:3], s[4:5], 0x28
	s_lshl_b32 s26, s6, 5
	s_mov_b32 s17, 0
	s_or_b32 s16, s26, 31
	s_waitcnt lgkmcnt(0)
	v_cmp_le_i64_e64 s0, s[10:11], s[16:17]
	s_lshl_b32 s16, s7, 8
	v_cmp_gt_i64_e64 s7, s[8:9], s[16:17]
	s_and_b32 vcc_lo, exec_lo, s0
	v_cndmask_b32_e64 v2, 0, 1, s7
	v_cmp_ne_u32_e64 s0, 1, v2
	s_cbranch_vccz .LBB207_49
; %bb.1:
	v_mov_b32_e32 v85, 0
	s_and_b32 vcc_lo, exec_lo, s0
	s_cbranch_vccnz .LBB207_50
; %bb.2:
	v_lshlrev_b32_e32 v21, 3, v1
	v_mov_b32_e32 v2, 0
	v_add_nc_u32_e32 v5, s26, v0
	s_load_dword s1, s[4:5], 0x44
	s_add_u32 s18, s4, 64
	v_add_co_u32 v11, s0, v21, s16
	v_add_co_ci_u32_e64 v12, null, 0, 0, s0
	v_mov_b32_e32 v6, v2
	v_mul_lo_u32 v7, s11, v11
	v_mad_u64_u32 v[3:4], null, s10, v11, 0
	v_mul_lo_u32 v8, s10, v12
	v_cmp_gt_i64_e64 s0, s[10:11], v[5:6]
	v_lshlrev_b64 v[19:20], 1, v[5:6]
	s_addc_u32 s19, s5, 0
	v_mov_b32_e32 v54, 0
	s_mov_b64 s[24:25], s[16:17]
	v_add3_u32 v4, v4, v8, v7
	v_add_co_u32 v7, vcc_lo, v11, 7
	v_add_co_ci_u32_e64 v8, null, 0, v12, vcc_lo
	v_lshlrev_b64 v[5:6], 1, v[3:4]
	v_mul_lo_u32 v13, s11, v7
	s_waitcnt lgkmcnt(0)
	s_lshl_b32 s27, s1, 8
	v_mul_lo_u32 v14, s10, v8
	v_mad_u64_u32 v[7:8], null, s10, v7, 0
	v_add_co_u32 v22, vcc_lo, s12, v5
	v_add_co_ci_u32_e64 v23, null, s13, v6, vcc_lo
	v_add_co_u32 v9, vcc_lo, v11, 6
	v_add_co_ci_u32_e64 v10, null, 0, v12, vcc_lo
	v_add_co_u32 v24, vcc_lo, s14, v5
	v_mul_lo_u32 v15, s11, v9
	v_mul_lo_u32 v16, s10, v10
	v_mad_u64_u32 v[9:10], null, s10, v9, 0
	v_add3_u32 v8, v8, v14, v13
	v_add_co_ci_u32_e64 v25, null, s15, v6, vcc_lo
	v_add_co_u32 v13, vcc_lo, v11, 5
	v_add_co_ci_u32_e64 v14, null, 0, v12, vcc_lo
	v_add3_u32 v10, v10, v16, v15
	v_lshlrev_b64 v[5:6], 1, v[7:8]
	v_mul_lo_u32 v15, s11, v13
	v_mul_lo_u32 v14, s10, v14
	s_mul_i32 s1, s11, s27
	v_lshlrev_b64 v[7:8], 1, v[9:10]
	v_mad_u64_u32 v[9:10], null, s10, v13, 0
	v_add_co_u32 v26, vcc_lo, s12, v5
	v_add_co_ci_u32_e64 v27, null, s13, v6, vcc_lo
	v_add_co_u32 v28, vcc_lo, s14, v5
	v_add_co_ci_u32_e64 v29, null, s15, v6, vcc_lo
	v_add_co_u32 v30, vcc_lo, s12, v7
	v_add3_u32 v10, v10, v14, v15
	s_mul_hi_u32 s20, s10, s27
	v_add_co_ci_u32_e64 v31, null, s13, v8, vcc_lo
	v_add_co_u32 v13, vcc_lo, v11, 4
	s_add_i32 s21, s20, s1
	v_add_co_u32 v32, s1, s14, v7
	v_add_co_ci_u32_e64 v7, null, 0, v12, vcc_lo
	v_lshlrev_b64 v[5:6], 1, v[9:10]
	v_add_co_u32 v9, vcc_lo, v11, 3
	v_add_co_ci_u32_e64 v10, null, 0, v12, vcc_lo
	v_add_co_ci_u32_e64 v33, null, s15, v8, s1
	v_mul_lo_u32 v14, s11, v13
	v_mul_lo_u32 v15, s10, v7
	v_mad_u64_u32 v[7:8], null, s10, v13, 0
	v_mul_lo_u32 v13, s11, v9
	v_mul_lo_u32 v16, s10, v10
	v_mad_u64_u32 v[9:10], null, s10, v9, 0
	v_add_co_u32 v34, vcc_lo, s12, v5
	v_add_co_ci_u32_e64 v35, null, s13, v6, vcc_lo
	v_add3_u32 v8, v8, v15, v14
	v_add_co_u32 v36, vcc_lo, s14, v5
	v_add_co_ci_u32_e64 v37, null, s15, v6, vcc_lo
	v_add_co_u32 v11, vcc_lo, v11, 2
	v_add3_u32 v10, v10, v16, v13
	v_add_co_ci_u32_e64 v12, null, 0, v12, vcc_lo
	v_lshlrev_b64 v[5:6], 1, v[7:8]
	v_mul_lo_u32 v13, s11, v11
	v_lshlrev_b64 v[7:8], 1, v[9:10]
	v_mul_lo_u32 v12, s10, v12
	v_mad_u64_u32 v[9:10], null, s10, v11, 0
	v_add_co_u32 v38, vcc_lo, s12, v5
	v_add_co_ci_u32_e64 v39, null, s13, v6, vcc_lo
	v_add_co_u32 v40, vcc_lo, s14, v5
	v_add_co_ci_u32_e64 v41, null, s15, v6, vcc_lo
	;; [unrolled: 2-line block ×3, first 2 shown]
	v_add3_u32 v10, v10, v12, v13
	v_add_co_u32 v44, vcc_lo, s14, v7
	v_add_co_ci_u32_e64 v45, null, s15, v8, vcc_lo
	v_add_co_u32 v3, vcc_lo, v3, s10
	v_add_co_ci_u32_e64 v4, null, s11, v4, vcc_lo
	v_lshlrev_b64 v[5:6], 1, v[9:10]
	s_mul_i32 s20, s10, s27
	v_lshlrev_b64 v[3:4], 1, v[3:4]
	s_lshl_b64 s[20:21], s[20:21], 1
	s_add_u32 s22, s16, 0xff
	v_add_co_u32 v46, vcc_lo, s12, v5
	v_add_co_ci_u32_e64 v47, null, s13, v6, vcc_lo
	v_add_co_u32 v48, vcc_lo, s14, v5
	v_add_co_ci_u32_e64 v49, null, s15, v6, vcc_lo
	v_add_co_u32 v50, vcc_lo, s12, v3
	v_add_co_ci_u32_e64 v51, null, s13, v4, vcc_lo
	v_add_co_u32 v52, vcc_lo, s14, v3
	v_add_co_ci_u32_e64 v53, null, s15, v4, vcc_lo
	s_addc_u32 s23, 0, 0
.LBB207_3:                              ; =>This Inner Loop Header: Depth=1
	v_cmp_ge_i64_e64 s1, s[22:23], s[8:9]
	v_add_co_u32 v55, s28, v21, s22
	v_add_co_ci_u32_e64 v56, null, 0, s23, s28
                                        ; implicit-def: $vgpr3_vgpr4_vgpr5_vgpr6_vgpr7_vgpr8_vgpr9_vgpr10
                                        ; implicit-def: $vgpr85
                                        ; implicit-def: $vgpr11_vgpr12_vgpr13_vgpr14_vgpr15_vgpr16_vgpr17_vgpr18
                                        ; implicit-def: $vgpr3
	s_and_b32 vcc_lo, exec_lo, s1
	s_mov_b32 s1, -1
	s_cbranch_vccz .LBB207_25
; %bb.4:                                ;   in Loop: Header=BB207_3 Depth=1
	s_load_dword s1, s[18:19], 0xc
	v_mov_b32_e32 v57, 0
	s_waitcnt lgkmcnt(0)
	s_and_b32 s1, s1, 0xffff
	v_mad_u32_u24 v3, v1, s1, v0
	s_mov_b32 s1, exec_lo
	v_and_b32_e32 v3, 31, v3
	v_cmpx_gt_u32_e32 8, v3
	s_cbranch_execz .LBB207_8
; %bb.5:                                ;   in Loop: Header=BB207_3 Depth=1
	v_add_co_u32 v3, vcc_lo, v55, v3
	v_add_co_ci_u32_e64 v4, null, 0, v56, vcc_lo
	v_mov_b32_e32 v57, 0
	v_add_co_u32 v3, vcc_lo, 0xffffff01, v3
	v_add_co_ci_u32_e64 v4, null, -1, v4, vcc_lo
	s_mov_b32 s28, exec_lo
	v_cmpx_gt_i64_e64 s[8:9], v[3:4]
	s_cbranch_execz .LBB207_7
; %bb.6:                                ;   in Loop: Header=BB207_3 Depth=1
	v_lshlrev_b64 v[3:4], 2, v[3:4]
	v_add_co_u32 v3, vcc_lo, s2, v3
	v_add_co_ci_u32_e64 v4, null, s3, v4, vcc_lo
	global_load_dword v57, v[3:4], off
.LBB207_7:                              ;   in Loop: Header=BB207_3 Depth=1
	s_or_b32 exec_lo, exec_lo, s28
.LBB207_8:                              ;   in Loop: Header=BB207_3 Depth=1
	s_or_b32 exec_lo, exec_lo, s1
	v_add_co_u32 v10, vcc_lo, 0xffffff01, v55
	v_add_co_ci_u32_e64 v11, null, -1, v56, vcc_lo
	v_mov_b32_e32 v9, v2
	v_mov_b32_e32 v3, v2
	;; [unrolled: 1-line block ×7, first 2 shown]
	v_cmp_gt_i64_e32 vcc_lo, s[8:9], v[10:11]
	v_mov_b32_e32 v18, v9
	v_mov_b32_e32 v15, v6
	;; [unrolled: 1-line block ×16, first 2 shown]
	s_and_b32 s28, s0, vcc_lo
	s_and_saveexec_b32 s1, s28
	s_cbranch_execz .LBB207_10
; %bb.9:                                ;   in Loop: Header=BB207_3 Depth=1
	v_add_co_u32 v3, vcc_lo, v22, v19
	v_add_co_ci_u32_e64 v4, null, v23, v20, vcc_lo
	v_add_co_u32 v5, vcc_lo, v24, v19
	v_add_co_ci_u32_e64 v6, null, v25, v20, vcc_lo
	global_load_ushort v3, v[3:4], off
	global_load_ushort v11, v[5:6], off
	v_mov_b32_e32 v4, v2
	v_mov_b32_e32 v5, v2
	;; [unrolled: 1-line block ×14, first 2 shown]
	s_waitcnt vmcnt(1)
	v_lshlrev_b32_e32 v3, 16, v3
	s_waitcnt vmcnt(0)
	v_lshlrev_b32_e32 v11, 16, v11
.LBB207_10:                             ;   in Loop: Header=BB207_3 Depth=1
	s_or_b32 exec_lo, exec_lo, s1
	v_add_co_u32 v58, vcc_lo, 0xffffff02, v55
	v_add_co_ci_u32_e64 v59, null, -1, v56, vcc_lo
	v_cmp_gt_i64_e32 vcc_lo, s[8:9], v[58:59]
	s_and_b32 s28, s0, vcc_lo
	s_and_saveexec_b32 s1, s28
	s_cbranch_execz .LBB207_12
; %bb.11:                               ;   in Loop: Header=BB207_3 Depth=1
	v_add_co_u32 v58, vcc_lo, v50, v19
	v_add_co_ci_u32_e64 v59, null, v51, v20, vcc_lo
	v_add_co_u32 v60, vcc_lo, v52, v19
	v_add_co_ci_u32_e64 v61, null, v53, v20, vcc_lo
	global_load_ushort v4, v[58:59], off
	global_load_ushort v12, v[60:61], off
	s_waitcnt vmcnt(1)
	v_lshlrev_b32_e32 v4, 16, v4
	s_waitcnt vmcnt(0)
	v_lshlrev_b32_e32 v12, 16, v12
.LBB207_12:                             ;   in Loop: Header=BB207_3 Depth=1
	s_or_b32 exec_lo, exec_lo, s1
	v_add_co_u32 v58, vcc_lo, 0xffffff03, v55
	v_add_co_ci_u32_e64 v59, null, -1, v56, vcc_lo
	v_cmp_gt_i64_e32 vcc_lo, s[8:9], v[58:59]
	s_and_b32 s28, s0, vcc_lo
	s_and_saveexec_b32 s1, s28
	s_cbranch_execz .LBB207_14
; %bb.13:                               ;   in Loop: Header=BB207_3 Depth=1
	v_add_co_u32 v58, vcc_lo, v46, v19
	v_add_co_ci_u32_e64 v59, null, v47, v20, vcc_lo
	v_add_co_u32 v60, vcc_lo, v48, v19
	v_add_co_ci_u32_e64 v61, null, v49, v20, vcc_lo
	global_load_ushort v5, v[58:59], off
	global_load_ushort v13, v[60:61], off
	s_waitcnt vmcnt(1)
	v_lshlrev_b32_e32 v5, 16, v5
	s_waitcnt vmcnt(0)
	v_lshlrev_b32_e32 v13, 16, v13
.LBB207_14:                             ;   in Loop: Header=BB207_3 Depth=1
	;; [unrolled: 19-line block ×7, first 2 shown]
	s_or_b32 exec_lo, exec_lo, s1
	s_waitcnt vmcnt(0)
	ds_bpermute_b32 v58, v2, v57
	ds_bpermute_b32 v59, v2, v57 offset:4
	ds_bpermute_b32 v60, v2, v57 offset:8
	v_mul_f32_e32 v3, v11, v3
	ds_bpermute_b32 v11, v2, v57 offset:12
	v_mul_f32_e32 v4, v12, v4
	;; [unrolled: 2-line block ×3, first 2 shown]
	s_mov_b32 s1, 0
	s_waitcnt lgkmcnt(4)
	v_fma_f32 v85, v3, v58, v54
	v_mul_f32_e32 v3, v13, v5
	ds_bpermute_b32 v5, v2, v57 offset:20
	s_waitcnt lgkmcnt(4)
	v_fmac_f32_e32 v85, v4, v59
	v_mul_f32_e32 v4, v14, v6
	ds_bpermute_b32 v6, v2, v57 offset:24
	s_waitcnt lgkmcnt(4)
	v_fmac_f32_e32 v85, v3, v60
	ds_bpermute_b32 v3, v2, v57 offset:28
	s_waitcnt lgkmcnt(4)
	v_fmac_f32_e32 v85, v4, v11
	v_mul_f32_e32 v4, v16, v8
	s_waitcnt lgkmcnt(3)
	v_fmac_f32_e32 v85, v7, v12
	s_waitcnt lgkmcnt(2)
	v_fmac_f32_e32 v85, v4, v5
	v_mul_f32_e32 v4, v17, v9
	s_waitcnt lgkmcnt(1)
	v_fmac_f32_e32 v85, v4, v6
.LBB207_25:                             ;   in Loop: Header=BB207_3 Depth=1
	s_and_b32 vcc_lo, exec_lo, s1
	s_cbranch_vccz .LBB207_40
; %bb.26:                               ;   in Loop: Header=BB207_3 Depth=1
	s_load_dword s1, s[18:19], 0x0
	v_mov_b32_e32 v57, 0
	s_waitcnt lgkmcnt(0)
	s_cmp_lt_u32 s6, s1
	s_cselect_b32 s1, 12, 18
	s_add_u32 s28, s18, s1
	s_addc_u32 s29, s19, 0
	s_mov_b32 s1, exec_lo
	global_load_ushort v3, v2, s[28:29]
	s_waitcnt vmcnt(0)
	v_mad_u32_u24 v3, v1, v3, v0
	v_and_b32_e32 v3, 31, v3
	v_cmpx_gt_u32_e32 8, v3
	s_cbranch_execz .LBB207_30
; %bb.27:                               ;   in Loop: Header=BB207_3 Depth=1
	v_add_co_u32 v3, vcc_lo, v55, v3
	v_add_co_ci_u32_e64 v4, null, 0, v56, vcc_lo
	v_mov_b32_e32 v57, 0
	v_add_co_u32 v3, vcc_lo, 0xffffff01, v3
	v_add_co_ci_u32_e64 v4, null, -1, v4, vcc_lo
	s_mov_b32 s28, exec_lo
	v_cmpx_gt_i64_e64 s[8:9], v[3:4]
	s_cbranch_execz .LBB207_29
; %bb.28:                               ;   in Loop: Header=BB207_3 Depth=1
	v_lshlrev_b64 v[3:4], 2, v[3:4]
	v_add_co_u32 v3, vcc_lo, s2, v3
	v_add_co_ci_u32_e64 v4, null, s3, v4, vcc_lo
	global_load_dword v57, v[3:4], off
.LBB207_29:                             ;   in Loop: Header=BB207_3 Depth=1
	s_or_b32 exec_lo, exec_lo, s28
.LBB207_30:                             ;   in Loop: Header=BB207_3 Depth=1
	s_or_b32 exec_lo, exec_lo, s1
	v_mov_b32_e32 v9, v2
	v_mov_b32_e32 v3, v2
	;; [unrolled: 1-line block ×23, first 2 shown]
	s_and_saveexec_b32 s1, s0
	s_cbranch_execnz .LBB207_42
; %bb.31:                               ;   in Loop: Header=BB207_3 Depth=1
	s_or_b32 exec_lo, exec_lo, s1
	s_and_saveexec_b32 s1, s0
	s_cbranch_execnz .LBB207_43
.LBB207_32:                             ;   in Loop: Header=BB207_3 Depth=1
	s_or_b32 exec_lo, exec_lo, s1
	s_and_saveexec_b32 s1, s0
	s_cbranch_execnz .LBB207_44
.LBB207_33:                             ;   in Loop: Header=BB207_3 Depth=1
	s_or_b32 exec_lo, exec_lo, s1
	s_and_saveexec_b32 s1, s0
	s_cbranch_execnz .LBB207_45
.LBB207_34:                             ;   in Loop: Header=BB207_3 Depth=1
	s_or_b32 exec_lo, exec_lo, s1
	s_and_saveexec_b32 s1, s0
	s_cbranch_execnz .LBB207_46
.LBB207_35:                             ;   in Loop: Header=BB207_3 Depth=1
	s_or_b32 exec_lo, exec_lo, s1
	s_and_saveexec_b32 s1, s0
	s_cbranch_execnz .LBB207_47
.LBB207_36:                             ;   in Loop: Header=BB207_3 Depth=1
	s_or_b32 exec_lo, exec_lo, s1
	s_and_saveexec_b32 s1, s0
	s_cbranch_execnz .LBB207_48
.LBB207_37:                             ;   in Loop: Header=BB207_3 Depth=1
	s_or_b32 exec_lo, exec_lo, s1
	s_and_saveexec_b32 s1, s0
	s_cbranch_execz .LBB207_39
.LBB207_38:                             ;   in Loop: Header=BB207_3 Depth=1
	v_add_co_u32 v55, vcc_lo, v26, v19
	v_add_co_ci_u32_e64 v56, null, v27, v20, vcc_lo
	v_add_co_u32 v58, vcc_lo, v28, v19
	v_add_co_ci_u32_e64 v59, null, v29, v20, vcc_lo
	global_load_ushort v10, v[55:56], off
	global_load_ushort v18, v[58:59], off
	s_waitcnt vmcnt(1)
	v_lshlrev_b32_e32 v10, 16, v10
	s_waitcnt vmcnt(0)
	v_lshlrev_b32_e32 v18, 16, v18
.LBB207_39:                             ;   in Loop: Header=BB207_3 Depth=1
	s_or_b32 exec_lo, exec_lo, s1
	s_waitcnt vmcnt(0)
	ds_bpermute_b32 v55, v2, v57
	ds_bpermute_b32 v56, v2, v57 offset:4
	ds_bpermute_b32 v58, v2, v57 offset:8
	v_mul_f32_e32 v3, v11, v3
	ds_bpermute_b32 v11, v2, v57 offset:12
	v_mul_f32_e32 v4, v12, v4
	ds_bpermute_b32 v12, v2, v57 offset:16
	s_waitcnt lgkmcnt(4)
	v_fmac_f32_e32 v54, v3, v55
	v_mul_f32_e32 v3, v13, v5
	ds_bpermute_b32 v5, v2, v57 offset:20
	s_waitcnt lgkmcnt(4)
	v_fmac_f32_e32 v54, v4, v56
	;; [unrolled: 4-line block ×3, first 2 shown]
	v_mul_f32_e32 v3, v15, v7
	s_waitcnt lgkmcnt(3)
	v_fmac_f32_e32 v54, v4, v11
	v_mul_f32_e32 v4, v16, v8
	s_waitcnt lgkmcnt(2)
	v_fmac_f32_e32 v54, v3, v12
	ds_bpermute_b32 v3, v2, v57 offset:28
	s_waitcnt lgkmcnt(2)
	v_fmac_f32_e32 v54, v4, v5
	v_mul_f32_e32 v4, v17, v9
	s_waitcnt lgkmcnt(1)
	v_fmac_f32_e32 v54, v4, v6
	v_mov_b32_e32 v85, v54
.LBB207_40:                             ;   in Loop: Header=BB207_3 Depth=1
	v_add_co_u32 v22, vcc_lo, v22, s20
	v_add_co_ci_u32_e64 v23, null, s21, v23, vcc_lo
	v_add_co_u32 v24, vcc_lo, v24, s20
	v_add_co_ci_u32_e64 v25, null, s21, v25, vcc_lo
	;; [unrolled: 2-line block ×12, first 2 shown]
	v_add_co_u32 v46, vcc_lo, v46, s20
	s_add_u32 s24, s24, s27
	v_add_co_ci_u32_e64 v47, null, s21, v47, vcc_lo
	v_add_co_u32 v48, vcc_lo, v48, s20
	v_mul_f32_e32 v4, v10, v18
	s_addc_u32 s25, s25, 0
	v_add_co_ci_u32_e64 v49, null, s21, v49, vcc_lo
	v_add_co_u32 v50, vcc_lo, v50, s20
	v_cmp_lt_i64_e64 s1, s[24:25], s[8:9]
	v_add_co_ci_u32_e64 v51, null, s21, v51, vcc_lo
	v_add_co_u32 v52, vcc_lo, v52, s20
	s_waitcnt lgkmcnt(0)
	v_fmac_f32_e32 v85, v4, v3
	v_add_co_ci_u32_e64 v53, null, s21, v53, vcc_lo
	s_add_u32 s22, s22, s27
	s_addc_u32 s23, s23, 0
	s_and_b32 vcc_lo, exec_lo, s1
	s_cbranch_vccz .LBB207_50
; %bb.41:                               ;   in Loop: Header=BB207_3 Depth=1
	v_mov_b32_e32 v54, v85
	s_branch .LBB207_3
.LBB207_42:                             ;   in Loop: Header=BB207_3 Depth=1
	v_add_co_u32 v3, vcc_lo, v22, v19
	v_add_co_ci_u32_e64 v4, null, v23, v20, vcc_lo
	v_add_co_u32 v5, vcc_lo, v24, v19
	v_add_co_ci_u32_e64 v6, null, v25, v20, vcc_lo
	global_load_ushort v3, v[3:4], off
	global_load_ushort v11, v[5:6], off
	v_mov_b32_e32 v4, v2
	v_mov_b32_e32 v5, v2
	;; [unrolled: 1-line block ×14, first 2 shown]
	s_waitcnt vmcnt(1)
	v_lshlrev_b32_e32 v3, 16, v3
	s_waitcnt vmcnt(0)
	v_lshlrev_b32_e32 v11, 16, v11
	s_or_b32 exec_lo, exec_lo, s1
	s_and_saveexec_b32 s1, s0
	s_cbranch_execz .LBB207_32
.LBB207_43:                             ;   in Loop: Header=BB207_3 Depth=1
	v_add_co_u32 v55, vcc_lo, v50, v19
	v_add_co_ci_u32_e64 v56, null, v51, v20, vcc_lo
	v_add_co_u32 v58, vcc_lo, v52, v19
	v_add_co_ci_u32_e64 v59, null, v53, v20, vcc_lo
	global_load_ushort v4, v[55:56], off
	global_load_ushort v12, v[58:59], off
	s_waitcnt vmcnt(1)
	v_lshlrev_b32_e32 v4, 16, v4
	s_waitcnt vmcnt(0)
	v_lshlrev_b32_e32 v12, 16, v12
	s_or_b32 exec_lo, exec_lo, s1
	s_and_saveexec_b32 s1, s0
	s_cbranch_execz .LBB207_33
.LBB207_44:                             ;   in Loop: Header=BB207_3 Depth=1
	v_add_co_u32 v55, vcc_lo, v46, v19
	v_add_co_ci_u32_e64 v56, null, v47, v20, vcc_lo
	v_add_co_u32 v58, vcc_lo, v48, v19
	v_add_co_ci_u32_e64 v59, null, v49, v20, vcc_lo
	global_load_ushort v5, v[55:56], off
	global_load_ushort v13, v[58:59], off
	s_waitcnt vmcnt(1)
	v_lshlrev_b32_e32 v5, 16, v5
	s_waitcnt vmcnt(0)
	v_lshlrev_b32_e32 v13, 16, v13
	s_or_b32 exec_lo, exec_lo, s1
	s_and_saveexec_b32 s1, s0
	s_cbranch_execz .LBB207_34
.LBB207_45:                             ;   in Loop: Header=BB207_3 Depth=1
	v_add_co_u32 v55, vcc_lo, v42, v19
	v_add_co_ci_u32_e64 v56, null, v43, v20, vcc_lo
	v_add_co_u32 v58, vcc_lo, v44, v19
	v_add_co_ci_u32_e64 v59, null, v45, v20, vcc_lo
	global_load_ushort v6, v[55:56], off
	global_load_ushort v14, v[58:59], off
	s_waitcnt vmcnt(1)
	v_lshlrev_b32_e32 v6, 16, v6
	s_waitcnt vmcnt(0)
	v_lshlrev_b32_e32 v14, 16, v14
	s_or_b32 exec_lo, exec_lo, s1
	s_and_saveexec_b32 s1, s0
	s_cbranch_execz .LBB207_35
.LBB207_46:                             ;   in Loop: Header=BB207_3 Depth=1
	v_add_co_u32 v55, vcc_lo, v38, v19
	v_add_co_ci_u32_e64 v56, null, v39, v20, vcc_lo
	v_add_co_u32 v58, vcc_lo, v40, v19
	v_add_co_ci_u32_e64 v59, null, v41, v20, vcc_lo
	global_load_ushort v7, v[55:56], off
	global_load_ushort v15, v[58:59], off
	s_waitcnt vmcnt(1)
	v_lshlrev_b32_e32 v7, 16, v7
	s_waitcnt vmcnt(0)
	v_lshlrev_b32_e32 v15, 16, v15
	s_or_b32 exec_lo, exec_lo, s1
	s_and_saveexec_b32 s1, s0
	s_cbranch_execz .LBB207_36
.LBB207_47:                             ;   in Loop: Header=BB207_3 Depth=1
	v_add_co_u32 v55, vcc_lo, v34, v19
	v_add_co_ci_u32_e64 v56, null, v35, v20, vcc_lo
	v_add_co_u32 v58, vcc_lo, v36, v19
	v_add_co_ci_u32_e64 v59, null, v37, v20, vcc_lo
	global_load_ushort v8, v[55:56], off
	global_load_ushort v16, v[58:59], off
	s_waitcnt vmcnt(1)
	v_lshlrev_b32_e32 v8, 16, v8
	s_waitcnt vmcnt(0)
	v_lshlrev_b32_e32 v16, 16, v16
	s_or_b32 exec_lo, exec_lo, s1
	s_and_saveexec_b32 s1, s0
	s_cbranch_execz .LBB207_37
.LBB207_48:                             ;   in Loop: Header=BB207_3 Depth=1
	v_add_co_u32 v55, vcc_lo, v30, v19
	v_add_co_ci_u32_e64 v56, null, v31, v20, vcc_lo
	v_add_co_u32 v58, vcc_lo, v32, v19
	v_add_co_ci_u32_e64 v59, null, v33, v20, vcc_lo
	global_load_ushort v9, v[55:56], off
	global_load_ushort v17, v[58:59], off
	s_waitcnt vmcnt(1)
	v_lshlrev_b32_e32 v9, 16, v9
	s_waitcnt vmcnt(0)
	v_lshlrev_b32_e32 v17, 16, v17
	s_or_b32 exec_lo, exec_lo, s1
	s_and_saveexec_b32 s1, s0
	s_cbranch_execnz .LBB207_38
	s_branch .LBB207_39
.LBB207_49:
                                        ; implicit-def: $vgpr85
	s_branch .LBB207_51
.LBB207_50:
	s_cbranch_execnz .LBB207_83
.LBB207_51:
	v_mov_b32_e32 v85, 0
	s_andn2_b32 vcc_lo, exec_lo, s7
	s_cbranch_vccnz .LBB207_83
; %bb.52:
	s_load_dword s7, s[4:5], 0x44
	v_lshlrev_b32_e32 v49, 3, v1
	v_lshlrev_b32_e32 v8, 4, v1
	v_mov_b32_e32 v82, 0
	v_add_co_u32 v4, s0, v49, s16
	v_add_co_ci_u32_e64 v5, null, 0, 0, s0
	s_add_u32 s0, s4, 64
	v_mul_lo_u32 v6, s11, v4
	v_mad_u64_u32 v[2:3], null, s10, v4, 0
	v_mul_lo_u32 v7, s10, v5
	s_addc_u32 s1, s5, 0
	s_waitcnt lgkmcnt(0)
	s_lshl_b32 s7, s7, 8
	v_add3_u32 v3, v3, v7, v6
	s_mul_i32 s19, s11, s7
	s_mul_hi_u32 s20, s10, s7
	s_mul_i32 s18, s10, s7
	s_add_i32 s19, s20, s19
	v_lshlrev_b64 v[6:7], 1, v[2:3]
	s_lshl_b64 s[18:19], s[18:19], 1
	s_add_u32 s20, s16, 0xff
	s_addc_u32 s21, 0, 0
	s_lshl_b64 s[22:23], s[16:17], 1
	v_add_co_u32 v8, s22, v8, s22
	v_add_co_ci_u32_e64 v9, null, 0, s23, s22
	v_add_co_u32 v10, vcc_lo, v8, 2
	v_add_co_ci_u32_e64 v11, null, 0, v9, vcc_lo
	v_add_co_u32 v50, vcc_lo, s12, v6
	v_add_co_ci_u32_e64 v51, null, s13, v7, vcc_lo
	;; [unrolled: 2-line block ×6, first 2 shown]
	v_add_co_u32 v41, vcc_lo, v8, 10
	v_mad_u64_u32 v[21:22], null, s10, v6, s[12:13]
	v_mul_lo_u32 v7, s10, v7
	v_mul_lo_u32 v15, s11, v6
	v_mad_u64_u32 v[35:36], null, s10, v6, s[14:15]
	v_add_co_ci_u32_e64 v29, null, 0, v9, vcc_lo
	v_add_co_u32 v43, vcc_lo, v8, 12
	v_add_co_ci_u32_e64 v31, null, 0, v9, vcc_lo
	v_add_co_u32 v8, vcc_lo, v8, 14
	v_mad_u64_u32 v[19:20], null, s10, v10, s[12:13]
	v_mul_lo_u32 v11, s10, v11
	v_mul_lo_u32 v12, s11, v10
	v_mad_u64_u32 v[33:34], null, s10, v10, s[14:15]
	v_add_co_ci_u32_e64 v9, null, 0, v9, vcc_lo
	v_add_co_u32 v6, vcc_lo, v4, 7
	v_add3_u32 v22, v15, v22, v7
	v_add3_u32 v36, v15, v36, v7
	v_add_co_ci_u32_e64 v7, null, 0, v5, vcc_lo
	v_mul_lo_u32 v57, s10, v9
	v_add_co_u32 v9, vcc_lo, v4, 6
	v_add3_u32 v20, v12, v20, v11
	v_add3_u32 v34, v12, v34, v11
	v_add_co_ci_u32_e64 v12, null, 0, v5, vcc_lo
	v_mul_lo_u32 v10, s11, v6
	v_mul_lo_u32 v11, s10, v7
	v_mad_u64_u32 v[6:7], null, s10, v6, 0
	v_mad_u64_u32 v[23:24], null, s10, v13, s[12:13]
	v_mul_lo_u32 v17, s11, v13
	v_mul_lo_u32 v55, s10, v31
	v_mad_u64_u32 v[31:32], null, s10, v8, s[12:13]
	v_mul_lo_u32 v58, s11, v8
	v_mad_u64_u32 v[37:38], null, s10, v13, s[14:15]
	v_mad_u64_u32 v[45:46], null, s10, v8, s[14:15]
	v_mul_lo_u32 v13, s11, v9
	v_mul_lo_u32 v12, s10, v12
	v_mad_u64_u32 v[8:9], null, s10, v9, 0
	v_add3_u32 v7, v7, v11, v10
	v_add_co_u32 v10, vcc_lo, v4, 5
	v_mad_u64_u32 v[27:28], null, s10, v41, s[12:13]
	v_mul_lo_u32 v48, s10, v29
	v_mul_lo_u32 v54, s11, v41
	v_mad_u64_u32 v[41:42], null, s10, v41, s[14:15]
	v_add3_u32 v9, v9, v12, v13
	v_add_co_ci_u32_e64 v11, null, 0, v5, vcc_lo
	v_mad_u64_u32 v[29:30], null, s10, v43, s[12:13]
	v_mul_lo_u32 v56, s11, v43
	v_mad_u64_u32 v[43:44], null, s10, v43, s[14:15]
	v_lshlrev_b64 v[6:7], 1, v[6:7]
	v_lshlrev_b64 v[8:9], 1, v[8:9]
	v_mul_lo_u32 v12, s11, v10
	v_mul_lo_u32 v13, s10, v11
	v_mad_u64_u32 v[10:11], null, s10, v10, 0
	v_add3_u32 v28, v54, v28, v48
	v_add3_u32 v42, v54, v42, v48
	v_add_co_u32 v54, vcc_lo, s12, v6
	v_add3_u32 v30, v56, v30, v55
	v_add3_u32 v44, v56, v44, v55
	v_add_co_ci_u32_e64 v55, null, s13, v7, vcc_lo
	v_add_co_u32 v56, vcc_lo, s14, v6
	v_add3_u32 v32, v58, v32, v57
	v_add3_u32 v46, v58, v46, v57
	v_add_co_ci_u32_e64 v57, null, s15, v7, vcc_lo
	v_add_co_u32 v58, vcc_lo, s12, v8
	v_add_co_ci_u32_e64 v59, null, s13, v9, vcc_lo
	v_add3_u32 v11, v11, v13, v12
	v_add_co_u32 v12, vcc_lo, v4, 4
	v_add_co_ci_u32_e64 v13, null, 0, v5, vcc_lo
	v_add_co_u32 v60, vcc_lo, s14, v8
	v_mul_lo_u32 v14, s10, v14
	v_add_co_ci_u32_e64 v61, null, s15, v9, vcc_lo
	v_lshlrev_b64 v[6:7], 1, v[10:11]
	v_mul_lo_u32 v10, s11, v12
	v_mul_lo_u32 v11, s10, v13
	v_mad_u64_u32 v[8:9], null, s10, v12, 0
	v_add_co_u32 v12, vcc_lo, v4, 3
	v_add_co_ci_u32_e64 v13, null, 0, v5, vcc_lo
	v_add_co_u32 v62, vcc_lo, s12, v6
	v_add3_u32 v24, v17, v24, v14
	v_add3_u32 v38, v17, v38, v14
	v_add_co_ci_u32_e64 v63, null, s13, v7, vcc_lo
	v_add3_u32 v9, v9, v11, v10
	v_mul_lo_u32 v14, s11, v12
	v_mad_u64_u32 v[10:11], null, s10, v12, 0
	v_add_co_u32 v12, vcc_lo, v4, 2
	v_mul_lo_u32 v13, s10, v13
	v_add_co_ci_u32_e64 v15, null, 0, v5, vcc_lo
	v_add_co_u32 v64, vcc_lo, s14, v6
	v_lshlrev_b64 v[4:5], 1, v[8:9]
	v_add_co_ci_u32_e64 v65, null, s15, v7, vcc_lo
	v_mul_lo_u32 v8, s11, v12
	v_mul_lo_u32 v9, s10, v15
	v_mad_u64_u32 v[6:7], null, s10, v12, 0
	v_add3_u32 v11, v11, v13, v14
	v_add_co_u32 v66, vcc_lo, s12, v4
	v_add_co_ci_u32_e64 v67, null, s13, v5, vcc_lo
	v_add_co_u32 v68, vcc_lo, s14, v4
	v_add_co_ci_u32_e64 v69, null, s15, v5, vcc_lo
	v_lshlrev_b64 v[4:5], 1, v[10:11]
	v_add3_u32 v7, v7, v9, v8
	v_add_co_u32 v2, vcc_lo, v2, s10
	v_add_co_ci_u32_e64 v3, null, s11, v3, vcc_lo
	v_lshlrev_b64 v[6:7], 1, v[6:7]
	v_add_co_u32 v70, vcc_lo, s12, v4
	v_add_co_ci_u32_e64 v71, null, s13, v5, vcc_lo
	v_add_co_u32 v72, vcc_lo, s14, v4
	v_lshlrev_b64 v[3:4], 1, v[2:3]
	v_mov_b32_e32 v2, 0
	v_mad_u64_u32 v[25:26], null, s10, v16, s[12:13]
	v_mul_lo_u32 v18, s10, v18
	v_mul_lo_u32 v47, s11, v16
	v_mad_u64_u32 v[39:40], null, s10, v16, s[14:15]
	v_add_co_ci_u32_e64 v73, null, s15, v5, vcc_lo
	v_add_co_u32 v74, vcc_lo, s12, v6
	v_add_co_ci_u32_e64 v75, null, s13, v7, vcc_lo
	v_add_co_u32 v76, vcc_lo, s14, v6
	v_add_nc_u32_e32 v5, s26, v0
	v_mov_b32_e32 v6, v2
	v_add_co_ci_u32_e64 v77, null, s15, v7, vcc_lo
	v_add_co_u32 v78, vcc_lo, s12, v3
	v_add_co_ci_u32_e64 v79, null, s13, v4, vcc_lo
	v_add_co_u32 v80, vcc_lo, s14, v3
	v_add3_u32 v26, v47, v26, v18
	v_add3_u32 v40, v47, v40, v18
	v_lshlrev_b64 v[47:48], 1, v[5:6]
	v_add_co_ci_u32_e64 v81, null, s15, v4, vcc_lo
.LBB207_53:                             ; =>This Inner Loop Header: Depth=1
	v_cmp_ge_i64_e64 s12, s[20:21], s[8:9]
	v_add_co_u32 v83, s13, v49, s20
	v_add_co_ci_u32_e64 v84, null, 0, s21, s13
                                        ; implicit-def: $vgpr85
	s_and_b32 vcc_lo, exec_lo, s12
	s_mov_b32 s12, -1
	s_cbranch_vccz .LBB207_75
; %bb.54:                               ;   in Loop: Header=BB207_53 Depth=1
	s_load_dword s12, s[0:1], 0xc
	v_mov_b32_e32 v86, 0
	s_waitcnt lgkmcnt(0)
	s_and_b32 s12, s12, 0xffff
	v_mad_u32_u24 v3, v1, s12, v0
	s_mov_b32 s12, exec_lo
	v_and_b32_e32 v3, 31, v3
	v_cmpx_gt_u32_e32 8, v3
	s_cbranch_execz .LBB207_58
; %bb.55:                               ;   in Loop: Header=BB207_53 Depth=1
	v_add_co_u32 v3, vcc_lo, v83, v3
	v_add_co_ci_u32_e64 v4, null, 0, v84, vcc_lo
	v_mov_b32_e32 v86, 0
	v_add_co_u32 v3, vcc_lo, 0xffffff01, v3
	v_add_co_ci_u32_e64 v4, null, -1, v4, vcc_lo
	s_mov_b32 s13, exec_lo
	v_cmpx_gt_i64_e64 s[8:9], v[3:4]
	s_cbranch_execz .LBB207_57
; %bb.56:                               ;   in Loop: Header=BB207_53 Depth=1
	v_lshlrev_b64 v[3:4], 2, v[3:4]
	v_add_co_u32 v3, vcc_lo, s2, v3
	v_add_co_ci_u32_e64 v4, null, s3, v4, vcc_lo
	global_load_dword v86, v[3:4], off
.LBB207_57:                             ;   in Loop: Header=BB207_53 Depth=1
	s_or_b32 exec_lo, exec_lo, s13
.LBB207_58:                             ;   in Loop: Header=BB207_53 Depth=1
	s_or_b32 exec_lo, exec_lo, s12
	v_add_co_u32 v10, vcc_lo, 0xffffff01, v83
	v_add_co_ci_u32_e64 v11, null, -1, v84, vcc_lo
	v_mov_b32_e32 v9, v2
	v_mov_b32_e32 v3, v2
	v_mov_b32_e32 v4, v2
	v_mov_b32_e32 v5, v2
	v_mov_b32_e32 v6, v2
	v_mov_b32_e32 v7, v2
	v_mov_b32_e32 v8, v2
	v_cmp_gt_i64_e32 vcc_lo, s[8:9], v[10:11]
	v_mov_b32_e32 v18, v9
	v_mov_b32_e32 v15, v6
	;; [unrolled: 1-line block ×16, first 2 shown]
	s_and_saveexec_b32 s12, vcc_lo
	s_cbranch_execz .LBB207_60
; %bb.59:                               ;   in Loop: Header=BB207_53 Depth=1
	v_add_co_u32 v3, vcc_lo, v50, v47
	v_add_co_ci_u32_e64 v4, null, v51, v48, vcc_lo
	v_add_co_u32 v5, vcc_lo, v52, v47
	v_add_co_ci_u32_e64 v6, null, v53, v48, vcc_lo
	global_load_ushort v3, v[3:4], off
	global_load_ushort v11, v[5:6], off
	v_mov_b32_e32 v4, v2
	v_mov_b32_e32 v5, v2
	;; [unrolled: 1-line block ×14, first 2 shown]
	s_waitcnt vmcnt(1)
	v_lshlrev_b32_e32 v3, 16, v3
	s_waitcnt vmcnt(0)
	v_lshlrev_b32_e32 v11, 16, v11
.LBB207_60:                             ;   in Loop: Header=BB207_53 Depth=1
	s_or_b32 exec_lo, exec_lo, s12
	v_add_co_u32 v87, vcc_lo, 0xffffff02, v83
	v_add_co_ci_u32_e64 v88, null, -1, v84, vcc_lo
	s_mov_b32 s12, exec_lo
	v_cmpx_gt_i64_e64 s[8:9], v[87:88]
	s_cbranch_execz .LBB207_62
; %bb.61:                               ;   in Loop: Header=BB207_53 Depth=1
	v_add_co_u32 v87, vcc_lo, v78, v47
	v_add_co_ci_u32_e64 v88, null, v79, v48, vcc_lo
	v_add_co_u32 v89, vcc_lo, v80, v47
	v_add_co_ci_u32_e64 v90, null, v81, v48, vcc_lo
	global_load_ushort v4, v[87:88], off
	global_load_ushort v12, v[89:90], off
	s_waitcnt vmcnt(1)
	v_lshlrev_b32_e32 v4, 16, v4
	s_waitcnt vmcnt(0)
	v_lshlrev_b32_e32 v12, 16, v12
.LBB207_62:                             ;   in Loop: Header=BB207_53 Depth=1
	s_or_b32 exec_lo, exec_lo, s12
	v_add_co_u32 v87, vcc_lo, 0xffffff03, v83
	v_add_co_ci_u32_e64 v88, null, -1, v84, vcc_lo
	s_mov_b32 s12, exec_lo
	v_cmpx_gt_i64_e64 s[8:9], v[87:88]
	s_cbranch_execz .LBB207_64
; %bb.63:                               ;   in Loop: Header=BB207_53 Depth=1
	v_add_co_u32 v87, vcc_lo, v74, v47
	v_add_co_ci_u32_e64 v88, null, v75, v48, vcc_lo
	v_add_co_u32 v89, vcc_lo, v76, v47
	v_add_co_ci_u32_e64 v90, null, v77, v48, vcc_lo
	global_load_ushort v5, v[87:88], off
	global_load_ushort v13, v[89:90], off
	s_waitcnt vmcnt(1)
	v_lshlrev_b32_e32 v5, 16, v5
	s_waitcnt vmcnt(0)
	v_lshlrev_b32_e32 v13, 16, v13
.LBB207_64:                             ;   in Loop: Header=BB207_53 Depth=1
	;; [unrolled: 18-line block ×7, first 2 shown]
	s_or_b32 exec_lo, exec_lo, s12
	s_waitcnt vmcnt(0)
	ds_bpermute_b32 v85, v2, v86
	ds_bpermute_b32 v87, v2, v86 offset:4
	ds_bpermute_b32 v88, v2, v86 offset:8
	v_mul_f32_e32 v3, v11, v3
	ds_bpermute_b32 v11, v2, v86 offset:12
	v_mul_f32_e32 v4, v12, v4
	ds_bpermute_b32 v12, v2, v86 offset:16
	s_mov_b32 s12, 0
	s_waitcnt lgkmcnt(4)
	v_fma_f32 v85, v3, v85, v82
	v_mul_f32_e32 v3, v13, v5
	ds_bpermute_b32 v5, v2, v86 offset:20
	s_waitcnt lgkmcnt(4)
	v_fmac_f32_e32 v85, v4, v87
	v_mul_f32_e32 v4, v14, v6
	ds_bpermute_b32 v6, v2, v86 offset:24
	s_waitcnt lgkmcnt(4)
	v_fmac_f32_e32 v85, v3, v88
	v_mul_f32_e32 v3, v15, v7
	v_mul_f32_e32 v7, v16, v8
	s_waitcnt lgkmcnt(3)
	v_fmac_f32_e32 v85, v4, v11
	ds_bpermute_b32 v4, v2, v86 offset:28
	s_waitcnt lgkmcnt(3)
	v_fmac_f32_e32 v85, v3, v12
	v_mul_f32_e32 v3, v17, v9
	s_waitcnt lgkmcnt(2)
	v_fmac_f32_e32 v85, v7, v5
	s_waitcnt lgkmcnt(1)
	v_fmac_f32_e32 v85, v3, v6
	v_mul_f32_e32 v3, v18, v10
	s_waitcnt lgkmcnt(0)
	v_fmac_f32_e32 v85, v3, v4
.LBB207_75:                             ;   in Loop: Header=BB207_53 Depth=1
	s_and_b32 vcc_lo, exec_lo, s12
	s_cbranch_vccz .LBB207_81
; %bb.76:                               ;   in Loop: Header=BB207_53 Depth=1
	s_load_dword s12, s[0:1], 0x0
	v_mov_b32_e32 v5, 0
	s_waitcnt lgkmcnt(0)
	s_cmp_lt_u32 s6, s12
	s_cselect_b32 s12, 12, 18
	s_add_u32 s12, s0, s12
	s_addc_u32 s13, s1, 0
	global_load_ushort v3, v2, s[12:13]
	s_mov_b32 s12, exec_lo
	s_waitcnt vmcnt(0)
	v_mad_u32_u24 v3, v1, v3, v0
	v_and_b32_e32 v3, 31, v3
	v_cmpx_gt_u32_e32 8, v3
	s_cbranch_execz .LBB207_80
; %bb.77:                               ;   in Loop: Header=BB207_53 Depth=1
	v_add_co_u32 v3, vcc_lo, v83, v3
	v_add_co_ci_u32_e64 v4, null, 0, v84, vcc_lo
	v_mov_b32_e32 v5, 0
	v_add_co_u32 v3, vcc_lo, 0xffffff01, v3
	v_add_co_ci_u32_e64 v4, null, -1, v4, vcc_lo
	s_mov_b32 s13, exec_lo
	v_cmpx_gt_i64_e64 s[8:9], v[3:4]
	s_cbranch_execz .LBB207_79
; %bb.78:                               ;   in Loop: Header=BB207_53 Depth=1
	v_lshlrev_b64 v[3:4], 2, v[3:4]
	v_add_co_u32 v3, vcc_lo, s2, v3
	v_add_co_ci_u32_e64 v4, null, s3, v4, vcc_lo
	global_load_dword v5, v[3:4], off
.LBB207_79:                             ;   in Loop: Header=BB207_53 Depth=1
	s_or_b32 exec_lo, exec_lo, s13
.LBB207_80:                             ;   in Loop: Header=BB207_53 Depth=1
	s_or_b32 exec_lo, exec_lo, s12
	v_add_co_u32 v3, vcc_lo, v50, v47
	v_add_co_ci_u32_e64 v4, null, v51, v48, vcc_lo
	v_add_co_u32 v6, vcc_lo, v52, v47
	v_add_co_ci_u32_e64 v7, null, v53, v48, vcc_lo
	;; [unrolled: 2-line block ×4, first 2 shown]
	global_load_ushort v14, v[3:4], off
	global_load_ushort v15, v[6:7], off
	;; [unrolled: 1-line block ×4, first 2 shown]
	v_add_co_u32 v3, vcc_lo, v21, v47
	v_add_co_ci_u32_e64 v4, null, v22, v48, vcc_lo
	v_add_co_u32 v6, vcc_lo, v35, v47
	v_add_co_ci_u32_e64 v7, null, v36, v48, vcc_lo
	global_load_ushort v18, v[3:4], off
	v_add_co_u32 v3, vcc_lo, v23, v47
	v_add_co_ci_u32_e64 v4, null, v24, v48, vcc_lo
	v_add_co_u32 v8, vcc_lo, v37, v47
	v_add_co_ci_u32_e64 v9, null, v38, v48, vcc_lo
	;; [unrolled: 2-line block ×4, first 2 shown]
	global_load_ushort v83, v[6:7], off
	global_load_ushort v84, v[3:4], off
	;; [unrolled: 1-line block ×5, first 2 shown]
	v_add_co_u32 v3, vcc_lo, v27, v47
	v_add_co_ci_u32_e64 v4, null, v28, v48, vcc_lo
	v_add_co_u32 v6, vcc_lo, v41, v47
	v_add_co_ci_u32_e64 v7, null, v42, v48, vcc_lo
	;; [unrolled: 2-line block ×4, first 2 shown]
	global_load_ushort v13, v[3:4], off
	global_load_ushort v87, v[6:7], off
	;; [unrolled: 1-line block ×4, first 2 shown]
	v_add_co_u32 v3, vcc_lo, v45, v47
	v_add_co_ci_u32_e64 v4, null, v46, v48, vcc_lo
	v_add_co_u32 v6, vcc_lo, v31, v47
	v_add_co_ci_u32_e64 v7, null, v32, v48, vcc_lo
	global_load_ushort v3, v[3:4], off
	global_load_ushort v4, v[6:7], off
	s_waitcnt vmcnt(16)
	ds_bpermute_b32 v6, v2, v5
	ds_bpermute_b32 v7, v2, v5 offset:4
	ds_bpermute_b32 v10, v2, v5 offset:8
	s_waitcnt vmcnt(15)
	v_lshlrev_b32_e32 v14, 16, v14
	s_waitcnt vmcnt(14)
	v_lshlrev_b32_e32 v11, 16, v15
	ds_bpermute_b32 v15, v2, v5 offset:12
	s_waitcnt vmcnt(12)
	v_lshlrev_b32_e32 v17, 16, v17
	v_lshlrev_b32_e32 v16, 16, v16
	v_mul_f32_e32 v11, v14, v11
	ds_bpermute_b32 v14, v2, v5 offset:16
	v_mul_f32_e32 v16, v16, v17
	s_waitcnt lgkmcnt(4)
	v_fmac_f32_e32 v82, v11, v6
	s_waitcnt vmcnt(11)
	v_lshlrev_b32_e32 v18, 16, v18
	ds_bpermute_b32 v6, v2, v5 offset:20
	s_waitcnt lgkmcnt(4)
	v_fmac_f32_e32 v82, v16, v7
	ds_bpermute_b32 v7, v2, v5 offset:24
	ds_bpermute_b32 v5, v2, v5 offset:28
	s_waitcnt vmcnt(10)
	v_lshlrev_b32_e32 v83, 16, v83
	s_waitcnt vmcnt(9)
	v_lshlrev_b32_e32 v17, 16, v84
	;; [unrolled: 2-line block ×5, first 2 shown]
	v_mul_f32_e32 v18, v18, v83
	v_mul_f32_e32 v11, v17, v11
	;; [unrolled: 1-line block ×3, first 2 shown]
	s_waitcnt lgkmcnt(5)
	v_fmac_f32_e32 v82, v18, v10
	s_waitcnt lgkmcnt(4)
	v_fmac_f32_e32 v82, v11, v15
	s_waitcnt vmcnt(5)
	v_lshlrev_b32_e32 v13, 16, v13
	s_waitcnt vmcnt(4)
	v_lshlrev_b32_e32 v10, 16, v87
	s_waitcnt vmcnt(3)
	v_lshlrev_b32_e32 v8, 16, v8
	s_waitcnt vmcnt(2)
	v_lshlrev_b32_e32 v9, 16, v9
	s_waitcnt lgkmcnt(3)
	v_fmac_f32_e32 v82, v12, v14
	v_mul_f32_e32 v10, v13, v10
	v_mul_f32_e32 v8, v8, v9
	s_waitcnt lgkmcnt(2)
	v_fmac_f32_e32 v82, v10, v6
	s_waitcnt vmcnt(1)
	v_lshlrev_b32_e32 v3, 16, v3
	s_waitcnt vmcnt(0)
	v_lshlrev_b32_e32 v4, 16, v4
	s_waitcnt lgkmcnt(1)
	v_fmac_f32_e32 v82, v8, v7
	v_mul_f32_e32 v3, v4, v3
	s_waitcnt lgkmcnt(0)
	v_fmac_f32_e32 v82, v3, v5
	v_mov_b32_e32 v85, v82
.LBB207_81:                             ;   in Loop: Header=BB207_53 Depth=1
	v_add_co_u32 v50, vcc_lo, v50, s18
	v_add_co_ci_u32_e64 v51, null, s19, v51, vcc_lo
	v_add_co_u32 v52, vcc_lo, v52, s18
	v_add_co_ci_u32_e64 v53, null, s19, v53, vcc_lo
	;; [unrolled: 2-line block ×26, first 2 shown]
	v_add_co_u32 v74, vcc_lo, v74, s18
	s_add_u32 s16, s16, s7
	v_add_co_ci_u32_e64 v75, null, s19, v75, vcc_lo
	v_add_co_u32 v76, vcc_lo, v76, s18
	s_addc_u32 s17, s17, 0
	v_add_co_ci_u32_e64 v77, null, s19, v77, vcc_lo
	v_add_co_u32 v78, vcc_lo, v78, s18
	v_cmp_ge_i64_e64 s12, s[16:17], s[8:9]
	v_add_co_ci_u32_e64 v79, null, s19, v79, vcc_lo
	v_add_co_u32 v80, vcc_lo, v80, s18
	v_add_co_ci_u32_e64 v81, null, s19, v81, vcc_lo
	s_add_u32 s20, s20, s7
	s_addc_u32 s21, s21, 0
	s_and_b32 vcc_lo, exec_lo, s12
	s_cbranch_vccnz .LBB207_83
; %bb.82:                               ;   in Loop: Header=BB207_53 Depth=1
	v_mov_b32_e32 v82, v85
	s_branch .LBB207_53
.LBB207_83:
	v_mad_u32_u24 v2, v1, 33, v0
	v_lshrrev_b32_e32 v3, 5, v0
	s_mov_b32 s7, 0
	s_mov_b32 s0, exec_lo
	v_lshl_add_u32 v2, v2, 2, 0
	v_add_nc_u32_e32 v1, v3, v1
	v_mov_b32_e32 v3, 0
	ds_write_b32 v2, v85
	ds_write_b32 v2, v3 offset:4224
	s_waitcnt lgkmcnt(0)
	s_barrier
	buffer_gl0_inv
	v_cmpx_gt_u32_e32 32, v1
	s_cbranch_execz .LBB207_86
; %bb.84:
	v_and_b32_e32 v2, 31, v0
	v_lshlrev_b32_e32 v3, 2, v1
	s_load_dwordx2 s[2:3], s[4:5], 0x30
	s_lshl_b64 s[0:1], s[6:7], 5
	v_or_b32_e32 v1, s0, v1
	v_mul_u32_u24_e32 v2, 0x84, v2
	v_cmp_eq_u32_e64 s0, 0, v0
	v_add3_u32 v2, 0, v3, v2
	v_mbcnt_lo_u32_b32 v3, -1, 0
	ds_read_b32 v2, v2
	v_xor_b32_e32 v4, 16, v3
	v_xor_b32_e32 v5, 8, v3
	v_cmp_gt_i32_e32 vcc_lo, 32, v4
	s_waitcnt lgkmcnt(0)
	s_cmp_lg_u64 s[2:3], 0
	v_cndmask_b32_e32 v4, v3, v4, vcc_lo
	v_cmp_gt_i32_e32 vcc_lo, 32, v5
	v_lshlrev_b32_e32 v4, 2, v4
	v_cndmask_b32_e32 v5, v3, v5, vcc_lo
	ds_bpermute_b32 v4, v4, v2
	v_lshlrev_b32_e32 v5, 2, v5
	s_waitcnt lgkmcnt(0)
	v_add_f32_e32 v2, v2, v4
	ds_bpermute_b32 v4, v5, v2
	v_xor_b32_e32 v5, 4, v3
	v_cmp_gt_i32_e32 vcc_lo, 32, v5
	v_cndmask_b32_e32 v5, v3, v5, vcc_lo
	v_lshlrev_b32_e32 v5, 2, v5
	s_waitcnt lgkmcnt(0)
	v_add_f32_e32 v2, v2, v4
	ds_bpermute_b32 v4, v5, v2
	v_xor_b32_e32 v5, 2, v3
	v_cmp_gt_i32_e32 vcc_lo, 32, v5
	v_cndmask_b32_e32 v5, v3, v5, vcc_lo
	;; [unrolled: 7-line block ×3, first 2 shown]
	s_waitcnt lgkmcnt(0)
	v_add_f32_e32 v3, v2, v4
	v_lshlrev_b32_e32 v2, 2, v5
	ds_bpermute_b32 v4, v2, v3
	v_mov_b32_e32 v2, s1
	s_cselect_b32 s1, -1, 0
	v_cmp_gt_i64_e32 vcc_lo, s[10:11], v[1:2]
	s_and_b32 s0, s0, vcc_lo
	s_and_b32 s0, s1, s0
	s_and_b32 exec_lo, exec_lo, s0
	s_cbranch_execz .LBB207_86
; %bb.85:
	s_waitcnt lgkmcnt(0)
	v_add_f32_e32 v0, v3, v4
	v_mov_b32_e32 v4, 0x7fc0
	v_bfe_u32 v3, v0, 16, 1
	v_cmp_o_f32_e32 vcc_lo, v0, v0
	v_add3_u32 v3, v0, v3, 0x7fff
	v_lshlrev_b64 v[0:1], 1, v[1:2]
	v_cndmask_b32_sdwa v2, v4, v3, vcc_lo dst_sel:DWORD dst_unused:UNUSED_PAD src0_sel:DWORD src1_sel:WORD_1
	v_add_co_u32 v0, vcc_lo, s2, v0
	v_add_co_ci_u32_e64 v1, null, s3, v1, vcc_lo
	global_store_short v[0:1], v2, off
.LBB207_86:
	s_endpgm
	.section	.rodata,"a",@progbits
	.p2align	6, 0x0
	.amdhsa_kernel _ZN2at6native12_GLOBAL__N_135GammaBetaBackwardCUDAKernelTemplateIN3c108BFloat16EfLj32ELj32ELj256ELb0ELb0ELb1EEEvllPKT_S7_PKT0_SA_PS5_SB_
		.amdhsa_group_segment_fixed_size 0
		.amdhsa_private_segment_fixed_size 0
		.amdhsa_kernarg_size 320
		.amdhsa_user_sgpr_count 6
		.amdhsa_user_sgpr_private_segment_buffer 1
		.amdhsa_user_sgpr_dispatch_ptr 0
		.amdhsa_user_sgpr_queue_ptr 0
		.amdhsa_user_sgpr_kernarg_segment_ptr 1
		.amdhsa_user_sgpr_dispatch_id 0
		.amdhsa_user_sgpr_flat_scratch_init 0
		.amdhsa_user_sgpr_private_segment_size 0
		.amdhsa_wavefront_size32 1
		.amdhsa_uses_dynamic_stack 0
		.amdhsa_system_sgpr_private_segment_wavefront_offset 0
		.amdhsa_system_sgpr_workgroup_id_x 1
		.amdhsa_system_sgpr_workgroup_id_y 1
		.amdhsa_system_sgpr_workgroup_id_z 0
		.amdhsa_system_sgpr_workgroup_info 0
		.amdhsa_system_vgpr_workitem_id 1
		.amdhsa_next_free_vgpr 91
		.amdhsa_next_free_sgpr 30
		.amdhsa_reserve_vcc 1
		.amdhsa_reserve_flat_scratch 0
		.amdhsa_float_round_mode_32 0
		.amdhsa_float_round_mode_16_64 0
		.amdhsa_float_denorm_mode_32 3
		.amdhsa_float_denorm_mode_16_64 3
		.amdhsa_dx10_clamp 1
		.amdhsa_ieee_mode 1
		.amdhsa_fp16_overflow 0
		.amdhsa_workgroup_processor_mode 1
		.amdhsa_memory_ordered 1
		.amdhsa_forward_progress 1
		.amdhsa_shared_vgpr_count 0
		.amdhsa_exception_fp_ieee_invalid_op 0
		.amdhsa_exception_fp_denorm_src 0
		.amdhsa_exception_fp_ieee_div_zero 0
		.amdhsa_exception_fp_ieee_overflow 0
		.amdhsa_exception_fp_ieee_underflow 0
		.amdhsa_exception_fp_ieee_inexact 0
		.amdhsa_exception_int_div_zero 0
	.end_amdhsa_kernel
	.section	.text._ZN2at6native12_GLOBAL__N_135GammaBetaBackwardCUDAKernelTemplateIN3c108BFloat16EfLj32ELj32ELj256ELb0ELb0ELb1EEEvllPKT_S7_PKT0_SA_PS5_SB_,"axG",@progbits,_ZN2at6native12_GLOBAL__N_135GammaBetaBackwardCUDAKernelTemplateIN3c108BFloat16EfLj32ELj32ELj256ELb0ELb0ELb1EEEvllPKT_S7_PKT0_SA_PS5_SB_,comdat
.Lfunc_end207:
	.size	_ZN2at6native12_GLOBAL__N_135GammaBetaBackwardCUDAKernelTemplateIN3c108BFloat16EfLj32ELj32ELj256ELb0ELb0ELb1EEEvllPKT_S7_PKT0_SA_PS5_SB_, .Lfunc_end207-_ZN2at6native12_GLOBAL__N_135GammaBetaBackwardCUDAKernelTemplateIN3c108BFloat16EfLj32ELj32ELj256ELb0ELb0ELb1EEEvllPKT_S7_PKT0_SA_PS5_SB_
                                        ; -- End function
	.set _ZN2at6native12_GLOBAL__N_135GammaBetaBackwardCUDAKernelTemplateIN3c108BFloat16EfLj32ELj32ELj256ELb0ELb0ELb1EEEvllPKT_S7_PKT0_SA_PS5_SB_.num_vgpr, 91
	.set _ZN2at6native12_GLOBAL__N_135GammaBetaBackwardCUDAKernelTemplateIN3c108BFloat16EfLj32ELj32ELj256ELb0ELb0ELb1EEEvllPKT_S7_PKT0_SA_PS5_SB_.num_agpr, 0
	.set _ZN2at6native12_GLOBAL__N_135GammaBetaBackwardCUDAKernelTemplateIN3c108BFloat16EfLj32ELj32ELj256ELb0ELb0ELb1EEEvllPKT_S7_PKT0_SA_PS5_SB_.numbered_sgpr, 30
	.set _ZN2at6native12_GLOBAL__N_135GammaBetaBackwardCUDAKernelTemplateIN3c108BFloat16EfLj32ELj32ELj256ELb0ELb0ELb1EEEvllPKT_S7_PKT0_SA_PS5_SB_.num_named_barrier, 0
	.set _ZN2at6native12_GLOBAL__N_135GammaBetaBackwardCUDAKernelTemplateIN3c108BFloat16EfLj32ELj32ELj256ELb0ELb0ELb1EEEvllPKT_S7_PKT0_SA_PS5_SB_.private_seg_size, 0
	.set _ZN2at6native12_GLOBAL__N_135GammaBetaBackwardCUDAKernelTemplateIN3c108BFloat16EfLj32ELj32ELj256ELb0ELb0ELb1EEEvllPKT_S7_PKT0_SA_PS5_SB_.uses_vcc, 1
	.set _ZN2at6native12_GLOBAL__N_135GammaBetaBackwardCUDAKernelTemplateIN3c108BFloat16EfLj32ELj32ELj256ELb0ELb0ELb1EEEvllPKT_S7_PKT0_SA_PS5_SB_.uses_flat_scratch, 0
	.set _ZN2at6native12_GLOBAL__N_135GammaBetaBackwardCUDAKernelTemplateIN3c108BFloat16EfLj32ELj32ELj256ELb0ELb0ELb1EEEvllPKT_S7_PKT0_SA_PS5_SB_.has_dyn_sized_stack, 0
	.set _ZN2at6native12_GLOBAL__N_135GammaBetaBackwardCUDAKernelTemplateIN3c108BFloat16EfLj32ELj32ELj256ELb0ELb0ELb1EEEvllPKT_S7_PKT0_SA_PS5_SB_.has_recursion, 0
	.set _ZN2at6native12_GLOBAL__N_135GammaBetaBackwardCUDAKernelTemplateIN3c108BFloat16EfLj32ELj32ELj256ELb0ELb0ELb1EEEvllPKT_S7_PKT0_SA_PS5_SB_.has_indirect_call, 0
	.section	.AMDGPU.csdata,"",@progbits
; Kernel info:
; codeLenInByte = 8016
; TotalNumSgprs: 32
; NumVgprs: 91
; ScratchSize: 0
; MemoryBound: 0
; FloatMode: 240
; IeeeMode: 1
; LDSByteSize: 0 bytes/workgroup (compile time only)
; SGPRBlocks: 0
; VGPRBlocks: 11
; NumSGPRsForWavesPerEU: 32
; NumVGPRsForWavesPerEU: 91
; Occupancy: 10
; WaveLimiterHint : 0
; COMPUTE_PGM_RSRC2:SCRATCH_EN: 0
; COMPUTE_PGM_RSRC2:USER_SGPR: 6
; COMPUTE_PGM_RSRC2:TRAP_HANDLER: 0
; COMPUTE_PGM_RSRC2:TGID_X_EN: 1
; COMPUTE_PGM_RSRC2:TGID_Y_EN: 1
; COMPUTE_PGM_RSRC2:TGID_Z_EN: 0
; COMPUTE_PGM_RSRC2:TIDIG_COMP_CNT: 1
	.section	.AMDGPU.gpr_maximums,"",@progbits
	.set amdgpu.max_num_vgpr, 0
	.set amdgpu.max_num_agpr, 0
	.set amdgpu.max_num_sgpr, 0
	.section	.AMDGPU.csdata,"",@progbits
	.type	__hip_cuid_8c3f11bd016b59b4,@object ; @__hip_cuid_8c3f11bd016b59b4
	.section	.bss,"aw",@nobits
	.globl	__hip_cuid_8c3f11bd016b59b4
__hip_cuid_8c3f11bd016b59b4:
	.byte	0                               ; 0x0
	.size	__hip_cuid_8c3f11bd016b59b4, 1

	.ident	"AMD clang version 22.0.0git (https://github.com/RadeonOpenCompute/llvm-project roc-7.2.4 26084 f58b06dce1f9c15707c5f808fd002e18c2accf7e)"
	.section	".note.GNU-stack","",@progbits
	.addrsig
	.addrsig_sym __hip_cuid_8c3f11bd016b59b4
	.amdgpu_metadata
---
amdhsa.kernels:
  - .args:
      - .offset:         0
        .size:           4
        .value_kind:     by_value
      - .offset:         8
        .size:           8
        .value_kind:     by_value
      - .actual_access:  read_only
        .address_space:  global
        .offset:         16
        .size:           8
        .value_kind:     global_buffer
      - .address_space:  global
        .offset:         24
        .size:           8
        .value_kind:     global_buffer
      - .address_space:  global
        .offset:         32
        .size:           8
        .value_kind:     global_buffer
      - .address_space:  global
        .offset:         40
        .size:           8
        .value_kind:     global_buffer
      - .address_space:  global
        .offset:         48
        .size:           8
        .value_kind:     global_buffer
      - .address_space:  global
        .offset:         56
        .size:           8
        .value_kind:     global_buffer
    .group_segment_fixed_size: 0
    .kernarg_segment_align: 8
    .kernarg_segment_size: 64
    .language:       OpenCL C
    .language_version:
      - 2
      - 0
    .max_flat_workgroup_size: 1024
    .name:           _ZN2at6native12_GLOBAL__N_128vectorized_layer_norm_kernelIddLb0EEEviT0_PKT_S6_S6_PS3_S7_PS4_
    .private_segment_fixed_size: 0
    .sgpr_count:     0
    .sgpr_spill_count: 0
    .symbol:         _ZN2at6native12_GLOBAL__N_128vectorized_layer_norm_kernelIddLb0EEEviT0_PKT_S6_S6_PS3_S7_PS4_.kd
    .uniform_work_group_size: 1
    .uses_dynamic_stack: false
    .vgpr_count:     0
    .vgpr_spill_count: 0
    .wavefront_size: 32
    .workgroup_processor_mode: 1
  - .args:
      - .offset:         0
        .size:           8
        .value_kind:     by_value
      - .offset:         8
        .size:           8
        .value_kind:     by_value
      - .address_space:  global
        .offset:         16
        .size:           8
        .value_kind:     global_buffer
      - .address_space:  global
        .offset:         24
        .size:           8
        .value_kind:     global_buffer
      - .address_space:  global
        .offset:         32
        .size:           8
        .value_kind:     global_buffer
      - .offset:         40
        .size:           4
        .value_kind:     hidden_block_count_x
      - .offset:         44
        .size:           4
        .value_kind:     hidden_block_count_y
      - .offset:         48
        .size:           4
        .value_kind:     hidden_block_count_z
      - .offset:         52
        .size:           2
        .value_kind:     hidden_group_size_x
      - .offset:         54
        .size:           2
        .value_kind:     hidden_group_size_y
      - .offset:         56
        .size:           2
        .value_kind:     hidden_group_size_z
      - .offset:         58
        .size:           2
        .value_kind:     hidden_remainder_x
      - .offset:         60
        .size:           2
        .value_kind:     hidden_remainder_y
      - .offset:         62
        .size:           2
        .value_kind:     hidden_remainder_z
      - .offset:         80
        .size:           8
        .value_kind:     hidden_global_offset_x
      - .offset:         88
        .size:           8
        .value_kind:     hidden_global_offset_y
      - .offset:         96
        .size:           8
        .value_kind:     hidden_global_offset_z
      - .offset:         104
        .size:           2
        .value_kind:     hidden_grid_dims
    .group_segment_fixed_size: 1024
    .kernarg_segment_align: 8
    .kernarg_segment_size: 296
    .language:       OpenCL C
    .language_version:
      - 2
      - 0
    .max_flat_workgroup_size: 1024
    .name:           _ZN2at6native12_GLOBAL__N_124RowwiseMomentsCUDAKernelIddLb0EEEvlT0_PKT_PS3_S7_
    .private_segment_fixed_size: 0
    .sgpr_count:     22
    .sgpr_spill_count: 0
    .symbol:         _ZN2at6native12_GLOBAL__N_124RowwiseMomentsCUDAKernelIddLb0EEEvlT0_PKT_PS3_S7_.kd
    .uniform_work_group_size: 1
    .uses_dynamic_stack: false
    .vgpr_count:     30
    .vgpr_spill_count: 0
    .wavefront_size: 32
    .workgroup_processor_mode: 1
  - .args:
      - .offset:         0
        .size:           8
        .value_kind:     by_value
      - .address_space:  global
        .offset:         8
        .size:           8
        .value_kind:     global_buffer
      - .address_space:  global
        .offset:         16
        .size:           8
        .value_kind:     global_buffer
      - .address_space:  global
        .offset:         24
        .size:           8
        .value_kind:     global_buffer
      - .address_space:  global
        .offset:         32
        .size:           8
        .value_kind:     global_buffer
      - .address_space:  global
        .offset:         40
        .size:           8
        .value_kind:     global_buffer
      - .address_space:  global
        .offset:         48
        .size:           8
        .value_kind:     global_buffer
      - .offset:         56
        .size:           4
        .value_kind:     hidden_block_count_x
      - .offset:         60
        .size:           4
        .value_kind:     hidden_block_count_y
      - .offset:         64
        .size:           4
        .value_kind:     hidden_block_count_z
      - .offset:         68
        .size:           2
        .value_kind:     hidden_group_size_x
      - .offset:         70
        .size:           2
        .value_kind:     hidden_group_size_y
      - .offset:         72
        .size:           2
        .value_kind:     hidden_group_size_z
      - .offset:         74
        .size:           2
        .value_kind:     hidden_remainder_x
      - .offset:         76
        .size:           2
        .value_kind:     hidden_remainder_y
      - .offset:         78
        .size:           2
        .value_kind:     hidden_remainder_z
      - .offset:         96
        .size:           8
        .value_kind:     hidden_global_offset_x
      - .offset:         104
        .size:           8
        .value_kind:     hidden_global_offset_y
      - .offset:         112
        .size:           8
        .value_kind:     hidden_global_offset_z
      - .offset:         120
        .size:           2
        .value_kind:     hidden_grid_dims
    .group_segment_fixed_size: 0
    .kernarg_segment_align: 8
    .kernarg_segment_size: 312
    .language:       OpenCL C
    .language_version:
      - 2
      - 0
    .max_flat_workgroup_size: 1024
    .name:           _ZN2at6native12_GLOBAL__N_126LayerNormForwardCUDAKernelIddLb0EEEvlPKT_PKT0_S8_S5_S5_PS3_
    .private_segment_fixed_size: 0
    .sgpr_count:     28
    .sgpr_spill_count: 0
    .symbol:         _ZN2at6native12_GLOBAL__N_126LayerNormForwardCUDAKernelIddLb0EEEvlPKT_PKT0_S8_S5_S5_PS3_.kd
    .uniform_work_group_size: 1
    .uses_dynamic_stack: false
    .vgpr_count:     16
    .vgpr_spill_count: 0
    .wavefront_size: 32
    .workgroup_processor_mode: 1
  - .args:
      - .offset:         0
        .size:           4
        .value_kind:     by_value
      - .offset:         4
        .size:           4
        .value_kind:     by_value
      - .actual_access:  read_only
        .address_space:  global
        .offset:         8
        .size:           8
        .value_kind:     global_buffer
      - .address_space:  global
        .offset:         16
        .size:           8
        .value_kind:     global_buffer
      - .address_space:  global
        .offset:         24
        .size:           8
        .value_kind:     global_buffer
      - .address_space:  global
        .offset:         32
        .size:           8
        .value_kind:     global_buffer
      - .address_space:  global
        .offset:         40
        .size:           8
        .value_kind:     global_buffer
      - .address_space:  global
        .offset:         48
        .size:           8
        .value_kind:     global_buffer
      - .offset:         56
        .size:           4
        .value_kind:     hidden_block_count_x
      - .offset:         60
        .size:           4
        .value_kind:     hidden_block_count_y
      - .offset:         64
        .size:           4
        .value_kind:     hidden_block_count_z
      - .offset:         68
        .size:           2
        .value_kind:     hidden_group_size_x
      - .offset:         70
        .size:           2
        .value_kind:     hidden_group_size_y
      - .offset:         72
        .size:           2
        .value_kind:     hidden_group_size_z
      - .offset:         74
        .size:           2
        .value_kind:     hidden_remainder_x
      - .offset:         76
        .size:           2
        .value_kind:     hidden_remainder_y
      - .offset:         78
        .size:           2
        .value_kind:     hidden_remainder_z
      - .offset:         96
        .size:           8
        .value_kind:     hidden_global_offset_x
      - .offset:         104
        .size:           8
        .value_kind:     hidden_global_offset_y
      - .offset:         112
        .size:           8
        .value_kind:     hidden_global_offset_z
      - .offset:         120
        .size:           2
        .value_kind:     hidden_grid_dims
      - .offset:         176
        .size:           4
        .value_kind:     hidden_dynamic_lds_size
    .group_segment_fixed_size: 0
    .kernarg_segment_align: 8
    .kernarg_segment_size: 312
    .language:       OpenCL C
    .language_version:
      - 2
      - 0
    .max_flat_workgroup_size: 1024
    .name:           _ZN2at6native12_GLOBAL__N_128vectorized_layer_norm_kernelIffLb0EEEviT0_PKT_S6_S6_PS3_S7_PS4_
    .private_segment_fixed_size: 0
    .sgpr_count:     28
    .sgpr_spill_count: 0
    .symbol:         _ZN2at6native12_GLOBAL__N_128vectorized_layer_norm_kernelIffLb0EEEviT0_PKT_S6_S6_PS3_S7_PS4_.kd
    .uniform_work_group_size: 1
    .uses_dynamic_stack: false
    .vgpr_count:     34
    .vgpr_spill_count: 0
    .wavefront_size: 32
    .workgroup_processor_mode: 1
  - .args:
      - .offset:         0
        .size:           8
        .value_kind:     by_value
      - .offset:         8
        .size:           4
        .value_kind:     by_value
      - .address_space:  global
        .offset:         16
        .size:           8
        .value_kind:     global_buffer
      - .address_space:  global
        .offset:         24
        .size:           8
        .value_kind:     global_buffer
      - .address_space:  global
        .offset:         32
        .size:           8
        .value_kind:     global_buffer
      - .offset:         40
        .size:           4
        .value_kind:     hidden_block_count_x
      - .offset:         44
        .size:           4
        .value_kind:     hidden_block_count_y
      - .offset:         48
        .size:           4
        .value_kind:     hidden_block_count_z
      - .offset:         52
        .size:           2
        .value_kind:     hidden_group_size_x
      - .offset:         54
        .size:           2
        .value_kind:     hidden_group_size_y
      - .offset:         56
        .size:           2
        .value_kind:     hidden_group_size_z
      - .offset:         58
        .size:           2
        .value_kind:     hidden_remainder_x
      - .offset:         60
        .size:           2
        .value_kind:     hidden_remainder_y
      - .offset:         62
        .size:           2
        .value_kind:     hidden_remainder_z
      - .offset:         80
        .size:           8
        .value_kind:     hidden_global_offset_x
      - .offset:         88
        .size:           8
        .value_kind:     hidden_global_offset_y
      - .offset:         96
        .size:           8
        .value_kind:     hidden_global_offset_z
      - .offset:         104
        .size:           2
        .value_kind:     hidden_grid_dims
    .group_segment_fixed_size: 768
    .kernarg_segment_align: 8
    .kernarg_segment_size: 296
    .language:       OpenCL C
    .language_version:
      - 2
      - 0
    .max_flat_workgroup_size: 1024
    .name:           _ZN2at6native12_GLOBAL__N_124RowwiseMomentsCUDAKernelIffLb0EEEvlT0_PKT_PS3_S7_
    .private_segment_fixed_size: 0
    .sgpr_count:     22
    .sgpr_spill_count: 0
    .symbol:         _ZN2at6native12_GLOBAL__N_124RowwiseMomentsCUDAKernelIffLb0EEEvlT0_PKT_PS3_S7_.kd
    .uniform_work_group_size: 1
    .uses_dynamic_stack: false
    .vgpr_count:     18
    .vgpr_spill_count: 0
    .wavefront_size: 32
    .workgroup_processor_mode: 1
  - .args:
      - .offset:         0
        .size:           8
        .value_kind:     by_value
      - .address_space:  global
        .offset:         8
        .size:           8
        .value_kind:     global_buffer
      - .address_space:  global
        .offset:         16
        .size:           8
        .value_kind:     global_buffer
      - .address_space:  global
        .offset:         24
        .size:           8
        .value_kind:     global_buffer
      - .address_space:  global
        .offset:         32
        .size:           8
        .value_kind:     global_buffer
      - .address_space:  global
        .offset:         40
        .size:           8
        .value_kind:     global_buffer
      - .address_space:  global
        .offset:         48
        .size:           8
        .value_kind:     global_buffer
      - .offset:         56
        .size:           4
        .value_kind:     hidden_block_count_x
      - .offset:         60
        .size:           4
        .value_kind:     hidden_block_count_y
      - .offset:         64
        .size:           4
        .value_kind:     hidden_block_count_z
      - .offset:         68
        .size:           2
        .value_kind:     hidden_group_size_x
      - .offset:         70
        .size:           2
        .value_kind:     hidden_group_size_y
      - .offset:         72
        .size:           2
        .value_kind:     hidden_group_size_z
      - .offset:         74
        .size:           2
        .value_kind:     hidden_remainder_x
      - .offset:         76
        .size:           2
        .value_kind:     hidden_remainder_y
      - .offset:         78
        .size:           2
        .value_kind:     hidden_remainder_z
      - .offset:         96
        .size:           8
        .value_kind:     hidden_global_offset_x
      - .offset:         104
        .size:           8
        .value_kind:     hidden_global_offset_y
      - .offset:         112
        .size:           8
        .value_kind:     hidden_global_offset_z
      - .offset:         120
        .size:           2
        .value_kind:     hidden_grid_dims
    .group_segment_fixed_size: 0
    .kernarg_segment_align: 8
    .kernarg_segment_size: 312
    .language:       OpenCL C
    .language_version:
      - 2
      - 0
    .max_flat_workgroup_size: 1024
    .name:           _ZN2at6native12_GLOBAL__N_126LayerNormForwardCUDAKernelIffLb0EEEvlPKT_PKT0_S8_S5_S5_PS3_
    .private_segment_fixed_size: 0
    .sgpr_count:     28
    .sgpr_spill_count: 0
    .symbol:         _ZN2at6native12_GLOBAL__N_126LayerNormForwardCUDAKernelIffLb0EEEvlPKT_PKT0_S8_S5_S5_PS3_.kd
    .uniform_work_group_size: 1
    .uses_dynamic_stack: false
    .vgpr_count:     10
    .vgpr_spill_count: 0
    .wavefront_size: 32
    .workgroup_processor_mode: 1
  - .args:
      - .offset:         0
        .size:           4
        .value_kind:     by_value
      - .offset:         4
        .size:           4
        .value_kind:     by_value
      - .actual_access:  read_only
        .address_space:  global
        .offset:         8
        .size:           8
        .value_kind:     global_buffer
      - .address_space:  global
        .offset:         16
        .size:           8
        .value_kind:     global_buffer
      - .address_space:  global
        .offset:         24
        .size:           8
        .value_kind:     global_buffer
      - .address_space:  global
        .offset:         32
        .size:           8
        .value_kind:     global_buffer
      - .address_space:  global
        .offset:         40
        .size:           8
        .value_kind:     global_buffer
      - .address_space:  global
        .offset:         48
        .size:           8
        .value_kind:     global_buffer
      - .offset:         56
        .size:           4
        .value_kind:     hidden_block_count_x
      - .offset:         60
        .size:           4
        .value_kind:     hidden_block_count_y
      - .offset:         64
        .size:           4
        .value_kind:     hidden_block_count_z
      - .offset:         68
        .size:           2
        .value_kind:     hidden_group_size_x
      - .offset:         70
        .size:           2
        .value_kind:     hidden_group_size_y
      - .offset:         72
        .size:           2
        .value_kind:     hidden_group_size_z
      - .offset:         74
        .size:           2
        .value_kind:     hidden_remainder_x
      - .offset:         76
        .size:           2
        .value_kind:     hidden_remainder_y
      - .offset:         78
        .size:           2
        .value_kind:     hidden_remainder_z
      - .offset:         96
        .size:           8
        .value_kind:     hidden_global_offset_x
      - .offset:         104
        .size:           8
        .value_kind:     hidden_global_offset_y
      - .offset:         112
        .size:           8
        .value_kind:     hidden_global_offset_z
      - .offset:         120
        .size:           2
        .value_kind:     hidden_grid_dims
      - .offset:         176
        .size:           4
        .value_kind:     hidden_dynamic_lds_size
    .group_segment_fixed_size: 0
    .kernarg_segment_align: 8
    .kernarg_segment_size: 312
    .language:       OpenCL C
    .language_version:
      - 2
      - 0
    .max_flat_workgroup_size: 1024
    .name:           _ZN2at6native12_GLOBAL__N_128vectorized_layer_norm_kernelIN3c104HalfEfLb0EEEviT0_PKT_S8_S8_PS5_S9_PS6_
    .private_segment_fixed_size: 0
    .sgpr_count:     27
    .sgpr_spill_count: 0
    .symbol:         _ZN2at6native12_GLOBAL__N_128vectorized_layer_norm_kernelIN3c104HalfEfLb0EEEviT0_PKT_S8_S8_PS5_S9_PS6_.kd
    .uniform_work_group_size: 1
    .uses_dynamic_stack: false
    .vgpr_count:     32
    .vgpr_spill_count: 0
    .wavefront_size: 32
    .workgroup_processor_mode: 1
  - .args:
      - .offset:         0
        .size:           8
        .value_kind:     by_value
      - .offset:         8
        .size:           4
        .value_kind:     by_value
      - .address_space:  global
        .offset:         16
        .size:           8
        .value_kind:     global_buffer
      - .address_space:  global
        .offset:         24
        .size:           8
        .value_kind:     global_buffer
      - .address_space:  global
        .offset:         32
        .size:           8
        .value_kind:     global_buffer
      - .offset:         40
        .size:           4
        .value_kind:     hidden_block_count_x
      - .offset:         44
        .size:           4
        .value_kind:     hidden_block_count_y
      - .offset:         48
        .size:           4
        .value_kind:     hidden_block_count_z
      - .offset:         52
        .size:           2
        .value_kind:     hidden_group_size_x
      - .offset:         54
        .size:           2
        .value_kind:     hidden_group_size_y
      - .offset:         56
        .size:           2
        .value_kind:     hidden_group_size_z
      - .offset:         58
        .size:           2
        .value_kind:     hidden_remainder_x
      - .offset:         60
        .size:           2
        .value_kind:     hidden_remainder_y
      - .offset:         62
        .size:           2
        .value_kind:     hidden_remainder_z
      - .offset:         80
        .size:           8
        .value_kind:     hidden_global_offset_x
      - .offset:         88
        .size:           8
        .value_kind:     hidden_global_offset_y
      - .offset:         96
        .size:           8
        .value_kind:     hidden_global_offset_z
      - .offset:         104
        .size:           2
        .value_kind:     hidden_grid_dims
    .group_segment_fixed_size: 768
    .kernarg_segment_align: 8
    .kernarg_segment_size: 296
    .language:       OpenCL C
    .language_version:
      - 2
      - 0
    .max_flat_workgroup_size: 1024
    .name:           _ZN2at6native12_GLOBAL__N_124RowwiseMomentsCUDAKernelIN3c104HalfEfLb0EEEvlT0_PKT_PS5_S9_
    .private_segment_fixed_size: 0
    .sgpr_count:     22
    .sgpr_spill_count: 0
    .symbol:         _ZN2at6native12_GLOBAL__N_124RowwiseMomentsCUDAKernelIN3c104HalfEfLb0EEEvlT0_PKT_PS5_S9_.kd
    .uniform_work_group_size: 1
    .uses_dynamic_stack: false
    .vgpr_count:     18
    .vgpr_spill_count: 0
    .wavefront_size: 32
    .workgroup_processor_mode: 1
  - .args:
      - .offset:         0
        .size:           8
        .value_kind:     by_value
      - .address_space:  global
        .offset:         8
        .size:           8
        .value_kind:     global_buffer
      - .address_space:  global
        .offset:         16
        .size:           8
        .value_kind:     global_buffer
      - .address_space:  global
        .offset:         24
        .size:           8
        .value_kind:     global_buffer
      - .address_space:  global
        .offset:         32
        .size:           8
        .value_kind:     global_buffer
      - .address_space:  global
        .offset:         40
        .size:           8
        .value_kind:     global_buffer
      - .address_space:  global
        .offset:         48
        .size:           8
        .value_kind:     global_buffer
      - .offset:         56
        .size:           4
        .value_kind:     hidden_block_count_x
      - .offset:         60
        .size:           4
        .value_kind:     hidden_block_count_y
      - .offset:         64
        .size:           4
        .value_kind:     hidden_block_count_z
      - .offset:         68
        .size:           2
        .value_kind:     hidden_group_size_x
      - .offset:         70
        .size:           2
        .value_kind:     hidden_group_size_y
      - .offset:         72
        .size:           2
        .value_kind:     hidden_group_size_z
      - .offset:         74
        .size:           2
        .value_kind:     hidden_remainder_x
      - .offset:         76
        .size:           2
        .value_kind:     hidden_remainder_y
      - .offset:         78
        .size:           2
        .value_kind:     hidden_remainder_z
      - .offset:         96
        .size:           8
        .value_kind:     hidden_global_offset_x
      - .offset:         104
        .size:           8
        .value_kind:     hidden_global_offset_y
      - .offset:         112
        .size:           8
        .value_kind:     hidden_global_offset_z
      - .offset:         120
        .size:           2
        .value_kind:     hidden_grid_dims
    .group_segment_fixed_size: 0
    .kernarg_segment_align: 8
    .kernarg_segment_size: 312
    .language:       OpenCL C
    .language_version:
      - 2
      - 0
    .max_flat_workgroup_size: 1024
    .name:           _ZN2at6native12_GLOBAL__N_126LayerNormForwardCUDAKernelIN3c104HalfEfLb0EEEvlPKT_PKT0_SA_S7_S7_PS5_
    .private_segment_fixed_size: 0
    .sgpr_count:     26
    .sgpr_spill_count: 0
    .symbol:         _ZN2at6native12_GLOBAL__N_126LayerNormForwardCUDAKernelIN3c104HalfEfLb0EEEvlPKT_PKT0_SA_S7_S7_PS5_.kd
    .uniform_work_group_size: 1
    .uses_dynamic_stack: false
    .vgpr_count:     9
    .vgpr_spill_count: 0
    .wavefront_size: 32
    .workgroup_processor_mode: 1
  - .args:
      - .offset:         0
        .size:           4
        .value_kind:     by_value
      - .offset:         4
        .size:           4
        .value_kind:     by_value
      - .actual_access:  read_only
        .address_space:  global
        .offset:         8
        .size:           8
        .value_kind:     global_buffer
      - .address_space:  global
        .offset:         16
        .size:           8
        .value_kind:     global_buffer
      - .address_space:  global
        .offset:         24
        .size:           8
        .value_kind:     global_buffer
      - .address_space:  global
        .offset:         32
        .size:           8
        .value_kind:     global_buffer
      - .address_space:  global
        .offset:         40
        .size:           8
        .value_kind:     global_buffer
      - .address_space:  global
        .offset:         48
        .size:           8
        .value_kind:     global_buffer
      - .offset:         56
        .size:           4
        .value_kind:     hidden_block_count_x
      - .offset:         60
        .size:           4
        .value_kind:     hidden_block_count_y
      - .offset:         64
        .size:           4
        .value_kind:     hidden_block_count_z
      - .offset:         68
        .size:           2
        .value_kind:     hidden_group_size_x
      - .offset:         70
        .size:           2
        .value_kind:     hidden_group_size_y
      - .offset:         72
        .size:           2
        .value_kind:     hidden_group_size_z
      - .offset:         74
        .size:           2
        .value_kind:     hidden_remainder_x
      - .offset:         76
        .size:           2
        .value_kind:     hidden_remainder_y
      - .offset:         78
        .size:           2
        .value_kind:     hidden_remainder_z
      - .offset:         96
        .size:           8
        .value_kind:     hidden_global_offset_x
      - .offset:         104
        .size:           8
        .value_kind:     hidden_global_offset_y
      - .offset:         112
        .size:           8
        .value_kind:     hidden_global_offset_z
      - .offset:         120
        .size:           2
        .value_kind:     hidden_grid_dims
      - .offset:         176
        .size:           4
        .value_kind:     hidden_dynamic_lds_size
    .group_segment_fixed_size: 0
    .kernarg_segment_align: 8
    .kernarg_segment_size: 312
    .language:       OpenCL C
    .language_version:
      - 2
      - 0
    .max_flat_workgroup_size: 1024
    .name:           _ZN2at6native12_GLOBAL__N_128vectorized_layer_norm_kernelIN3c108BFloat16EfLb0EEEviT0_PKT_S8_S8_PS5_S9_PS6_
    .private_segment_fixed_size: 0
    .sgpr_count:     28
    .sgpr_spill_count: 0
    .symbol:         _ZN2at6native12_GLOBAL__N_128vectorized_layer_norm_kernelIN3c108BFloat16EfLb0EEEviT0_PKT_S8_S8_PS5_S9_PS6_.kd
    .uniform_work_group_size: 1
    .uses_dynamic_stack: false
    .vgpr_count:     32
    .vgpr_spill_count: 0
    .wavefront_size: 32
    .workgroup_processor_mode: 1
  - .args:
      - .offset:         0
        .size:           8
        .value_kind:     by_value
      - .offset:         8
        .size:           4
        .value_kind:     by_value
      - .address_space:  global
        .offset:         16
        .size:           8
        .value_kind:     global_buffer
      - .address_space:  global
        .offset:         24
        .size:           8
        .value_kind:     global_buffer
      - .address_space:  global
        .offset:         32
        .size:           8
        .value_kind:     global_buffer
      - .offset:         40
        .size:           4
        .value_kind:     hidden_block_count_x
      - .offset:         44
        .size:           4
        .value_kind:     hidden_block_count_y
      - .offset:         48
        .size:           4
        .value_kind:     hidden_block_count_z
      - .offset:         52
        .size:           2
        .value_kind:     hidden_group_size_x
      - .offset:         54
        .size:           2
        .value_kind:     hidden_group_size_y
      - .offset:         56
        .size:           2
        .value_kind:     hidden_group_size_z
      - .offset:         58
        .size:           2
        .value_kind:     hidden_remainder_x
      - .offset:         60
        .size:           2
        .value_kind:     hidden_remainder_y
      - .offset:         62
        .size:           2
        .value_kind:     hidden_remainder_z
      - .offset:         80
        .size:           8
        .value_kind:     hidden_global_offset_x
      - .offset:         88
        .size:           8
        .value_kind:     hidden_global_offset_y
      - .offset:         96
        .size:           8
        .value_kind:     hidden_global_offset_z
      - .offset:         104
        .size:           2
        .value_kind:     hidden_grid_dims
    .group_segment_fixed_size: 768
    .kernarg_segment_align: 8
    .kernarg_segment_size: 296
    .language:       OpenCL C
    .language_version:
      - 2
      - 0
    .max_flat_workgroup_size: 1024
    .name:           _ZN2at6native12_GLOBAL__N_124RowwiseMomentsCUDAKernelIN3c108BFloat16EfLb0EEEvlT0_PKT_PS5_S9_
    .private_segment_fixed_size: 0
    .sgpr_count:     22
    .sgpr_spill_count: 0
    .symbol:         _ZN2at6native12_GLOBAL__N_124RowwiseMomentsCUDAKernelIN3c108BFloat16EfLb0EEEvlT0_PKT_PS5_S9_.kd
    .uniform_work_group_size: 1
    .uses_dynamic_stack: false
    .vgpr_count:     18
    .vgpr_spill_count: 0
    .wavefront_size: 32
    .workgroup_processor_mode: 1
  - .args:
      - .offset:         0
        .size:           8
        .value_kind:     by_value
      - .address_space:  global
        .offset:         8
        .size:           8
        .value_kind:     global_buffer
      - .address_space:  global
        .offset:         16
        .size:           8
        .value_kind:     global_buffer
      - .address_space:  global
        .offset:         24
        .size:           8
        .value_kind:     global_buffer
      - .address_space:  global
        .offset:         32
        .size:           8
        .value_kind:     global_buffer
      - .address_space:  global
        .offset:         40
        .size:           8
        .value_kind:     global_buffer
      - .address_space:  global
        .offset:         48
        .size:           8
        .value_kind:     global_buffer
      - .offset:         56
        .size:           4
        .value_kind:     hidden_block_count_x
      - .offset:         60
        .size:           4
        .value_kind:     hidden_block_count_y
      - .offset:         64
        .size:           4
        .value_kind:     hidden_block_count_z
      - .offset:         68
        .size:           2
        .value_kind:     hidden_group_size_x
      - .offset:         70
        .size:           2
        .value_kind:     hidden_group_size_y
      - .offset:         72
        .size:           2
        .value_kind:     hidden_group_size_z
      - .offset:         74
        .size:           2
        .value_kind:     hidden_remainder_x
      - .offset:         76
        .size:           2
        .value_kind:     hidden_remainder_y
      - .offset:         78
        .size:           2
        .value_kind:     hidden_remainder_z
      - .offset:         96
        .size:           8
        .value_kind:     hidden_global_offset_x
      - .offset:         104
        .size:           8
        .value_kind:     hidden_global_offset_y
      - .offset:         112
        .size:           8
        .value_kind:     hidden_global_offset_z
      - .offset:         120
        .size:           2
        .value_kind:     hidden_grid_dims
    .group_segment_fixed_size: 0
    .kernarg_segment_align: 8
    .kernarg_segment_size: 312
    .language:       OpenCL C
    .language_version:
      - 2
      - 0
    .max_flat_workgroup_size: 1024
    .name:           _ZN2at6native12_GLOBAL__N_126LayerNormForwardCUDAKernelIN3c108BFloat16EfLb0EEEvlPKT_PKT0_SA_S7_S7_PS5_
    .private_segment_fixed_size: 0
    .sgpr_count:     26
    .sgpr_spill_count: 0
    .symbol:         _ZN2at6native12_GLOBAL__N_126LayerNormForwardCUDAKernelIN3c108BFloat16EfLb0EEEvlPKT_PKT0_SA_S7_S7_PS5_.kd
    .uniform_work_group_size: 1
    .uses_dynamic_stack: false
    .vgpr_count:     8
    .vgpr_spill_count: 0
    .wavefront_size: 32
    .workgroup_processor_mode: 1
  - .args:
      - .offset:         0
        .size:           4
        .value_kind:     by_value
      - .offset:         8
        .size:           8
        .value_kind:     by_value
      - .actual_access:  read_only
        .address_space:  global
        .offset:         16
        .size:           8
        .value_kind:     global_buffer
      - .address_space:  global
        .offset:         24
        .size:           8
        .value_kind:     global_buffer
      - .address_space:  global
        .offset:         32
        .size:           8
        .value_kind:     global_buffer
      - .address_space:  global
        .offset:         40
        .size:           8
        .value_kind:     global_buffer
      - .address_space:  global
        .offset:         48
        .size:           8
        .value_kind:     global_buffer
      - .address_space:  global
        .offset:         56
        .size:           8
        .value_kind:     global_buffer
    .group_segment_fixed_size: 0
    .kernarg_segment_align: 8
    .kernarg_segment_size: 64
    .language:       OpenCL C
    .language_version:
      - 2
      - 0
    .max_flat_workgroup_size: 1024
    .name:           _ZN2at6native12_GLOBAL__N_128vectorized_layer_norm_kernelIddLb1EEEviT0_PKT_S6_S6_PS3_S7_PS4_
    .private_segment_fixed_size: 0
    .sgpr_count:     0
    .sgpr_spill_count: 0
    .symbol:         _ZN2at6native12_GLOBAL__N_128vectorized_layer_norm_kernelIddLb1EEEviT0_PKT_S6_S6_PS3_S7_PS4_.kd
    .uniform_work_group_size: 1
    .uses_dynamic_stack: false
    .vgpr_count:     0
    .vgpr_spill_count: 0
    .wavefront_size: 32
    .workgroup_processor_mode: 1
  - .args:
      - .offset:         0
        .size:           8
        .value_kind:     by_value
      - .offset:         8
        .size:           8
        .value_kind:     by_value
      - .address_space:  global
        .offset:         16
        .size:           8
        .value_kind:     global_buffer
      - .address_space:  global
        .offset:         24
        .size:           8
        .value_kind:     global_buffer
      - .address_space:  global
        .offset:         32
        .size:           8
        .value_kind:     global_buffer
      - .offset:         40
        .size:           4
        .value_kind:     hidden_block_count_x
      - .offset:         44
        .size:           4
        .value_kind:     hidden_block_count_y
      - .offset:         48
        .size:           4
        .value_kind:     hidden_block_count_z
      - .offset:         52
        .size:           2
        .value_kind:     hidden_group_size_x
      - .offset:         54
        .size:           2
        .value_kind:     hidden_group_size_y
      - .offset:         56
        .size:           2
        .value_kind:     hidden_group_size_z
      - .offset:         58
        .size:           2
        .value_kind:     hidden_remainder_x
      - .offset:         60
        .size:           2
        .value_kind:     hidden_remainder_y
      - .offset:         62
        .size:           2
        .value_kind:     hidden_remainder_z
      - .offset:         80
        .size:           8
        .value_kind:     hidden_global_offset_x
      - .offset:         88
        .size:           8
        .value_kind:     hidden_global_offset_y
      - .offset:         96
        .size:           8
        .value_kind:     hidden_global_offset_z
      - .offset:         104
        .size:           2
        .value_kind:     hidden_grid_dims
    .group_segment_fixed_size: 1024
    .kernarg_segment_align: 8
    .kernarg_segment_size: 296
    .language:       OpenCL C
    .language_version:
      - 2
      - 0
    .max_flat_workgroup_size: 1024
    .name:           _ZN2at6native12_GLOBAL__N_124RowwiseMomentsCUDAKernelIddLb1EEEvlT0_PKT_PS3_S7_
    .private_segment_fixed_size: 0
    .sgpr_count:     17
    .sgpr_spill_count: 0
    .symbol:         _ZN2at6native12_GLOBAL__N_124RowwiseMomentsCUDAKernelIddLb1EEEvlT0_PKT_PS3_S7_.kd
    .uniform_work_group_size: 1
    .uses_dynamic_stack: false
    .vgpr_count:     30
    .vgpr_spill_count: 0
    .wavefront_size: 32
    .workgroup_processor_mode: 1
  - .args:
      - .offset:         0
        .size:           8
        .value_kind:     by_value
      - .address_space:  global
        .offset:         8
        .size:           8
        .value_kind:     global_buffer
      - .address_space:  global
        .offset:         16
        .size:           8
        .value_kind:     global_buffer
      - .address_space:  global
        .offset:         24
        .size:           8
        .value_kind:     global_buffer
      - .address_space:  global
        .offset:         32
        .size:           8
        .value_kind:     global_buffer
      - .address_space:  global
        .offset:         40
        .size:           8
        .value_kind:     global_buffer
      - .address_space:  global
        .offset:         48
        .size:           8
        .value_kind:     global_buffer
      - .offset:         56
        .size:           4
        .value_kind:     hidden_block_count_x
      - .offset:         60
        .size:           4
        .value_kind:     hidden_block_count_y
      - .offset:         64
        .size:           4
        .value_kind:     hidden_block_count_z
      - .offset:         68
        .size:           2
        .value_kind:     hidden_group_size_x
      - .offset:         70
        .size:           2
        .value_kind:     hidden_group_size_y
      - .offset:         72
        .size:           2
        .value_kind:     hidden_group_size_z
      - .offset:         74
        .size:           2
        .value_kind:     hidden_remainder_x
      - .offset:         76
        .size:           2
        .value_kind:     hidden_remainder_y
      - .offset:         78
        .size:           2
        .value_kind:     hidden_remainder_z
      - .offset:         96
        .size:           8
        .value_kind:     hidden_global_offset_x
      - .offset:         104
        .size:           8
        .value_kind:     hidden_global_offset_y
      - .offset:         112
        .size:           8
        .value_kind:     hidden_global_offset_z
      - .offset:         120
        .size:           2
        .value_kind:     hidden_grid_dims
    .group_segment_fixed_size: 0
    .kernarg_segment_align: 8
    .kernarg_segment_size: 312
    .language:       OpenCL C
    .language_version:
      - 2
      - 0
    .max_flat_workgroup_size: 1024
    .name:           _ZN2at6native12_GLOBAL__N_126LayerNormForwardCUDAKernelIddLb1EEEvlPKT_PKT0_S8_S5_S5_PS3_
    .private_segment_fixed_size: 0
    .sgpr_count:     21
    .sgpr_spill_count: 0
    .symbol:         _ZN2at6native12_GLOBAL__N_126LayerNormForwardCUDAKernelIddLb1EEEvlPKT_PKT0_S8_S5_S5_PS3_.kd
    .uniform_work_group_size: 1
    .uses_dynamic_stack: false
    .vgpr_count:     12
    .vgpr_spill_count: 0
    .wavefront_size: 32
    .workgroup_processor_mode: 1
  - .args:
      - .offset:         0
        .size:           4
        .value_kind:     by_value
      - .offset:         4
        .size:           4
        .value_kind:     by_value
      - .actual_access:  read_only
        .address_space:  global
        .offset:         8
        .size:           8
        .value_kind:     global_buffer
      - .address_space:  global
        .offset:         16
        .size:           8
        .value_kind:     global_buffer
      - .address_space:  global
        .offset:         24
        .size:           8
        .value_kind:     global_buffer
      - .address_space:  global
        .offset:         32
        .size:           8
        .value_kind:     global_buffer
      - .address_space:  global
        .offset:         40
        .size:           8
        .value_kind:     global_buffer
      - .address_space:  global
        .offset:         48
        .size:           8
        .value_kind:     global_buffer
      - .offset:         56
        .size:           4
        .value_kind:     hidden_block_count_x
      - .offset:         60
        .size:           4
        .value_kind:     hidden_block_count_y
      - .offset:         64
        .size:           4
        .value_kind:     hidden_block_count_z
      - .offset:         68
        .size:           2
        .value_kind:     hidden_group_size_x
      - .offset:         70
        .size:           2
        .value_kind:     hidden_group_size_y
      - .offset:         72
        .size:           2
        .value_kind:     hidden_group_size_z
      - .offset:         74
        .size:           2
        .value_kind:     hidden_remainder_x
      - .offset:         76
        .size:           2
        .value_kind:     hidden_remainder_y
      - .offset:         78
        .size:           2
        .value_kind:     hidden_remainder_z
      - .offset:         96
        .size:           8
        .value_kind:     hidden_global_offset_x
      - .offset:         104
        .size:           8
        .value_kind:     hidden_global_offset_y
      - .offset:         112
        .size:           8
        .value_kind:     hidden_global_offset_z
      - .offset:         120
        .size:           2
        .value_kind:     hidden_grid_dims
      - .offset:         176
        .size:           4
        .value_kind:     hidden_dynamic_lds_size
    .group_segment_fixed_size: 0
    .kernarg_segment_align: 8
    .kernarg_segment_size: 312
    .language:       OpenCL C
    .language_version:
      - 2
      - 0
    .max_flat_workgroup_size: 1024
    .name:           _ZN2at6native12_GLOBAL__N_128vectorized_layer_norm_kernelIffLb1EEEviT0_PKT_S6_S6_PS3_S7_PS4_
    .private_segment_fixed_size: 0
    .sgpr_count:     24
    .sgpr_spill_count: 0
    .symbol:         _ZN2at6native12_GLOBAL__N_128vectorized_layer_norm_kernelIffLb1EEEviT0_PKT_S6_S6_PS3_S7_PS4_.kd
    .uniform_work_group_size: 1
    .uses_dynamic_stack: false
    .vgpr_count:     18
    .vgpr_spill_count: 0
    .wavefront_size: 32
    .workgroup_processor_mode: 1
  - .args:
      - .offset:         0
        .size:           8
        .value_kind:     by_value
      - .offset:         8
        .size:           4
        .value_kind:     by_value
      - .address_space:  global
        .offset:         16
        .size:           8
        .value_kind:     global_buffer
      - .address_space:  global
        .offset:         24
        .size:           8
        .value_kind:     global_buffer
      - .address_space:  global
        .offset:         32
        .size:           8
        .value_kind:     global_buffer
      - .offset:         40
        .size:           4
        .value_kind:     hidden_block_count_x
      - .offset:         44
        .size:           4
        .value_kind:     hidden_block_count_y
      - .offset:         48
        .size:           4
        .value_kind:     hidden_block_count_z
      - .offset:         52
        .size:           2
        .value_kind:     hidden_group_size_x
      - .offset:         54
        .size:           2
        .value_kind:     hidden_group_size_y
      - .offset:         56
        .size:           2
        .value_kind:     hidden_group_size_z
      - .offset:         58
        .size:           2
        .value_kind:     hidden_remainder_x
      - .offset:         60
        .size:           2
        .value_kind:     hidden_remainder_y
      - .offset:         62
        .size:           2
        .value_kind:     hidden_remainder_z
      - .offset:         80
        .size:           8
        .value_kind:     hidden_global_offset_x
      - .offset:         88
        .size:           8
        .value_kind:     hidden_global_offset_y
      - .offset:         96
        .size:           8
        .value_kind:     hidden_global_offset_z
      - .offset:         104
        .size:           2
        .value_kind:     hidden_grid_dims
    .group_segment_fixed_size: 768
    .kernarg_segment_align: 8
    .kernarg_segment_size: 296
    .language:       OpenCL C
    .language_version:
      - 2
      - 0
    .max_flat_workgroup_size: 1024
    .name:           _ZN2at6native12_GLOBAL__N_124RowwiseMomentsCUDAKernelIffLb1EEEvlT0_PKT_PS3_S7_
    .private_segment_fixed_size: 0
    .sgpr_count:     18
    .sgpr_spill_count: 0
    .symbol:         _ZN2at6native12_GLOBAL__N_124RowwiseMomentsCUDAKernelIffLb1EEEvlT0_PKT_PS3_S7_.kd
    .uniform_work_group_size: 1
    .uses_dynamic_stack: false
    .vgpr_count:     18
    .vgpr_spill_count: 0
    .wavefront_size: 32
    .workgroup_processor_mode: 1
  - .args:
      - .offset:         0
        .size:           8
        .value_kind:     by_value
      - .address_space:  global
        .offset:         8
        .size:           8
        .value_kind:     global_buffer
      - .address_space:  global
        .offset:         16
        .size:           8
        .value_kind:     global_buffer
      - .address_space:  global
        .offset:         24
        .size:           8
        .value_kind:     global_buffer
      - .address_space:  global
        .offset:         32
        .size:           8
        .value_kind:     global_buffer
      - .address_space:  global
        .offset:         40
        .size:           8
        .value_kind:     global_buffer
      - .address_space:  global
        .offset:         48
        .size:           8
        .value_kind:     global_buffer
      - .offset:         56
        .size:           4
        .value_kind:     hidden_block_count_x
      - .offset:         60
        .size:           4
        .value_kind:     hidden_block_count_y
      - .offset:         64
        .size:           4
        .value_kind:     hidden_block_count_z
      - .offset:         68
        .size:           2
        .value_kind:     hidden_group_size_x
      - .offset:         70
        .size:           2
        .value_kind:     hidden_group_size_y
      - .offset:         72
        .size:           2
        .value_kind:     hidden_group_size_z
      - .offset:         74
        .size:           2
        .value_kind:     hidden_remainder_x
      - .offset:         76
        .size:           2
        .value_kind:     hidden_remainder_y
      - .offset:         78
        .size:           2
        .value_kind:     hidden_remainder_z
      - .offset:         96
        .size:           8
        .value_kind:     hidden_global_offset_x
      - .offset:         104
        .size:           8
        .value_kind:     hidden_global_offset_y
      - .offset:         112
        .size:           8
        .value_kind:     hidden_global_offset_z
      - .offset:         120
        .size:           2
        .value_kind:     hidden_grid_dims
    .group_segment_fixed_size: 0
    .kernarg_segment_align: 8
    .kernarg_segment_size: 312
    .language:       OpenCL C
    .language_version:
      - 2
      - 0
    .max_flat_workgroup_size: 1024
    .name:           _ZN2at6native12_GLOBAL__N_126LayerNormForwardCUDAKernelIffLb1EEEvlPKT_PKT0_S8_S5_S5_PS3_
    .private_segment_fixed_size: 0
    .sgpr_count:     21
    .sgpr_spill_count: 0
    .symbol:         _ZN2at6native12_GLOBAL__N_126LayerNormForwardCUDAKernelIffLb1EEEvlPKT_PKT0_S8_S5_S5_PS3_.kd
    .uniform_work_group_size: 1
    .uses_dynamic_stack: false
    .vgpr_count:     9
    .vgpr_spill_count: 0
    .wavefront_size: 32
    .workgroup_processor_mode: 1
  - .args:
      - .offset:         0
        .size:           4
        .value_kind:     by_value
      - .offset:         4
        .size:           4
        .value_kind:     by_value
      - .actual_access:  read_only
        .address_space:  global
        .offset:         8
        .size:           8
        .value_kind:     global_buffer
      - .address_space:  global
        .offset:         16
        .size:           8
        .value_kind:     global_buffer
      - .address_space:  global
        .offset:         24
        .size:           8
        .value_kind:     global_buffer
      - .address_space:  global
        .offset:         32
        .size:           8
        .value_kind:     global_buffer
      - .address_space:  global
        .offset:         40
        .size:           8
        .value_kind:     global_buffer
      - .address_space:  global
        .offset:         48
        .size:           8
        .value_kind:     global_buffer
      - .offset:         56
        .size:           4
        .value_kind:     hidden_block_count_x
      - .offset:         60
        .size:           4
        .value_kind:     hidden_block_count_y
      - .offset:         64
        .size:           4
        .value_kind:     hidden_block_count_z
      - .offset:         68
        .size:           2
        .value_kind:     hidden_group_size_x
      - .offset:         70
        .size:           2
        .value_kind:     hidden_group_size_y
      - .offset:         72
        .size:           2
        .value_kind:     hidden_group_size_z
      - .offset:         74
        .size:           2
        .value_kind:     hidden_remainder_x
      - .offset:         76
        .size:           2
        .value_kind:     hidden_remainder_y
      - .offset:         78
        .size:           2
        .value_kind:     hidden_remainder_z
      - .offset:         96
        .size:           8
        .value_kind:     hidden_global_offset_x
      - .offset:         104
        .size:           8
        .value_kind:     hidden_global_offset_y
      - .offset:         112
        .size:           8
        .value_kind:     hidden_global_offset_z
      - .offset:         120
        .size:           2
        .value_kind:     hidden_grid_dims
      - .offset:         176
        .size:           4
        .value_kind:     hidden_dynamic_lds_size
    .group_segment_fixed_size: 0
    .kernarg_segment_align: 8
    .kernarg_segment_size: 312
    .language:       OpenCL C
    .language_version:
      - 2
      - 0
    .max_flat_workgroup_size: 1024
    .name:           _ZN2at6native12_GLOBAL__N_128vectorized_layer_norm_kernelIN3c104HalfEfLb1EEEviT0_PKT_S8_S8_PS5_S9_PS6_
    .private_segment_fixed_size: 0
    .sgpr_count:     26
    .sgpr_spill_count: 0
    .symbol:         _ZN2at6native12_GLOBAL__N_128vectorized_layer_norm_kernelIN3c104HalfEfLb1EEEviT0_PKT_S8_S8_PS5_S9_PS6_.kd
    .uniform_work_group_size: 1
    .uses_dynamic_stack: false
    .vgpr_count:     20
    .vgpr_spill_count: 0
    .wavefront_size: 32
    .workgroup_processor_mode: 1
  - .args:
      - .offset:         0
        .size:           8
        .value_kind:     by_value
      - .offset:         8
        .size:           4
        .value_kind:     by_value
      - .address_space:  global
        .offset:         16
        .size:           8
        .value_kind:     global_buffer
      - .address_space:  global
        .offset:         24
        .size:           8
        .value_kind:     global_buffer
      - .address_space:  global
        .offset:         32
        .size:           8
        .value_kind:     global_buffer
      - .offset:         40
        .size:           4
        .value_kind:     hidden_block_count_x
      - .offset:         44
        .size:           4
        .value_kind:     hidden_block_count_y
      - .offset:         48
        .size:           4
        .value_kind:     hidden_block_count_z
      - .offset:         52
        .size:           2
        .value_kind:     hidden_group_size_x
      - .offset:         54
        .size:           2
        .value_kind:     hidden_group_size_y
      - .offset:         56
        .size:           2
        .value_kind:     hidden_group_size_z
      - .offset:         58
        .size:           2
        .value_kind:     hidden_remainder_x
      - .offset:         60
        .size:           2
        .value_kind:     hidden_remainder_y
      - .offset:         62
        .size:           2
        .value_kind:     hidden_remainder_z
      - .offset:         80
        .size:           8
        .value_kind:     hidden_global_offset_x
      - .offset:         88
        .size:           8
        .value_kind:     hidden_global_offset_y
      - .offset:         96
        .size:           8
        .value_kind:     hidden_global_offset_z
      - .offset:         104
        .size:           2
        .value_kind:     hidden_grid_dims
    .group_segment_fixed_size: 768
    .kernarg_segment_align: 8
    .kernarg_segment_size: 296
    .language:       OpenCL C
    .language_version:
      - 2
      - 0
    .max_flat_workgroup_size: 1024
    .name:           _ZN2at6native12_GLOBAL__N_124RowwiseMomentsCUDAKernelIN3c104HalfEfLb1EEEvlT0_PKT_PS5_S9_
    .private_segment_fixed_size: 0
    .sgpr_count:     18
    .sgpr_spill_count: 0
    .symbol:         _ZN2at6native12_GLOBAL__N_124RowwiseMomentsCUDAKernelIN3c104HalfEfLb1EEEvlT0_PKT_PS5_S9_.kd
    .uniform_work_group_size: 1
    .uses_dynamic_stack: false
    .vgpr_count:     18
    .vgpr_spill_count: 0
    .wavefront_size: 32
    .workgroup_processor_mode: 1
  - .args:
      - .offset:         0
        .size:           8
        .value_kind:     by_value
      - .address_space:  global
        .offset:         8
        .size:           8
        .value_kind:     global_buffer
      - .address_space:  global
        .offset:         16
        .size:           8
        .value_kind:     global_buffer
      - .address_space:  global
        .offset:         24
        .size:           8
        .value_kind:     global_buffer
      - .address_space:  global
        .offset:         32
        .size:           8
        .value_kind:     global_buffer
      - .address_space:  global
        .offset:         40
        .size:           8
        .value_kind:     global_buffer
      - .address_space:  global
        .offset:         48
        .size:           8
        .value_kind:     global_buffer
      - .offset:         56
        .size:           4
        .value_kind:     hidden_block_count_x
      - .offset:         60
        .size:           4
        .value_kind:     hidden_block_count_y
      - .offset:         64
        .size:           4
        .value_kind:     hidden_block_count_z
      - .offset:         68
        .size:           2
        .value_kind:     hidden_group_size_x
      - .offset:         70
        .size:           2
        .value_kind:     hidden_group_size_y
      - .offset:         72
        .size:           2
        .value_kind:     hidden_group_size_z
      - .offset:         74
        .size:           2
        .value_kind:     hidden_remainder_x
      - .offset:         76
        .size:           2
        .value_kind:     hidden_remainder_y
      - .offset:         78
        .size:           2
        .value_kind:     hidden_remainder_z
      - .offset:         96
        .size:           8
        .value_kind:     hidden_global_offset_x
      - .offset:         104
        .size:           8
        .value_kind:     hidden_global_offset_y
      - .offset:         112
        .size:           8
        .value_kind:     hidden_global_offset_z
      - .offset:         120
        .size:           2
        .value_kind:     hidden_grid_dims
    .group_segment_fixed_size: 0
    .kernarg_segment_align: 8
    .kernarg_segment_size: 312
    .language:       OpenCL C
    .language_version:
      - 2
      - 0
    .max_flat_workgroup_size: 1024
    .name:           _ZN2at6native12_GLOBAL__N_126LayerNormForwardCUDAKernelIN3c104HalfEfLb1EEEvlPKT_PKT0_SA_S7_S7_PS5_
    .private_segment_fixed_size: 0
    .sgpr_count:     19
    .sgpr_spill_count: 0
    .symbol:         _ZN2at6native12_GLOBAL__N_126LayerNormForwardCUDAKernelIN3c104HalfEfLb1EEEvlPKT_PKT0_SA_S7_S7_PS5_.kd
    .uniform_work_group_size: 1
    .uses_dynamic_stack: false
    .vgpr_count:     8
    .vgpr_spill_count: 0
    .wavefront_size: 32
    .workgroup_processor_mode: 1
  - .args:
      - .offset:         0
        .size:           4
        .value_kind:     by_value
      - .offset:         4
        .size:           4
        .value_kind:     by_value
      - .actual_access:  read_only
        .address_space:  global
        .offset:         8
        .size:           8
        .value_kind:     global_buffer
      - .address_space:  global
        .offset:         16
        .size:           8
        .value_kind:     global_buffer
      - .address_space:  global
        .offset:         24
        .size:           8
        .value_kind:     global_buffer
      - .address_space:  global
        .offset:         32
        .size:           8
        .value_kind:     global_buffer
      - .address_space:  global
        .offset:         40
        .size:           8
        .value_kind:     global_buffer
      - .address_space:  global
        .offset:         48
        .size:           8
        .value_kind:     global_buffer
      - .offset:         56
        .size:           4
        .value_kind:     hidden_block_count_x
      - .offset:         60
        .size:           4
        .value_kind:     hidden_block_count_y
      - .offset:         64
        .size:           4
        .value_kind:     hidden_block_count_z
      - .offset:         68
        .size:           2
        .value_kind:     hidden_group_size_x
      - .offset:         70
        .size:           2
        .value_kind:     hidden_group_size_y
      - .offset:         72
        .size:           2
        .value_kind:     hidden_group_size_z
      - .offset:         74
        .size:           2
        .value_kind:     hidden_remainder_x
      - .offset:         76
        .size:           2
        .value_kind:     hidden_remainder_y
      - .offset:         78
        .size:           2
        .value_kind:     hidden_remainder_z
      - .offset:         96
        .size:           8
        .value_kind:     hidden_global_offset_x
      - .offset:         104
        .size:           8
        .value_kind:     hidden_global_offset_y
      - .offset:         112
        .size:           8
        .value_kind:     hidden_global_offset_z
      - .offset:         120
        .size:           2
        .value_kind:     hidden_grid_dims
      - .offset:         176
        .size:           4
        .value_kind:     hidden_dynamic_lds_size
    .group_segment_fixed_size: 0
    .kernarg_segment_align: 8
    .kernarg_segment_size: 312
    .language:       OpenCL C
    .language_version:
      - 2
      - 0
    .max_flat_workgroup_size: 1024
    .name:           _ZN2at6native12_GLOBAL__N_128vectorized_layer_norm_kernelIN3c108BFloat16EfLb1EEEviT0_PKT_S8_S8_PS5_S9_PS6_
    .private_segment_fixed_size: 0
    .sgpr_count:     27
    .sgpr_spill_count: 0
    .symbol:         _ZN2at6native12_GLOBAL__N_128vectorized_layer_norm_kernelIN3c108BFloat16EfLb1EEEviT0_PKT_S8_S8_PS5_S9_PS6_.kd
    .uniform_work_group_size: 1
    .uses_dynamic_stack: false
    .vgpr_count:     21
    .vgpr_spill_count: 0
    .wavefront_size: 32
    .workgroup_processor_mode: 1
  - .args:
      - .offset:         0
        .size:           8
        .value_kind:     by_value
      - .offset:         8
        .size:           4
        .value_kind:     by_value
      - .address_space:  global
        .offset:         16
        .size:           8
        .value_kind:     global_buffer
      - .address_space:  global
        .offset:         24
        .size:           8
        .value_kind:     global_buffer
      - .address_space:  global
        .offset:         32
        .size:           8
        .value_kind:     global_buffer
      - .offset:         40
        .size:           4
        .value_kind:     hidden_block_count_x
      - .offset:         44
        .size:           4
        .value_kind:     hidden_block_count_y
      - .offset:         48
        .size:           4
        .value_kind:     hidden_block_count_z
      - .offset:         52
        .size:           2
        .value_kind:     hidden_group_size_x
      - .offset:         54
        .size:           2
        .value_kind:     hidden_group_size_y
      - .offset:         56
        .size:           2
        .value_kind:     hidden_group_size_z
      - .offset:         58
        .size:           2
        .value_kind:     hidden_remainder_x
      - .offset:         60
        .size:           2
        .value_kind:     hidden_remainder_y
      - .offset:         62
        .size:           2
        .value_kind:     hidden_remainder_z
      - .offset:         80
        .size:           8
        .value_kind:     hidden_global_offset_x
      - .offset:         88
        .size:           8
        .value_kind:     hidden_global_offset_y
      - .offset:         96
        .size:           8
        .value_kind:     hidden_global_offset_z
      - .offset:         104
        .size:           2
        .value_kind:     hidden_grid_dims
    .group_segment_fixed_size: 768
    .kernarg_segment_align: 8
    .kernarg_segment_size: 296
    .language:       OpenCL C
    .language_version:
      - 2
      - 0
    .max_flat_workgroup_size: 1024
    .name:           _ZN2at6native12_GLOBAL__N_124RowwiseMomentsCUDAKernelIN3c108BFloat16EfLb1EEEvlT0_PKT_PS5_S9_
    .private_segment_fixed_size: 0
    .sgpr_count:     18
    .sgpr_spill_count: 0
    .symbol:         _ZN2at6native12_GLOBAL__N_124RowwiseMomentsCUDAKernelIN3c108BFloat16EfLb1EEEvlT0_PKT_PS5_S9_.kd
    .uniform_work_group_size: 1
    .uses_dynamic_stack: false
    .vgpr_count:     18
    .vgpr_spill_count: 0
    .wavefront_size: 32
    .workgroup_processor_mode: 1
  - .args:
      - .offset:         0
        .size:           8
        .value_kind:     by_value
      - .address_space:  global
        .offset:         8
        .size:           8
        .value_kind:     global_buffer
      - .address_space:  global
        .offset:         16
        .size:           8
        .value_kind:     global_buffer
      - .address_space:  global
        .offset:         24
        .size:           8
        .value_kind:     global_buffer
      - .address_space:  global
        .offset:         32
        .size:           8
        .value_kind:     global_buffer
      - .address_space:  global
        .offset:         40
        .size:           8
        .value_kind:     global_buffer
      - .address_space:  global
        .offset:         48
        .size:           8
        .value_kind:     global_buffer
      - .offset:         56
        .size:           4
        .value_kind:     hidden_block_count_x
      - .offset:         60
        .size:           4
        .value_kind:     hidden_block_count_y
      - .offset:         64
        .size:           4
        .value_kind:     hidden_block_count_z
      - .offset:         68
        .size:           2
        .value_kind:     hidden_group_size_x
      - .offset:         70
        .size:           2
        .value_kind:     hidden_group_size_y
      - .offset:         72
        .size:           2
        .value_kind:     hidden_group_size_z
      - .offset:         74
        .size:           2
        .value_kind:     hidden_remainder_x
      - .offset:         76
        .size:           2
        .value_kind:     hidden_remainder_y
      - .offset:         78
        .size:           2
        .value_kind:     hidden_remainder_z
      - .offset:         96
        .size:           8
        .value_kind:     hidden_global_offset_x
      - .offset:         104
        .size:           8
        .value_kind:     hidden_global_offset_y
      - .offset:         112
        .size:           8
        .value_kind:     hidden_global_offset_z
      - .offset:         120
        .size:           2
        .value_kind:     hidden_grid_dims
    .group_segment_fixed_size: 0
    .kernarg_segment_align: 8
    .kernarg_segment_size: 312
    .language:       OpenCL C
    .language_version:
      - 2
      - 0
    .max_flat_workgroup_size: 1024
    .name:           _ZN2at6native12_GLOBAL__N_126LayerNormForwardCUDAKernelIN3c108BFloat16EfLb1EEEvlPKT_PKT0_SA_S7_S7_PS5_
    .private_segment_fixed_size: 0
    .sgpr_count:     19
    .sgpr_spill_count: 0
    .symbol:         _ZN2at6native12_GLOBAL__N_126LayerNormForwardCUDAKernelIN3c108BFloat16EfLb1EEEvlPKT_PKT0_SA_S7_S7_PS5_.kd
    .uniform_work_group_size: 1
    .uses_dynamic_stack: false
    .vgpr_count:     8
    .vgpr_spill_count: 0
    .wavefront_size: 32
    .workgroup_processor_mode: 1
  - .args:
      - .actual_access:  read_only
        .address_space:  global
        .offset:         0
        .size:           8
        .value_kind:     global_buffer
      - .actual_access:  read_only
        .address_space:  global
        .offset:         8
        .size:           8
        .value_kind:     global_buffer
      - .offset:         16
        .size:           8
        .value_kind:     by_value
      - .offset:         24
        .size:           8
        .value_kind:     by_value
      - .actual_access:  read_only
        .address_space:  global
        .offset:         32
        .size:           8
        .value_kind:     global_buffer
      - .actual_access:  read_only
        .address_space:  global
        .offset:         40
        .size:           8
        .value_kind:     global_buffer
      - .address_space:  global
        .offset:         48
        .size:           8
        .value_kind:     global_buffer
      - .address_space:  global
        .offset:         56
        .size:           8
        .value_kind:     global_buffer
      - .offset:         64
        .size:           4
        .value_kind:     hidden_block_count_x
      - .offset:         68
        .size:           4
        .value_kind:     hidden_block_count_y
      - .offset:         72
        .size:           4
        .value_kind:     hidden_block_count_z
      - .offset:         76
        .size:           2
        .value_kind:     hidden_group_size_x
      - .offset:         78
        .size:           2
        .value_kind:     hidden_group_size_y
      - .offset:         80
        .size:           2
        .value_kind:     hidden_group_size_z
      - .offset:         82
        .size:           2
        .value_kind:     hidden_remainder_x
      - .offset:         84
        .size:           2
        .value_kind:     hidden_remainder_y
      - .offset:         86
        .size:           2
        .value_kind:     hidden_remainder_z
      - .offset:         104
        .size:           8
        .value_kind:     hidden_global_offset_x
      - .offset:         112
        .size:           8
        .value_kind:     hidden_global_offset_y
      - .offset:         120
        .size:           8
        .value_kind:     hidden_global_offset_z
      - .offset:         128
        .size:           2
        .value_kind:     hidden_grid_dims
      - .offset:         184
        .size:           4
        .value_kind:     hidden_dynamic_lds_size
    .group_segment_fixed_size: 0
    .kernarg_segment_align: 8
    .kernarg_segment_size: 320
    .language:       OpenCL C
    .language_version:
      - 2
      - 0
    .max_flat_workgroup_size: 1024
    .name:           _ZN2at6native12_GLOBAL__N_118cuComputeGradInputIddLb0EEEvPKT_S5_llPKT0_S8_S5_PS3_
    .private_segment_fixed_size: 0
    .sgpr_count:     46
    .sgpr_spill_count: 0
    .symbol:         _ZN2at6native12_GLOBAL__N_118cuComputeGradInputIddLb0EEEvPKT_S5_llPKT0_S8_S5_PS3_.kd
    .uniform_work_group_size: 1
    .uses_dynamic_stack: false
    .vgpr_count:     30
    .vgpr_spill_count: 0
    .wavefront_size: 32
    .workgroup_processor_mode: 1
  - .args:
      - .actual_access:  read_only
        .address_space:  global
        .offset:         0
        .size:           8
        .value_kind:     global_buffer
      - .actual_access:  read_only
        .address_space:  global
        .offset:         8
        .size:           8
        .value_kind:     global_buffer
      - .actual_access:  read_only
        .address_space:  global
        .offset:         16
        .size:           8
        .value_kind:     global_buffer
      - .actual_access:  read_only
        .address_space:  global
        .offset:         24
        .size:           8
        .value_kind:     global_buffer
      - .actual_access:  read_only
        .address_space:  global
        .offset:         32
        .size:           8
        .value_kind:     global_buffer
      - .address_space:  global
        .offset:         40
        .size:           8
        .value_kind:     global_buffer
      - .offset:         48
        .size:           4
        .value_kind:     by_value
      - .offset:         56
        .size:           4
        .value_kind:     hidden_block_count_x
      - .offset:         60
        .size:           4
        .value_kind:     hidden_block_count_y
      - .offset:         64
        .size:           4
        .value_kind:     hidden_block_count_z
      - .offset:         68
        .size:           2
        .value_kind:     hidden_group_size_x
      - .offset:         70
        .size:           2
        .value_kind:     hidden_group_size_y
      - .offset:         72
        .size:           2
        .value_kind:     hidden_group_size_z
      - .offset:         74
        .size:           2
        .value_kind:     hidden_remainder_x
      - .offset:         76
        .size:           2
        .value_kind:     hidden_remainder_y
      - .offset:         78
        .size:           2
        .value_kind:     hidden_remainder_z
      - .offset:         96
        .size:           8
        .value_kind:     hidden_global_offset_x
      - .offset:         104
        .size:           8
        .value_kind:     hidden_global_offset_y
      - .offset:         112
        .size:           8
        .value_kind:     hidden_global_offset_z
      - .offset:         120
        .size:           2
        .value_kind:     hidden_grid_dims
      - .offset:         176
        .size:           4
        .value_kind:     hidden_dynamic_lds_size
    .group_segment_fixed_size: 0
    .kernarg_segment_align: 8
    .kernarg_segment_size: 312
    .language:       OpenCL C
    .language_version:
      - 2
      - 0
    .max_flat_workgroup_size: 1024
    .name:           _ZN2at6native12_GLOBAL__N_128layer_norm_grad_input_kernelIddLb0EEEvPKT_S5_PKT0_S8_S5_PS3_i
    .private_segment_fixed_size: 0
    .sgpr_count:     25
    .sgpr_spill_count: 0
    .symbol:         _ZN2at6native12_GLOBAL__N_128layer_norm_grad_input_kernelIddLb0EEEvPKT_S5_PKT0_S8_S5_PS3_i.kd
    .uniform_work_group_size: 1
    .uses_dynamic_stack: false
    .vgpr_count:     35
    .vgpr_spill_count: 0
    .wavefront_size: 32
    .workgroup_processor_mode: 1
  - .args:
      - .offset:         0
        .size:           8
        .value_kind:     by_value
      - .offset:         8
        .size:           8
        .value_kind:     by_value
      - .address_space:  global
        .offset:         16
        .size:           8
        .value_kind:     global_buffer
      - .address_space:  global
        .offset:         24
        .size:           8
        .value_kind:     global_buffer
      - .address_space:  global
        .offset:         32
        .size:           8
        .value_kind:     global_buffer
      - .address_space:  global
        .offset:         40
        .size:           8
        .value_kind:     global_buffer
      - .address_space:  global
        .offset:         48
        .size:           8
        .value_kind:     global_buffer
      - .address_space:  global
        .offset:         56
        .size:           8
        .value_kind:     global_buffer
      - .offset:         64
        .size:           4
        .value_kind:     hidden_block_count_x
      - .offset:         68
        .size:           4
        .value_kind:     hidden_block_count_y
      - .offset:         72
        .size:           4
        .value_kind:     hidden_block_count_z
      - .offset:         76
        .size:           2
        .value_kind:     hidden_group_size_x
      - .offset:         78
        .size:           2
        .value_kind:     hidden_group_size_y
      - .offset:         80
        .size:           2
        .value_kind:     hidden_group_size_z
      - .offset:         82
        .size:           2
        .value_kind:     hidden_remainder_x
      - .offset:         84
        .size:           2
        .value_kind:     hidden_remainder_y
      - .offset:         86
        .size:           2
        .value_kind:     hidden_remainder_z
      - .offset:         104
        .size:           8
        .value_kind:     hidden_global_offset_x
      - .offset:         112
        .size:           8
        .value_kind:     hidden_global_offset_y
      - .offset:         120
        .size:           8
        .value_kind:     hidden_global_offset_z
      - .offset:         128
        .size:           2
        .value_kind:     hidden_grid_dims
    .group_segment_fixed_size: 0
    .kernarg_segment_align: 8
    .kernarg_segment_size: 320
    .language:       OpenCL C
    .language_version:
      - 2
      - 0
    .max_flat_workgroup_size: 1024
    .name:           _ZN2at6native12_GLOBAL__N_133GammaBetaBackwardSimpleCUDAKernelIddLb0EEEvllPKT_S5_PKT0_S8_PS3_S9_
    .private_segment_fixed_size: 0
    .sgpr_count:     26
    .sgpr_spill_count: 0
    .symbol:         _ZN2at6native12_GLOBAL__N_133GammaBetaBackwardSimpleCUDAKernelIddLb0EEEvllPKT_S5_PKT0_S8_PS3_S9_.kd
    .uniform_work_group_size: 1
    .uses_dynamic_stack: false
    .vgpr_count:     12
    .vgpr_spill_count: 0
    .wavefront_size: 32
    .workgroup_processor_mode: 1
  - .args:
      - .offset:         0
        .size:           8
        .value_kind:     by_value
      - .offset:         8
        .size:           8
        .value_kind:     by_value
      - .actual_access:  read_only
        .address_space:  global
        .offset:         16
        .size:           8
        .value_kind:     global_buffer
      - .actual_access:  read_only
        .address_space:  global
        .offset:         24
        .size:           8
        .value_kind:     global_buffer
      - .actual_access:  read_only
        .address_space:  global
        .offset:         32
        .size:           8
        .value_kind:     global_buffer
      - .actual_access:  read_only
        .address_space:  global
        .offset:         40
        .size:           8
        .value_kind:     global_buffer
      - .actual_access:  write_only
        .address_space:  global
        .offset:         48
        .size:           8
        .value_kind:     global_buffer
      - .actual_access:  write_only
        .address_space:  global
        .offset:         56
        .size:           8
        .value_kind:     global_buffer
      - .offset:         64
        .size:           4
        .value_kind:     hidden_block_count_x
      - .offset:         68
        .size:           4
        .value_kind:     hidden_block_count_y
      - .offset:         72
        .size:           4
        .value_kind:     hidden_block_count_z
      - .offset:         76
        .size:           2
        .value_kind:     hidden_group_size_x
      - .offset:         78
        .size:           2
        .value_kind:     hidden_group_size_y
      - .offset:         80
        .size:           2
        .value_kind:     hidden_group_size_z
      - .offset:         82
        .size:           2
        .value_kind:     hidden_remainder_x
      - .offset:         84
        .size:           2
        .value_kind:     hidden_remainder_y
      - .offset:         86
        .size:           2
        .value_kind:     hidden_remainder_z
      - .offset:         104
        .size:           8
        .value_kind:     hidden_global_offset_x
      - .offset:         112
        .size:           8
        .value_kind:     hidden_global_offset_y
      - .offset:         120
        .size:           8
        .value_kind:     hidden_global_offset_z
      - .offset:         128
        .size:           2
        .value_kind:     hidden_grid_dims
    .group_segment_fixed_size: 0
    .kernarg_segment_align: 8
    .kernarg_segment_size: 320
    .language:       OpenCL C
    .language_version:
      - 2
      - 0
    .max_flat_workgroup_size: 64
    .name:           _ZN2at6native12_GLOBAL__N_135GammaBetaBackwardCUDAKernelTemplateIddLj64ELj1ELj32ELb1ELb1ELb0EEEvllPKT_S5_PKT0_S8_PS3_S9_
    .private_segment_fixed_size: 0
    .sgpr_count:     32
    .sgpr_spill_count: 0
    .symbol:         _ZN2at6native12_GLOBAL__N_135GammaBetaBackwardCUDAKernelTemplateIddLj64ELj1ELj32ELb1ELb1ELb0EEEvllPKT_S5_PKT0_S8_PS3_S9_.kd
    .uniform_work_group_size: 1
    .uses_dynamic_stack: false
    .vgpr_count:     110
    .vgpr_spill_count: 0
    .wavefront_size: 32
    .workgroup_processor_mode: 1
  - .args:
      - .offset:         0
        .size:           8
        .value_kind:     by_value
      - .offset:         8
        .size:           8
        .value_kind:     by_value
      - .actual_access:  read_only
        .address_space:  global
        .offset:         16
        .size:           8
        .value_kind:     global_buffer
      - .actual_access:  read_only
        .address_space:  global
        .offset:         24
        .size:           8
        .value_kind:     global_buffer
      - .actual_access:  read_only
        .address_space:  global
        .offset:         32
        .size:           8
        .value_kind:     global_buffer
      - .actual_access:  read_only
        .address_space:  global
        .offset:         40
        .size:           8
        .value_kind:     global_buffer
      - .actual_access:  write_only
        .address_space:  global
        .offset:         48
        .size:           8
        .value_kind:     global_buffer
      - .actual_access:  write_only
        .address_space:  global
        .offset:         56
        .size:           8
        .value_kind:     global_buffer
      - .offset:         64
        .size:           4
        .value_kind:     hidden_block_count_x
      - .offset:         68
        .size:           4
        .value_kind:     hidden_block_count_y
      - .offset:         72
        .size:           4
        .value_kind:     hidden_block_count_z
      - .offset:         76
        .size:           2
        .value_kind:     hidden_group_size_x
      - .offset:         78
        .size:           2
        .value_kind:     hidden_group_size_y
      - .offset:         80
        .size:           2
        .value_kind:     hidden_group_size_z
      - .offset:         82
        .size:           2
        .value_kind:     hidden_remainder_x
      - .offset:         84
        .size:           2
        .value_kind:     hidden_remainder_y
      - .offset:         86
        .size:           2
        .value_kind:     hidden_remainder_z
      - .offset:         104
        .size:           8
        .value_kind:     hidden_global_offset_x
      - .offset:         112
        .size:           8
        .value_kind:     hidden_global_offset_y
      - .offset:         120
        .size:           8
        .value_kind:     hidden_global_offset_z
      - .offset:         128
        .size:           2
        .value_kind:     hidden_grid_dims
    .group_segment_fixed_size: 0
    .kernarg_segment_align: 8
    .kernarg_segment_size: 320
    .language:       OpenCL C
    .language_version:
      - 2
      - 0
    .max_flat_workgroup_size: 64
    .name:           _ZN2at6native12_GLOBAL__N_135GammaBetaBackwardCUDAKernelTemplateIddLj64ELj1ELj32ELb1ELb0ELb0EEEvllPKT_S5_PKT0_S8_PS3_S9_
    .private_segment_fixed_size: 616
    .sgpr_count:     42
    .sgpr_spill_count: 0
    .symbol:         _ZN2at6native12_GLOBAL__N_135GammaBetaBackwardCUDAKernelTemplateIddLj64ELj1ELj32ELb1ELb0ELb0EEEvllPKT_S5_PKT0_S8_PS3_S9_.kd
    .uniform_work_group_size: 1
    .uses_dynamic_stack: false
    .vgpr_count:     256
    .vgpr_spill_count: 361
    .wavefront_size: 32
    .workgroup_processor_mode: 1
  - .args:
      - .offset:         0
        .size:           8
        .value_kind:     by_value
      - .offset:         8
        .size:           8
        .value_kind:     by_value
      - .actual_access:  read_only
        .address_space:  global
        .offset:         16
        .size:           8
        .value_kind:     global_buffer
      - .actual_access:  read_only
        .address_space:  global
        .offset:         24
        .size:           8
        .value_kind:     global_buffer
      - .actual_access:  read_only
        .address_space:  global
        .offset:         32
        .size:           8
        .value_kind:     global_buffer
      - .actual_access:  read_only
        .address_space:  global
        .offset:         40
        .size:           8
        .value_kind:     global_buffer
      - .actual_access:  write_only
        .address_space:  global
        .offset:         48
        .size:           8
        .value_kind:     global_buffer
      - .actual_access:  write_only
        .address_space:  global
        .offset:         56
        .size:           8
        .value_kind:     global_buffer
      - .offset:         64
        .size:           4
        .value_kind:     hidden_block_count_x
      - .offset:         68
        .size:           4
        .value_kind:     hidden_block_count_y
      - .offset:         72
        .size:           4
        .value_kind:     hidden_block_count_z
      - .offset:         76
        .size:           2
        .value_kind:     hidden_group_size_x
      - .offset:         78
        .size:           2
        .value_kind:     hidden_group_size_y
      - .offset:         80
        .size:           2
        .value_kind:     hidden_group_size_z
      - .offset:         82
        .size:           2
        .value_kind:     hidden_remainder_x
      - .offset:         84
        .size:           2
        .value_kind:     hidden_remainder_y
      - .offset:         86
        .size:           2
        .value_kind:     hidden_remainder_z
      - .offset:         104
        .size:           8
        .value_kind:     hidden_global_offset_x
      - .offset:         112
        .size:           8
        .value_kind:     hidden_global_offset_y
      - .offset:         120
        .size:           8
        .value_kind:     hidden_global_offset_z
      - .offset:         128
        .size:           2
        .value_kind:     hidden_grid_dims
    .group_segment_fixed_size: 0
    .kernarg_segment_align: 8
    .kernarg_segment_size: 320
    .language:       OpenCL C
    .language_version:
      - 2
      - 0
    .max_flat_workgroup_size: 64
    .name:           _ZN2at6native12_GLOBAL__N_135GammaBetaBackwardCUDAKernelTemplateIddLj64ELj1ELj8ELb1ELb1ELb0EEEvllPKT_S5_PKT0_S8_PS3_S9_
    .private_segment_fixed_size: 0
    .sgpr_count:     34
    .sgpr_spill_count: 0
    .symbol:         _ZN2at6native12_GLOBAL__N_135GammaBetaBackwardCUDAKernelTemplateIddLj64ELj1ELj8ELb1ELb1ELb0EEEvllPKT_S5_PKT0_S8_PS3_S9_.kd
    .uniform_work_group_size: 1
    .uses_dynamic_stack: false
    .vgpr_count:     60
    .vgpr_spill_count: 0
    .wavefront_size: 32
    .workgroup_processor_mode: 1
  - .args:
      - .offset:         0
        .size:           8
        .value_kind:     by_value
      - .offset:         8
        .size:           8
        .value_kind:     by_value
      - .actual_access:  read_only
        .address_space:  global
        .offset:         16
        .size:           8
        .value_kind:     global_buffer
      - .actual_access:  read_only
        .address_space:  global
        .offset:         24
        .size:           8
        .value_kind:     global_buffer
      - .actual_access:  read_only
        .address_space:  global
        .offset:         32
        .size:           8
        .value_kind:     global_buffer
      - .actual_access:  read_only
        .address_space:  global
        .offset:         40
        .size:           8
        .value_kind:     global_buffer
      - .actual_access:  write_only
        .address_space:  global
        .offset:         48
        .size:           8
        .value_kind:     global_buffer
      - .actual_access:  write_only
        .address_space:  global
        .offset:         56
        .size:           8
        .value_kind:     global_buffer
      - .offset:         64
        .size:           4
        .value_kind:     hidden_block_count_x
      - .offset:         68
        .size:           4
        .value_kind:     hidden_block_count_y
      - .offset:         72
        .size:           4
        .value_kind:     hidden_block_count_z
      - .offset:         76
        .size:           2
        .value_kind:     hidden_group_size_x
      - .offset:         78
        .size:           2
        .value_kind:     hidden_group_size_y
      - .offset:         80
        .size:           2
        .value_kind:     hidden_group_size_z
      - .offset:         82
        .size:           2
        .value_kind:     hidden_remainder_x
      - .offset:         84
        .size:           2
        .value_kind:     hidden_remainder_y
      - .offset:         86
        .size:           2
        .value_kind:     hidden_remainder_z
      - .offset:         104
        .size:           8
        .value_kind:     hidden_global_offset_x
      - .offset:         112
        .size:           8
        .value_kind:     hidden_global_offset_y
      - .offset:         120
        .size:           8
        .value_kind:     hidden_global_offset_z
      - .offset:         128
        .size:           2
        .value_kind:     hidden_grid_dims
    .group_segment_fixed_size: 0
    .kernarg_segment_align: 8
    .kernarg_segment_size: 320
    .language:       OpenCL C
    .language_version:
      - 2
      - 0
    .max_flat_workgroup_size: 64
    .name:           _ZN2at6native12_GLOBAL__N_135GammaBetaBackwardCUDAKernelTemplateIddLj64ELj1ELj8ELb1ELb0ELb0EEEvllPKT_S5_PKT0_S8_PS3_S9_
    .private_segment_fixed_size: 0
    .sgpr_count:     34
    .sgpr_spill_count: 0
    .symbol:         _ZN2at6native12_GLOBAL__N_135GammaBetaBackwardCUDAKernelTemplateIddLj64ELj1ELj8ELb1ELb0ELb0EEEvllPKT_S5_PKT0_S8_PS3_S9_.kd
    .uniform_work_group_size: 1
    .uses_dynamic_stack: false
    .vgpr_count:     115
    .vgpr_spill_count: 0
    .wavefront_size: 32
    .workgroup_processor_mode: 1
  - .args:
      - .offset:         0
        .size:           8
        .value_kind:     by_value
      - .offset:         8
        .size:           8
        .value_kind:     by_value
      - .actual_access:  read_only
        .address_space:  global
        .offset:         16
        .size:           8
        .value_kind:     global_buffer
      - .actual_access:  read_only
        .address_space:  global
        .offset:         24
        .size:           8
        .value_kind:     global_buffer
      - .actual_access:  read_only
        .address_space:  global
        .offset:         32
        .size:           8
        .value_kind:     global_buffer
      - .actual_access:  read_only
        .address_space:  global
        .offset:         40
        .size:           8
        .value_kind:     global_buffer
      - .actual_access:  write_only
        .address_space:  global
        .offset:         48
        .size:           8
        .value_kind:     global_buffer
      - .actual_access:  write_only
        .address_space:  global
        .offset:         56
        .size:           8
        .value_kind:     global_buffer
      - .offset:         64
        .size:           4
        .value_kind:     hidden_block_count_x
      - .offset:         68
        .size:           4
        .value_kind:     hidden_block_count_y
      - .offset:         72
        .size:           4
        .value_kind:     hidden_block_count_z
      - .offset:         76
        .size:           2
        .value_kind:     hidden_group_size_x
      - .offset:         78
        .size:           2
        .value_kind:     hidden_group_size_y
      - .offset:         80
        .size:           2
        .value_kind:     hidden_group_size_z
      - .offset:         82
        .size:           2
        .value_kind:     hidden_remainder_x
      - .offset:         84
        .size:           2
        .value_kind:     hidden_remainder_y
      - .offset:         86
        .size:           2
        .value_kind:     hidden_remainder_z
      - .offset:         104
        .size:           8
        .value_kind:     hidden_global_offset_x
      - .offset:         112
        .size:           8
        .value_kind:     hidden_global_offset_y
      - .offset:         120
        .size:           8
        .value_kind:     hidden_global_offset_z
      - .offset:         128
        .size:           2
        .value_kind:     hidden_grid_dims
      - .offset:         184
        .size:           4
        .value_kind:     hidden_dynamic_lds_size
    .group_segment_fixed_size: 0
    .kernarg_segment_align: 8
    .kernarg_segment_size: 320
    .language:       OpenCL C
    .language_version:
      - 2
      - 0
    .max_flat_workgroup_size: 512
    .name:           _ZN2at6native12_GLOBAL__N_135GammaBetaBackwardCUDAKernelTemplateIddLj64ELj8ELj64ELb0ELb1ELb0EEEvllPKT_S5_PKT0_S8_PS3_S9_
    .private_segment_fixed_size: 0
    .sgpr_count:     30
    .sgpr_spill_count: 0
    .symbol:         _ZN2at6native12_GLOBAL__N_135GammaBetaBackwardCUDAKernelTemplateIddLj64ELj8ELj64ELb0ELb1ELb0EEEvllPKT_S5_PKT0_S8_PS3_S9_.kd
    .uniform_work_group_size: 1
    .uses_dynamic_stack: false
    .vgpr_count:     60
    .vgpr_spill_count: 0
    .wavefront_size: 32
    .workgroup_processor_mode: 1
  - .args:
      - .offset:         0
        .size:           8
        .value_kind:     by_value
      - .offset:         8
        .size:           8
        .value_kind:     by_value
      - .actual_access:  read_only
        .address_space:  global
        .offset:         16
        .size:           8
        .value_kind:     global_buffer
      - .actual_access:  read_only
        .address_space:  global
        .offset:         24
        .size:           8
        .value_kind:     global_buffer
      - .actual_access:  read_only
        .address_space:  global
        .offset:         32
        .size:           8
        .value_kind:     global_buffer
      - .actual_access:  read_only
        .address_space:  global
        .offset:         40
        .size:           8
        .value_kind:     global_buffer
      - .actual_access:  write_only
        .address_space:  global
        .offset:         48
        .size:           8
        .value_kind:     global_buffer
      - .actual_access:  write_only
        .address_space:  global
        .offset:         56
        .size:           8
        .value_kind:     global_buffer
      - .offset:         64
        .size:           4
        .value_kind:     hidden_block_count_x
      - .offset:         68
        .size:           4
        .value_kind:     hidden_block_count_y
      - .offset:         72
        .size:           4
        .value_kind:     hidden_block_count_z
      - .offset:         76
        .size:           2
        .value_kind:     hidden_group_size_x
      - .offset:         78
        .size:           2
        .value_kind:     hidden_group_size_y
      - .offset:         80
        .size:           2
        .value_kind:     hidden_group_size_z
      - .offset:         82
        .size:           2
        .value_kind:     hidden_remainder_x
      - .offset:         84
        .size:           2
        .value_kind:     hidden_remainder_y
      - .offset:         86
        .size:           2
        .value_kind:     hidden_remainder_z
      - .offset:         104
        .size:           8
        .value_kind:     hidden_global_offset_x
      - .offset:         112
        .size:           8
        .value_kind:     hidden_global_offset_y
      - .offset:         120
        .size:           8
        .value_kind:     hidden_global_offset_z
      - .offset:         128
        .size:           2
        .value_kind:     hidden_grid_dims
      - .offset:         184
        .size:           4
        .value_kind:     hidden_dynamic_lds_size
    .group_segment_fixed_size: 0
    .kernarg_segment_align: 8
    .kernarg_segment_size: 320
    .language:       OpenCL C
    .language_version:
      - 2
      - 0
    .max_flat_workgroup_size: 512
    .name:           _ZN2at6native12_GLOBAL__N_135GammaBetaBackwardCUDAKernelTemplateIddLj64ELj8ELj64ELb0ELb0ELb0EEEvllPKT_S5_PKT0_S8_PS3_S9_
    .private_segment_fixed_size: 0
    .sgpr_count:     34
    .sgpr_spill_count: 0
    .symbol:         _ZN2at6native12_GLOBAL__N_135GammaBetaBackwardCUDAKernelTemplateIddLj64ELj8ELj64ELb0ELb0ELb0EEEvllPKT_S5_PKT0_S8_PS3_S9_.kd
    .uniform_work_group_size: 1
    .uses_dynamic_stack: false
    .vgpr_count:     114
    .vgpr_spill_count: 0
    .wavefront_size: 32
    .workgroup_processor_mode: 1
  - .args:
      - .offset:         0
        .size:           8
        .value_kind:     by_value
      - .offset:         8
        .size:           8
        .value_kind:     by_value
      - .actual_access:  read_only
        .address_space:  global
        .offset:         16
        .size:           8
        .value_kind:     global_buffer
      - .actual_access:  read_only
        .address_space:  global
        .offset:         24
        .size:           8
        .value_kind:     global_buffer
      - .actual_access:  read_only
        .address_space:  global
        .offset:         32
        .size:           8
        .value_kind:     global_buffer
      - .actual_access:  read_only
        .address_space:  global
        .offset:         40
        .size:           8
        .value_kind:     global_buffer
      - .actual_access:  write_only
        .address_space:  global
        .offset:         48
        .size:           8
        .value_kind:     global_buffer
      - .actual_access:  write_only
        .address_space:  global
        .offset:         56
        .size:           8
        .value_kind:     global_buffer
      - .offset:         64
        .size:           4
        .value_kind:     hidden_block_count_x
      - .offset:         68
        .size:           4
        .value_kind:     hidden_block_count_y
      - .offset:         72
        .size:           4
        .value_kind:     hidden_block_count_z
      - .offset:         76
        .size:           2
        .value_kind:     hidden_group_size_x
      - .offset:         78
        .size:           2
        .value_kind:     hidden_group_size_y
      - .offset:         80
        .size:           2
        .value_kind:     hidden_group_size_z
      - .offset:         82
        .size:           2
        .value_kind:     hidden_remainder_x
      - .offset:         84
        .size:           2
        .value_kind:     hidden_remainder_y
      - .offset:         86
        .size:           2
        .value_kind:     hidden_remainder_z
      - .offset:         104
        .size:           8
        .value_kind:     hidden_global_offset_x
      - .offset:         112
        .size:           8
        .value_kind:     hidden_global_offset_y
      - .offset:         120
        .size:           8
        .value_kind:     hidden_global_offset_z
      - .offset:         128
        .size:           2
        .value_kind:     hidden_grid_dims
      - .offset:         184
        .size:           4
        .value_kind:     hidden_dynamic_lds_size
    .group_segment_fixed_size: 0
    .kernarg_segment_align: 8
    .kernarg_segment_size: 320
    .language:       OpenCL C
    .language_version:
      - 2
      - 0
    .max_flat_workgroup_size: 1024
    .name:           _ZN2at6native12_GLOBAL__N_135GammaBetaBackwardCUDAKernelTemplateIddLj64ELj16ELj128ELb0ELb1ELb0EEEvllPKT_S5_PKT0_S8_PS3_S9_
    .private_segment_fixed_size: 0
    .sgpr_count:     30
    .sgpr_spill_count: 0
    .symbol:         _ZN2at6native12_GLOBAL__N_135GammaBetaBackwardCUDAKernelTemplateIddLj64ELj16ELj128ELb0ELb1ELb0EEEvllPKT_S5_PKT0_S8_PS3_S9_.kd
    .uniform_work_group_size: 1
    .uses_dynamic_stack: false
    .vgpr_count:     60
    .vgpr_spill_count: 0
    .wavefront_size: 32
    .workgroup_processor_mode: 1
  - .args:
      - .offset:         0
        .size:           8
        .value_kind:     by_value
      - .offset:         8
        .size:           8
        .value_kind:     by_value
      - .actual_access:  read_only
        .address_space:  global
        .offset:         16
        .size:           8
        .value_kind:     global_buffer
      - .actual_access:  read_only
        .address_space:  global
        .offset:         24
        .size:           8
        .value_kind:     global_buffer
      - .actual_access:  read_only
        .address_space:  global
        .offset:         32
        .size:           8
        .value_kind:     global_buffer
      - .actual_access:  read_only
        .address_space:  global
        .offset:         40
        .size:           8
        .value_kind:     global_buffer
      - .actual_access:  write_only
        .address_space:  global
        .offset:         48
        .size:           8
        .value_kind:     global_buffer
      - .actual_access:  write_only
        .address_space:  global
        .offset:         56
        .size:           8
        .value_kind:     global_buffer
      - .offset:         64
        .size:           4
        .value_kind:     hidden_block_count_x
      - .offset:         68
        .size:           4
        .value_kind:     hidden_block_count_y
      - .offset:         72
        .size:           4
        .value_kind:     hidden_block_count_z
      - .offset:         76
        .size:           2
        .value_kind:     hidden_group_size_x
      - .offset:         78
        .size:           2
        .value_kind:     hidden_group_size_y
      - .offset:         80
        .size:           2
        .value_kind:     hidden_group_size_z
      - .offset:         82
        .size:           2
        .value_kind:     hidden_remainder_x
      - .offset:         84
        .size:           2
        .value_kind:     hidden_remainder_y
      - .offset:         86
        .size:           2
        .value_kind:     hidden_remainder_z
      - .offset:         104
        .size:           8
        .value_kind:     hidden_global_offset_x
      - .offset:         112
        .size:           8
        .value_kind:     hidden_global_offset_y
      - .offset:         120
        .size:           8
        .value_kind:     hidden_global_offset_z
      - .offset:         128
        .size:           2
        .value_kind:     hidden_grid_dims
      - .offset:         184
        .size:           4
        .value_kind:     hidden_dynamic_lds_size
    .group_segment_fixed_size: 0
    .kernarg_segment_align: 8
    .kernarg_segment_size: 320
    .language:       OpenCL C
    .language_version:
      - 2
      - 0
    .max_flat_workgroup_size: 1024
    .name:           _ZN2at6native12_GLOBAL__N_135GammaBetaBackwardCUDAKernelTemplateIddLj64ELj16ELj128ELb0ELb0ELb0EEEvllPKT_S5_PKT0_S8_PS3_S9_
    .private_segment_fixed_size: 0
    .sgpr_count:     34
    .sgpr_spill_count: 0
    .symbol:         _ZN2at6native12_GLOBAL__N_135GammaBetaBackwardCUDAKernelTemplateIddLj64ELj16ELj128ELb0ELb0ELb0EEEvllPKT_S5_PKT0_S8_PS3_S9_.kd
    .uniform_work_group_size: 1
    .uses_dynamic_stack: false
    .vgpr_count:     114
    .vgpr_spill_count: 0
    .wavefront_size: 32
    .workgroup_processor_mode: 1
  - .args:
      - .offset:         0
        .size:           8
        .value_kind:     by_value
      - .offset:         8
        .size:           8
        .value_kind:     by_value
      - .actual_access:  read_only
        .address_space:  global
        .offset:         16
        .size:           8
        .value_kind:     global_buffer
      - .actual_access:  read_only
        .address_space:  global
        .offset:         24
        .size:           8
        .value_kind:     global_buffer
      - .actual_access:  read_only
        .address_space:  global
        .offset:         32
        .size:           8
        .value_kind:     global_buffer
      - .actual_access:  read_only
        .address_space:  global
        .offset:         40
        .size:           8
        .value_kind:     global_buffer
      - .actual_access:  write_only
        .address_space:  global
        .offset:         48
        .size:           8
        .value_kind:     global_buffer
      - .actual_access:  write_only
        .address_space:  global
        .offset:         56
        .size:           8
        .value_kind:     global_buffer
      - .offset:         64
        .size:           4
        .value_kind:     hidden_block_count_x
      - .offset:         68
        .size:           4
        .value_kind:     hidden_block_count_y
      - .offset:         72
        .size:           4
        .value_kind:     hidden_block_count_z
      - .offset:         76
        .size:           2
        .value_kind:     hidden_group_size_x
      - .offset:         78
        .size:           2
        .value_kind:     hidden_group_size_y
      - .offset:         80
        .size:           2
        .value_kind:     hidden_group_size_z
      - .offset:         82
        .size:           2
        .value_kind:     hidden_remainder_x
      - .offset:         84
        .size:           2
        .value_kind:     hidden_remainder_y
      - .offset:         86
        .size:           2
        .value_kind:     hidden_remainder_z
      - .offset:         104
        .size:           8
        .value_kind:     hidden_global_offset_x
      - .offset:         112
        .size:           8
        .value_kind:     hidden_global_offset_y
      - .offset:         120
        .size:           8
        .value_kind:     hidden_global_offset_z
      - .offset:         128
        .size:           2
        .value_kind:     hidden_grid_dims
      - .offset:         184
        .size:           4
        .value_kind:     hidden_dynamic_lds_size
    .group_segment_fixed_size: 0
    .kernarg_segment_align: 8
    .kernarg_segment_size: 320
    .language:       OpenCL C
    .language_version:
      - 2
      - 0
    .max_flat_workgroup_size: 1024
    .name:           _ZN2at6native12_GLOBAL__N_135GammaBetaBackwardCUDAKernelTemplateIddLj64ELj16ELj256ELb0ELb1ELb0EEEvllPKT_S5_PKT0_S8_PS3_S9_
    .private_segment_fixed_size: 0
    .sgpr_count:     30
    .sgpr_spill_count: 0
    .symbol:         _ZN2at6native12_GLOBAL__N_135GammaBetaBackwardCUDAKernelTemplateIddLj64ELj16ELj256ELb0ELb1ELb0EEEvllPKT_S5_PKT0_S8_PS3_S9_.kd
    .uniform_work_group_size: 1
    .uses_dynamic_stack: false
    .vgpr_count:     60
    .vgpr_spill_count: 0
    .wavefront_size: 32
    .workgroup_processor_mode: 1
  - .args:
      - .offset:         0
        .size:           8
        .value_kind:     by_value
      - .offset:         8
        .size:           8
        .value_kind:     by_value
      - .actual_access:  read_only
        .address_space:  global
        .offset:         16
        .size:           8
        .value_kind:     global_buffer
      - .actual_access:  read_only
        .address_space:  global
        .offset:         24
        .size:           8
        .value_kind:     global_buffer
      - .actual_access:  read_only
        .address_space:  global
        .offset:         32
        .size:           8
        .value_kind:     global_buffer
      - .actual_access:  read_only
        .address_space:  global
        .offset:         40
        .size:           8
        .value_kind:     global_buffer
      - .actual_access:  write_only
        .address_space:  global
        .offset:         48
        .size:           8
        .value_kind:     global_buffer
      - .actual_access:  write_only
        .address_space:  global
        .offset:         56
        .size:           8
        .value_kind:     global_buffer
      - .offset:         64
        .size:           4
        .value_kind:     hidden_block_count_x
      - .offset:         68
        .size:           4
        .value_kind:     hidden_block_count_y
      - .offset:         72
        .size:           4
        .value_kind:     hidden_block_count_z
      - .offset:         76
        .size:           2
        .value_kind:     hidden_group_size_x
      - .offset:         78
        .size:           2
        .value_kind:     hidden_group_size_y
      - .offset:         80
        .size:           2
        .value_kind:     hidden_group_size_z
      - .offset:         82
        .size:           2
        .value_kind:     hidden_remainder_x
      - .offset:         84
        .size:           2
        .value_kind:     hidden_remainder_y
      - .offset:         86
        .size:           2
        .value_kind:     hidden_remainder_z
      - .offset:         104
        .size:           8
        .value_kind:     hidden_global_offset_x
      - .offset:         112
        .size:           8
        .value_kind:     hidden_global_offset_y
      - .offset:         120
        .size:           8
        .value_kind:     hidden_global_offset_z
      - .offset:         128
        .size:           2
        .value_kind:     hidden_grid_dims
      - .offset:         184
        .size:           4
        .value_kind:     hidden_dynamic_lds_size
    .group_segment_fixed_size: 0
    .kernarg_segment_align: 8
    .kernarg_segment_size: 320
    .language:       OpenCL C
    .language_version:
      - 2
      - 0
    .max_flat_workgroup_size: 1024
    .name:           _ZN2at6native12_GLOBAL__N_135GammaBetaBackwardCUDAKernelTemplateIddLj64ELj16ELj256ELb0ELb0ELb0EEEvllPKT_S5_PKT0_S8_PS3_S9_
    .private_segment_fixed_size: 328
    .sgpr_count:     42
    .sgpr_spill_count: 0
    .symbol:         _ZN2at6native12_GLOBAL__N_135GammaBetaBackwardCUDAKernelTemplateIddLj64ELj16ELj256ELb0ELb0ELb0EEEvllPKT_S5_PKT0_S8_PS3_S9_.kd
    .uniform_work_group_size: 1
    .uses_dynamic_stack: false
    .vgpr_count:     128
    .vgpr_spill_count: 195
    .wavefront_size: 32
    .workgroup_processor_mode: 1
  - .args:
      - .offset:         0
        .size:           8
        .value_kind:     by_value
      - .offset:         8
        .size:           8
        .value_kind:     by_value
      - .actual_access:  read_only
        .address_space:  global
        .offset:         16
        .size:           8
        .value_kind:     global_buffer
      - .actual_access:  read_only
        .address_space:  global
        .offset:         24
        .size:           8
        .value_kind:     global_buffer
      - .actual_access:  read_only
        .address_space:  global
        .offset:         32
        .size:           8
        .value_kind:     global_buffer
      - .actual_access:  read_only
        .address_space:  global
        .offset:         40
        .size:           8
        .value_kind:     global_buffer
      - .actual_access:  write_only
        .address_space:  global
        .offset:         48
        .size:           8
        .value_kind:     global_buffer
      - .actual_access:  write_only
        .address_space:  global
        .offset:         56
        .size:           8
        .value_kind:     global_buffer
      - .offset:         64
        .size:           4
        .value_kind:     hidden_block_count_x
      - .offset:         68
        .size:           4
        .value_kind:     hidden_block_count_y
      - .offset:         72
        .size:           4
        .value_kind:     hidden_block_count_z
      - .offset:         76
        .size:           2
        .value_kind:     hidden_group_size_x
      - .offset:         78
        .size:           2
        .value_kind:     hidden_group_size_y
      - .offset:         80
        .size:           2
        .value_kind:     hidden_group_size_z
      - .offset:         82
        .size:           2
        .value_kind:     hidden_remainder_x
      - .offset:         84
        .size:           2
        .value_kind:     hidden_remainder_y
      - .offset:         86
        .size:           2
        .value_kind:     hidden_remainder_z
      - .offset:         104
        .size:           8
        .value_kind:     hidden_global_offset_x
      - .offset:         112
        .size:           8
        .value_kind:     hidden_global_offset_y
      - .offset:         120
        .size:           8
        .value_kind:     hidden_global_offset_z
      - .offset:         128
        .size:           2
        .value_kind:     hidden_grid_dims
    .group_segment_fixed_size: 0
    .kernarg_segment_align: 8
    .kernarg_segment_size: 320
    .language:       OpenCL C
    .language_version:
      - 2
      - 0
    .max_flat_workgroup_size: 32
    .name:           _ZN2at6native12_GLOBAL__N_135GammaBetaBackwardCUDAKernelTemplateIddLj32ELj1ELj32ELb1ELb1ELb0EEEvllPKT_S5_PKT0_S8_PS3_S9_
    .private_segment_fixed_size: 0
    .sgpr_count:     32
    .sgpr_spill_count: 0
    .symbol:         _ZN2at6native12_GLOBAL__N_135GammaBetaBackwardCUDAKernelTemplateIddLj32ELj1ELj32ELb1ELb1ELb0EEEvllPKT_S5_PKT0_S8_PS3_S9_.kd
    .uniform_work_group_size: 1
    .uses_dynamic_stack: false
    .vgpr_count:     110
    .vgpr_spill_count: 0
    .wavefront_size: 32
    .workgroup_processor_mode: 1
  - .args:
      - .offset:         0
        .size:           8
        .value_kind:     by_value
      - .offset:         8
        .size:           8
        .value_kind:     by_value
      - .actual_access:  read_only
        .address_space:  global
        .offset:         16
        .size:           8
        .value_kind:     global_buffer
      - .actual_access:  read_only
        .address_space:  global
        .offset:         24
        .size:           8
        .value_kind:     global_buffer
      - .actual_access:  read_only
        .address_space:  global
        .offset:         32
        .size:           8
        .value_kind:     global_buffer
      - .actual_access:  read_only
        .address_space:  global
        .offset:         40
        .size:           8
        .value_kind:     global_buffer
      - .actual_access:  write_only
        .address_space:  global
        .offset:         48
        .size:           8
        .value_kind:     global_buffer
      - .actual_access:  write_only
        .address_space:  global
        .offset:         56
        .size:           8
        .value_kind:     global_buffer
      - .offset:         64
        .size:           4
        .value_kind:     hidden_block_count_x
      - .offset:         68
        .size:           4
        .value_kind:     hidden_block_count_y
      - .offset:         72
        .size:           4
        .value_kind:     hidden_block_count_z
      - .offset:         76
        .size:           2
        .value_kind:     hidden_group_size_x
      - .offset:         78
        .size:           2
        .value_kind:     hidden_group_size_y
      - .offset:         80
        .size:           2
        .value_kind:     hidden_group_size_z
      - .offset:         82
        .size:           2
        .value_kind:     hidden_remainder_x
      - .offset:         84
        .size:           2
        .value_kind:     hidden_remainder_y
      - .offset:         86
        .size:           2
        .value_kind:     hidden_remainder_z
      - .offset:         104
        .size:           8
        .value_kind:     hidden_global_offset_x
      - .offset:         112
        .size:           8
        .value_kind:     hidden_global_offset_y
      - .offset:         120
        .size:           8
        .value_kind:     hidden_global_offset_z
      - .offset:         128
        .size:           2
        .value_kind:     hidden_grid_dims
    .group_segment_fixed_size: 0
    .kernarg_segment_align: 8
    .kernarg_segment_size: 320
    .language:       OpenCL C
    .language_version:
      - 2
      - 0
    .max_flat_workgroup_size: 32
    .name:           _ZN2at6native12_GLOBAL__N_135GammaBetaBackwardCUDAKernelTemplateIddLj32ELj1ELj32ELb1ELb0ELb0EEEvllPKT_S5_PKT0_S8_PS3_S9_
    .private_segment_fixed_size: 616
    .sgpr_count:     42
    .sgpr_spill_count: 0
    .symbol:         _ZN2at6native12_GLOBAL__N_135GammaBetaBackwardCUDAKernelTemplateIddLj32ELj1ELj32ELb1ELb0ELb0EEEvllPKT_S5_PKT0_S8_PS3_S9_.kd
    .uniform_work_group_size: 1
    .uses_dynamic_stack: false
    .vgpr_count:     256
    .vgpr_spill_count: 361
    .wavefront_size: 32
    .workgroup_processor_mode: 1
  - .args:
      - .offset:         0
        .size:           8
        .value_kind:     by_value
      - .offset:         8
        .size:           8
        .value_kind:     by_value
      - .actual_access:  read_only
        .address_space:  global
        .offset:         16
        .size:           8
        .value_kind:     global_buffer
      - .actual_access:  read_only
        .address_space:  global
        .offset:         24
        .size:           8
        .value_kind:     global_buffer
      - .actual_access:  read_only
        .address_space:  global
        .offset:         32
        .size:           8
        .value_kind:     global_buffer
      - .actual_access:  read_only
        .address_space:  global
        .offset:         40
        .size:           8
        .value_kind:     global_buffer
      - .actual_access:  write_only
        .address_space:  global
        .offset:         48
        .size:           8
        .value_kind:     global_buffer
      - .actual_access:  write_only
        .address_space:  global
        .offset:         56
        .size:           8
        .value_kind:     global_buffer
      - .offset:         64
        .size:           4
        .value_kind:     hidden_block_count_x
      - .offset:         68
        .size:           4
        .value_kind:     hidden_block_count_y
      - .offset:         72
        .size:           4
        .value_kind:     hidden_block_count_z
      - .offset:         76
        .size:           2
        .value_kind:     hidden_group_size_x
      - .offset:         78
        .size:           2
        .value_kind:     hidden_group_size_y
      - .offset:         80
        .size:           2
        .value_kind:     hidden_group_size_z
      - .offset:         82
        .size:           2
        .value_kind:     hidden_remainder_x
      - .offset:         84
        .size:           2
        .value_kind:     hidden_remainder_y
      - .offset:         86
        .size:           2
        .value_kind:     hidden_remainder_z
      - .offset:         104
        .size:           8
        .value_kind:     hidden_global_offset_x
      - .offset:         112
        .size:           8
        .value_kind:     hidden_global_offset_y
      - .offset:         120
        .size:           8
        .value_kind:     hidden_global_offset_z
      - .offset:         128
        .size:           2
        .value_kind:     hidden_grid_dims
    .group_segment_fixed_size: 0
    .kernarg_segment_align: 8
    .kernarg_segment_size: 320
    .language:       OpenCL C
    .language_version:
      - 2
      - 0
    .max_flat_workgroup_size: 32
    .name:           _ZN2at6native12_GLOBAL__N_135GammaBetaBackwardCUDAKernelTemplateIddLj32ELj1ELj8ELb1ELb1ELb0EEEvllPKT_S5_PKT0_S8_PS3_S9_
    .private_segment_fixed_size: 0
    .sgpr_count:     34
    .sgpr_spill_count: 0
    .symbol:         _ZN2at6native12_GLOBAL__N_135GammaBetaBackwardCUDAKernelTemplateIddLj32ELj1ELj8ELb1ELb1ELb0EEEvllPKT_S5_PKT0_S8_PS3_S9_.kd
    .uniform_work_group_size: 1
    .uses_dynamic_stack: false
    .vgpr_count:     60
    .vgpr_spill_count: 0
    .wavefront_size: 32
    .workgroup_processor_mode: 1
  - .args:
      - .offset:         0
        .size:           8
        .value_kind:     by_value
      - .offset:         8
        .size:           8
        .value_kind:     by_value
      - .actual_access:  read_only
        .address_space:  global
        .offset:         16
        .size:           8
        .value_kind:     global_buffer
      - .actual_access:  read_only
        .address_space:  global
        .offset:         24
        .size:           8
        .value_kind:     global_buffer
      - .actual_access:  read_only
        .address_space:  global
        .offset:         32
        .size:           8
        .value_kind:     global_buffer
      - .actual_access:  read_only
        .address_space:  global
        .offset:         40
        .size:           8
        .value_kind:     global_buffer
      - .actual_access:  write_only
        .address_space:  global
        .offset:         48
        .size:           8
        .value_kind:     global_buffer
      - .actual_access:  write_only
        .address_space:  global
        .offset:         56
        .size:           8
        .value_kind:     global_buffer
      - .offset:         64
        .size:           4
        .value_kind:     hidden_block_count_x
      - .offset:         68
        .size:           4
        .value_kind:     hidden_block_count_y
      - .offset:         72
        .size:           4
        .value_kind:     hidden_block_count_z
      - .offset:         76
        .size:           2
        .value_kind:     hidden_group_size_x
      - .offset:         78
        .size:           2
        .value_kind:     hidden_group_size_y
      - .offset:         80
        .size:           2
        .value_kind:     hidden_group_size_z
      - .offset:         82
        .size:           2
        .value_kind:     hidden_remainder_x
      - .offset:         84
        .size:           2
        .value_kind:     hidden_remainder_y
      - .offset:         86
        .size:           2
        .value_kind:     hidden_remainder_z
      - .offset:         104
        .size:           8
        .value_kind:     hidden_global_offset_x
      - .offset:         112
        .size:           8
        .value_kind:     hidden_global_offset_y
      - .offset:         120
        .size:           8
        .value_kind:     hidden_global_offset_z
      - .offset:         128
        .size:           2
        .value_kind:     hidden_grid_dims
    .group_segment_fixed_size: 0
    .kernarg_segment_align: 8
    .kernarg_segment_size: 320
    .language:       OpenCL C
    .language_version:
      - 2
      - 0
    .max_flat_workgroup_size: 32
    .name:           _ZN2at6native12_GLOBAL__N_135GammaBetaBackwardCUDAKernelTemplateIddLj32ELj1ELj8ELb1ELb0ELb0EEEvllPKT_S5_PKT0_S8_PS3_S9_
    .private_segment_fixed_size: 0
    .sgpr_count:     34
    .sgpr_spill_count: 0
    .symbol:         _ZN2at6native12_GLOBAL__N_135GammaBetaBackwardCUDAKernelTemplateIddLj32ELj1ELj8ELb1ELb0ELb0EEEvllPKT_S5_PKT0_S8_PS3_S9_.kd
    .uniform_work_group_size: 1
    .uses_dynamic_stack: false
    .vgpr_count:     115
    .vgpr_spill_count: 0
    .wavefront_size: 32
    .workgroup_processor_mode: 1
  - .args:
      - .offset:         0
        .size:           8
        .value_kind:     by_value
      - .offset:         8
        .size:           8
        .value_kind:     by_value
      - .actual_access:  read_only
        .address_space:  global
        .offset:         16
        .size:           8
        .value_kind:     global_buffer
      - .actual_access:  read_only
        .address_space:  global
        .offset:         24
        .size:           8
        .value_kind:     global_buffer
      - .actual_access:  read_only
        .address_space:  global
        .offset:         32
        .size:           8
        .value_kind:     global_buffer
      - .actual_access:  read_only
        .address_space:  global
        .offset:         40
        .size:           8
        .value_kind:     global_buffer
      - .actual_access:  write_only
        .address_space:  global
        .offset:         48
        .size:           8
        .value_kind:     global_buffer
      - .actual_access:  write_only
        .address_space:  global
        .offset:         56
        .size:           8
        .value_kind:     global_buffer
      - .offset:         64
        .size:           4
        .value_kind:     hidden_block_count_x
      - .offset:         68
        .size:           4
        .value_kind:     hidden_block_count_y
      - .offset:         72
        .size:           4
        .value_kind:     hidden_block_count_z
      - .offset:         76
        .size:           2
        .value_kind:     hidden_group_size_x
      - .offset:         78
        .size:           2
        .value_kind:     hidden_group_size_y
      - .offset:         80
        .size:           2
        .value_kind:     hidden_group_size_z
      - .offset:         82
        .size:           2
        .value_kind:     hidden_remainder_x
      - .offset:         84
        .size:           2
        .value_kind:     hidden_remainder_y
      - .offset:         86
        .size:           2
        .value_kind:     hidden_remainder_z
      - .offset:         104
        .size:           8
        .value_kind:     hidden_global_offset_x
      - .offset:         112
        .size:           8
        .value_kind:     hidden_global_offset_y
      - .offset:         120
        .size:           8
        .value_kind:     hidden_global_offset_z
      - .offset:         128
        .size:           2
        .value_kind:     hidden_grid_dims
      - .offset:         184
        .size:           4
        .value_kind:     hidden_dynamic_lds_size
    .group_segment_fixed_size: 0
    .kernarg_segment_align: 8
    .kernarg_segment_size: 320
    .language:       OpenCL C
    .language_version:
      - 2
      - 0
    .max_flat_workgroup_size: 256
    .name:           _ZN2at6native12_GLOBAL__N_135GammaBetaBackwardCUDAKernelTemplateIddLj32ELj8ELj64ELb0ELb1ELb0EEEvllPKT_S5_PKT0_S8_PS3_S9_
    .private_segment_fixed_size: 0
    .sgpr_count:     30
    .sgpr_spill_count: 0
    .symbol:         _ZN2at6native12_GLOBAL__N_135GammaBetaBackwardCUDAKernelTemplateIddLj32ELj8ELj64ELb0ELb1ELb0EEEvllPKT_S5_PKT0_S8_PS3_S9_.kd
    .uniform_work_group_size: 1
    .uses_dynamic_stack: false
    .vgpr_count:     60
    .vgpr_spill_count: 0
    .wavefront_size: 32
    .workgroup_processor_mode: 1
  - .args:
      - .offset:         0
        .size:           8
        .value_kind:     by_value
      - .offset:         8
        .size:           8
        .value_kind:     by_value
      - .actual_access:  read_only
        .address_space:  global
        .offset:         16
        .size:           8
        .value_kind:     global_buffer
      - .actual_access:  read_only
        .address_space:  global
        .offset:         24
        .size:           8
        .value_kind:     global_buffer
      - .actual_access:  read_only
        .address_space:  global
        .offset:         32
        .size:           8
        .value_kind:     global_buffer
      - .actual_access:  read_only
        .address_space:  global
        .offset:         40
        .size:           8
        .value_kind:     global_buffer
      - .actual_access:  write_only
        .address_space:  global
        .offset:         48
        .size:           8
        .value_kind:     global_buffer
      - .actual_access:  write_only
        .address_space:  global
        .offset:         56
        .size:           8
        .value_kind:     global_buffer
      - .offset:         64
        .size:           4
        .value_kind:     hidden_block_count_x
      - .offset:         68
        .size:           4
        .value_kind:     hidden_block_count_y
      - .offset:         72
        .size:           4
        .value_kind:     hidden_block_count_z
      - .offset:         76
        .size:           2
        .value_kind:     hidden_group_size_x
      - .offset:         78
        .size:           2
        .value_kind:     hidden_group_size_y
      - .offset:         80
        .size:           2
        .value_kind:     hidden_group_size_z
      - .offset:         82
        .size:           2
        .value_kind:     hidden_remainder_x
      - .offset:         84
        .size:           2
        .value_kind:     hidden_remainder_y
      - .offset:         86
        .size:           2
        .value_kind:     hidden_remainder_z
      - .offset:         104
        .size:           8
        .value_kind:     hidden_global_offset_x
      - .offset:         112
        .size:           8
        .value_kind:     hidden_global_offset_y
      - .offset:         120
        .size:           8
        .value_kind:     hidden_global_offset_z
      - .offset:         128
        .size:           2
        .value_kind:     hidden_grid_dims
      - .offset:         184
        .size:           4
        .value_kind:     hidden_dynamic_lds_size
    .group_segment_fixed_size: 0
    .kernarg_segment_align: 8
    .kernarg_segment_size: 320
    .language:       OpenCL C
    .language_version:
      - 2
      - 0
    .max_flat_workgroup_size: 256
    .name:           _ZN2at6native12_GLOBAL__N_135GammaBetaBackwardCUDAKernelTemplateIddLj32ELj8ELj64ELb0ELb0ELb0EEEvllPKT_S5_PKT0_S8_PS3_S9_
    .private_segment_fixed_size: 0
    .sgpr_count:     34
    .sgpr_spill_count: 0
    .symbol:         _ZN2at6native12_GLOBAL__N_135GammaBetaBackwardCUDAKernelTemplateIddLj32ELj8ELj64ELb0ELb0ELb0EEEvllPKT_S5_PKT0_S8_PS3_S9_.kd
    .uniform_work_group_size: 1
    .uses_dynamic_stack: false
    .vgpr_count:     114
    .vgpr_spill_count: 0
    .wavefront_size: 32
    .workgroup_processor_mode: 1
  - .args:
      - .offset:         0
        .size:           8
        .value_kind:     by_value
      - .offset:         8
        .size:           8
        .value_kind:     by_value
      - .actual_access:  read_only
        .address_space:  global
        .offset:         16
        .size:           8
        .value_kind:     global_buffer
      - .actual_access:  read_only
        .address_space:  global
        .offset:         24
        .size:           8
        .value_kind:     global_buffer
      - .actual_access:  read_only
        .address_space:  global
        .offset:         32
        .size:           8
        .value_kind:     global_buffer
      - .actual_access:  read_only
        .address_space:  global
        .offset:         40
        .size:           8
        .value_kind:     global_buffer
      - .actual_access:  write_only
        .address_space:  global
        .offset:         48
        .size:           8
        .value_kind:     global_buffer
      - .actual_access:  write_only
        .address_space:  global
        .offset:         56
        .size:           8
        .value_kind:     global_buffer
      - .offset:         64
        .size:           4
        .value_kind:     hidden_block_count_x
      - .offset:         68
        .size:           4
        .value_kind:     hidden_block_count_y
      - .offset:         72
        .size:           4
        .value_kind:     hidden_block_count_z
      - .offset:         76
        .size:           2
        .value_kind:     hidden_group_size_x
      - .offset:         78
        .size:           2
        .value_kind:     hidden_group_size_y
      - .offset:         80
        .size:           2
        .value_kind:     hidden_group_size_z
      - .offset:         82
        .size:           2
        .value_kind:     hidden_remainder_x
      - .offset:         84
        .size:           2
        .value_kind:     hidden_remainder_y
      - .offset:         86
        .size:           2
        .value_kind:     hidden_remainder_z
      - .offset:         104
        .size:           8
        .value_kind:     hidden_global_offset_x
      - .offset:         112
        .size:           8
        .value_kind:     hidden_global_offset_y
      - .offset:         120
        .size:           8
        .value_kind:     hidden_global_offset_z
      - .offset:         128
        .size:           2
        .value_kind:     hidden_grid_dims
      - .offset:         184
        .size:           4
        .value_kind:     hidden_dynamic_lds_size
    .group_segment_fixed_size: 0
    .kernarg_segment_align: 8
    .kernarg_segment_size: 320
    .language:       OpenCL C
    .language_version:
      - 2
      - 0
    .max_flat_workgroup_size: 512
    .name:           _ZN2at6native12_GLOBAL__N_135GammaBetaBackwardCUDAKernelTemplateIddLj32ELj16ELj128ELb0ELb1ELb0EEEvllPKT_S5_PKT0_S8_PS3_S9_
    .private_segment_fixed_size: 0
    .sgpr_count:     30
    .sgpr_spill_count: 0
    .symbol:         _ZN2at6native12_GLOBAL__N_135GammaBetaBackwardCUDAKernelTemplateIddLj32ELj16ELj128ELb0ELb1ELb0EEEvllPKT_S5_PKT0_S8_PS3_S9_.kd
    .uniform_work_group_size: 1
    .uses_dynamic_stack: false
    .vgpr_count:     60
    .vgpr_spill_count: 0
    .wavefront_size: 32
    .workgroup_processor_mode: 1
  - .args:
      - .offset:         0
        .size:           8
        .value_kind:     by_value
      - .offset:         8
        .size:           8
        .value_kind:     by_value
      - .actual_access:  read_only
        .address_space:  global
        .offset:         16
        .size:           8
        .value_kind:     global_buffer
      - .actual_access:  read_only
        .address_space:  global
        .offset:         24
        .size:           8
        .value_kind:     global_buffer
      - .actual_access:  read_only
        .address_space:  global
        .offset:         32
        .size:           8
        .value_kind:     global_buffer
      - .actual_access:  read_only
        .address_space:  global
        .offset:         40
        .size:           8
        .value_kind:     global_buffer
      - .actual_access:  write_only
        .address_space:  global
        .offset:         48
        .size:           8
        .value_kind:     global_buffer
      - .actual_access:  write_only
        .address_space:  global
        .offset:         56
        .size:           8
        .value_kind:     global_buffer
      - .offset:         64
        .size:           4
        .value_kind:     hidden_block_count_x
      - .offset:         68
        .size:           4
        .value_kind:     hidden_block_count_y
      - .offset:         72
        .size:           4
        .value_kind:     hidden_block_count_z
      - .offset:         76
        .size:           2
        .value_kind:     hidden_group_size_x
      - .offset:         78
        .size:           2
        .value_kind:     hidden_group_size_y
      - .offset:         80
        .size:           2
        .value_kind:     hidden_group_size_z
      - .offset:         82
        .size:           2
        .value_kind:     hidden_remainder_x
      - .offset:         84
        .size:           2
        .value_kind:     hidden_remainder_y
      - .offset:         86
        .size:           2
        .value_kind:     hidden_remainder_z
      - .offset:         104
        .size:           8
        .value_kind:     hidden_global_offset_x
      - .offset:         112
        .size:           8
        .value_kind:     hidden_global_offset_y
      - .offset:         120
        .size:           8
        .value_kind:     hidden_global_offset_z
      - .offset:         128
        .size:           2
        .value_kind:     hidden_grid_dims
      - .offset:         184
        .size:           4
        .value_kind:     hidden_dynamic_lds_size
    .group_segment_fixed_size: 0
    .kernarg_segment_align: 8
    .kernarg_segment_size: 320
    .language:       OpenCL C
    .language_version:
      - 2
      - 0
    .max_flat_workgroup_size: 512
    .name:           _ZN2at6native12_GLOBAL__N_135GammaBetaBackwardCUDAKernelTemplateIddLj32ELj16ELj128ELb0ELb0ELb0EEEvllPKT_S5_PKT0_S8_PS3_S9_
    .private_segment_fixed_size: 0
    .sgpr_count:     34
    .sgpr_spill_count: 0
    .symbol:         _ZN2at6native12_GLOBAL__N_135GammaBetaBackwardCUDAKernelTemplateIddLj32ELj16ELj128ELb0ELb0ELb0EEEvllPKT_S5_PKT0_S8_PS3_S9_.kd
    .uniform_work_group_size: 1
    .uses_dynamic_stack: false
    .vgpr_count:     114
    .vgpr_spill_count: 0
    .wavefront_size: 32
    .workgroup_processor_mode: 1
  - .args:
      - .offset:         0
        .size:           8
        .value_kind:     by_value
      - .offset:         8
        .size:           8
        .value_kind:     by_value
      - .actual_access:  read_only
        .address_space:  global
        .offset:         16
        .size:           8
        .value_kind:     global_buffer
      - .actual_access:  read_only
        .address_space:  global
        .offset:         24
        .size:           8
        .value_kind:     global_buffer
      - .actual_access:  read_only
        .address_space:  global
        .offset:         32
        .size:           8
        .value_kind:     global_buffer
      - .actual_access:  read_only
        .address_space:  global
        .offset:         40
        .size:           8
        .value_kind:     global_buffer
      - .actual_access:  write_only
        .address_space:  global
        .offset:         48
        .size:           8
        .value_kind:     global_buffer
      - .actual_access:  write_only
        .address_space:  global
        .offset:         56
        .size:           8
        .value_kind:     global_buffer
      - .offset:         64
        .size:           4
        .value_kind:     hidden_block_count_x
      - .offset:         68
        .size:           4
        .value_kind:     hidden_block_count_y
      - .offset:         72
        .size:           4
        .value_kind:     hidden_block_count_z
      - .offset:         76
        .size:           2
        .value_kind:     hidden_group_size_x
      - .offset:         78
        .size:           2
        .value_kind:     hidden_group_size_y
      - .offset:         80
        .size:           2
        .value_kind:     hidden_group_size_z
      - .offset:         82
        .size:           2
        .value_kind:     hidden_remainder_x
      - .offset:         84
        .size:           2
        .value_kind:     hidden_remainder_y
      - .offset:         86
        .size:           2
        .value_kind:     hidden_remainder_z
      - .offset:         104
        .size:           8
        .value_kind:     hidden_global_offset_x
      - .offset:         112
        .size:           8
        .value_kind:     hidden_global_offset_y
      - .offset:         120
        .size:           8
        .value_kind:     hidden_global_offset_z
      - .offset:         128
        .size:           2
        .value_kind:     hidden_grid_dims
      - .offset:         184
        .size:           4
        .value_kind:     hidden_dynamic_lds_size
    .group_segment_fixed_size: 0
    .kernarg_segment_align: 8
    .kernarg_segment_size: 320
    .language:       OpenCL C
    .language_version:
      - 2
      - 0
    .max_flat_workgroup_size: 1024
    .name:           _ZN2at6native12_GLOBAL__N_135GammaBetaBackwardCUDAKernelTemplateIddLj32ELj32ELj256ELb0ELb1ELb0EEEvllPKT_S5_PKT0_S8_PS3_S9_
    .private_segment_fixed_size: 0
    .sgpr_count:     30
    .sgpr_spill_count: 0
    .symbol:         _ZN2at6native12_GLOBAL__N_135GammaBetaBackwardCUDAKernelTemplateIddLj32ELj32ELj256ELb0ELb1ELb0EEEvllPKT_S5_PKT0_S8_PS3_S9_.kd
    .uniform_work_group_size: 1
    .uses_dynamic_stack: false
    .vgpr_count:     60
    .vgpr_spill_count: 0
    .wavefront_size: 32
    .workgroup_processor_mode: 1
  - .args:
      - .offset:         0
        .size:           8
        .value_kind:     by_value
      - .offset:         8
        .size:           8
        .value_kind:     by_value
      - .actual_access:  read_only
        .address_space:  global
        .offset:         16
        .size:           8
        .value_kind:     global_buffer
      - .actual_access:  read_only
        .address_space:  global
        .offset:         24
        .size:           8
        .value_kind:     global_buffer
      - .actual_access:  read_only
        .address_space:  global
        .offset:         32
        .size:           8
        .value_kind:     global_buffer
      - .actual_access:  read_only
        .address_space:  global
        .offset:         40
        .size:           8
        .value_kind:     global_buffer
      - .actual_access:  write_only
        .address_space:  global
        .offset:         48
        .size:           8
        .value_kind:     global_buffer
      - .actual_access:  write_only
        .address_space:  global
        .offset:         56
        .size:           8
        .value_kind:     global_buffer
      - .offset:         64
        .size:           4
        .value_kind:     hidden_block_count_x
      - .offset:         68
        .size:           4
        .value_kind:     hidden_block_count_y
      - .offset:         72
        .size:           4
        .value_kind:     hidden_block_count_z
      - .offset:         76
        .size:           2
        .value_kind:     hidden_group_size_x
      - .offset:         78
        .size:           2
        .value_kind:     hidden_group_size_y
      - .offset:         80
        .size:           2
        .value_kind:     hidden_group_size_z
      - .offset:         82
        .size:           2
        .value_kind:     hidden_remainder_x
      - .offset:         84
        .size:           2
        .value_kind:     hidden_remainder_y
      - .offset:         86
        .size:           2
        .value_kind:     hidden_remainder_z
      - .offset:         104
        .size:           8
        .value_kind:     hidden_global_offset_x
      - .offset:         112
        .size:           8
        .value_kind:     hidden_global_offset_y
      - .offset:         120
        .size:           8
        .value_kind:     hidden_global_offset_z
      - .offset:         128
        .size:           2
        .value_kind:     hidden_grid_dims
      - .offset:         184
        .size:           4
        .value_kind:     hidden_dynamic_lds_size
    .group_segment_fixed_size: 0
    .kernarg_segment_align: 8
    .kernarg_segment_size: 320
    .language:       OpenCL C
    .language_version:
      - 2
      - 0
    .max_flat_workgroup_size: 1024
    .name:           _ZN2at6native12_GLOBAL__N_135GammaBetaBackwardCUDAKernelTemplateIddLj32ELj32ELj256ELb0ELb0ELb0EEEvllPKT_S5_PKT0_S8_PS3_S9_
    .private_segment_fixed_size: 0
    .sgpr_count:     34
    .sgpr_spill_count: 0
    .symbol:         _ZN2at6native12_GLOBAL__N_135GammaBetaBackwardCUDAKernelTemplateIddLj32ELj32ELj256ELb0ELb0ELb0EEEvllPKT_S5_PKT0_S8_PS3_S9_.kd
    .uniform_work_group_size: 1
    .uses_dynamic_stack: false
    .vgpr_count:     114
    .vgpr_spill_count: 0
    .wavefront_size: 32
    .workgroup_processor_mode: 1
  - .args:
      - .actual_access:  read_only
        .address_space:  global
        .offset:         0
        .size:           8
        .value_kind:     global_buffer
      - .actual_access:  read_only
        .address_space:  global
        .offset:         8
        .size:           8
        .value_kind:     global_buffer
      - .offset:         16
        .size:           8
        .value_kind:     by_value
      - .offset:         24
        .size:           8
        .value_kind:     by_value
      - .actual_access:  read_only
        .address_space:  global
        .offset:         32
        .size:           8
        .value_kind:     global_buffer
      - .actual_access:  read_only
        .address_space:  global
        .offset:         40
        .size:           8
        .value_kind:     global_buffer
      - .address_space:  global
        .offset:         48
        .size:           8
        .value_kind:     global_buffer
      - .address_space:  global
        .offset:         56
        .size:           8
        .value_kind:     global_buffer
      - .offset:         64
        .size:           4
        .value_kind:     hidden_block_count_x
      - .offset:         68
        .size:           4
        .value_kind:     hidden_block_count_y
      - .offset:         72
        .size:           4
        .value_kind:     hidden_block_count_z
      - .offset:         76
        .size:           2
        .value_kind:     hidden_group_size_x
      - .offset:         78
        .size:           2
        .value_kind:     hidden_group_size_y
      - .offset:         80
        .size:           2
        .value_kind:     hidden_group_size_z
      - .offset:         82
        .size:           2
        .value_kind:     hidden_remainder_x
      - .offset:         84
        .size:           2
        .value_kind:     hidden_remainder_y
      - .offset:         86
        .size:           2
        .value_kind:     hidden_remainder_z
      - .offset:         104
        .size:           8
        .value_kind:     hidden_global_offset_x
      - .offset:         112
        .size:           8
        .value_kind:     hidden_global_offset_y
      - .offset:         120
        .size:           8
        .value_kind:     hidden_global_offset_z
      - .offset:         128
        .size:           2
        .value_kind:     hidden_grid_dims
      - .offset:         184
        .size:           4
        .value_kind:     hidden_dynamic_lds_size
    .group_segment_fixed_size: 0
    .kernarg_segment_align: 8
    .kernarg_segment_size: 320
    .language:       OpenCL C
    .language_version:
      - 2
      - 0
    .max_flat_workgroup_size: 1024
    .name:           _ZN2at6native12_GLOBAL__N_118cuComputeGradInputIffLb0EEEvPKT_S5_llPKT0_S8_S5_PS3_
    .private_segment_fixed_size: 0
    .sgpr_count:     44
    .sgpr_spill_count: 0
    .symbol:         _ZN2at6native12_GLOBAL__N_118cuComputeGradInputIffLb0EEEvPKT_S5_llPKT0_S8_S5_PS3_.kd
    .uniform_work_group_size: 1
    .uses_dynamic_stack: false
    .vgpr_count:     25
    .vgpr_spill_count: 0
    .wavefront_size: 32
    .workgroup_processor_mode: 1
  - .args:
      - .actual_access:  read_only
        .address_space:  global
        .offset:         0
        .size:           8
        .value_kind:     global_buffer
      - .actual_access:  read_only
        .address_space:  global
        .offset:         8
        .size:           8
        .value_kind:     global_buffer
      - .actual_access:  read_only
        .address_space:  global
        .offset:         16
        .size:           8
        .value_kind:     global_buffer
      - .actual_access:  read_only
        .address_space:  global
        .offset:         24
        .size:           8
        .value_kind:     global_buffer
      - .actual_access:  read_only
        .address_space:  global
        .offset:         32
        .size:           8
        .value_kind:     global_buffer
      - .address_space:  global
        .offset:         40
        .size:           8
        .value_kind:     global_buffer
      - .offset:         48
        .size:           4
        .value_kind:     by_value
      - .offset:         56
        .size:           4
        .value_kind:     hidden_block_count_x
      - .offset:         60
        .size:           4
        .value_kind:     hidden_block_count_y
      - .offset:         64
        .size:           4
        .value_kind:     hidden_block_count_z
      - .offset:         68
        .size:           2
        .value_kind:     hidden_group_size_x
      - .offset:         70
        .size:           2
        .value_kind:     hidden_group_size_y
      - .offset:         72
        .size:           2
        .value_kind:     hidden_group_size_z
      - .offset:         74
        .size:           2
        .value_kind:     hidden_remainder_x
      - .offset:         76
        .size:           2
        .value_kind:     hidden_remainder_y
      - .offset:         78
        .size:           2
        .value_kind:     hidden_remainder_z
      - .offset:         96
        .size:           8
        .value_kind:     hidden_global_offset_x
      - .offset:         104
        .size:           8
        .value_kind:     hidden_global_offset_y
      - .offset:         112
        .size:           8
        .value_kind:     hidden_global_offset_z
      - .offset:         120
        .size:           2
        .value_kind:     hidden_grid_dims
      - .offset:         176
        .size:           4
        .value_kind:     hidden_dynamic_lds_size
    .group_segment_fixed_size: 0
    .kernarg_segment_align: 8
    .kernarg_segment_size: 312
    .language:       OpenCL C
    .language_version:
      - 2
      - 0
    .max_flat_workgroup_size: 1024
    .name:           _ZN2at6native12_GLOBAL__N_128layer_norm_grad_input_kernelIffLb0EEEvPKT_S5_PKT0_S8_S5_PS3_i
    .private_segment_fixed_size: 0
    .sgpr_count:     23
    .sgpr_spill_count: 0
    .symbol:         _ZN2at6native12_GLOBAL__N_128layer_norm_grad_input_kernelIffLb0EEEvPKT_S5_PKT0_S8_S5_PS3_i.kd
    .uniform_work_group_size: 1
    .uses_dynamic_stack: false
    .vgpr_count:     21
    .vgpr_spill_count: 0
    .wavefront_size: 32
    .workgroup_processor_mode: 1
  - .args:
      - .offset:         0
        .size:           8
        .value_kind:     by_value
      - .offset:         8
        .size:           8
        .value_kind:     by_value
      - .address_space:  global
        .offset:         16
        .size:           8
        .value_kind:     global_buffer
      - .address_space:  global
        .offset:         24
        .size:           8
        .value_kind:     global_buffer
      - .address_space:  global
        .offset:         32
        .size:           8
        .value_kind:     global_buffer
      - .address_space:  global
        .offset:         40
        .size:           8
        .value_kind:     global_buffer
      - .address_space:  global
        .offset:         48
        .size:           8
        .value_kind:     global_buffer
      - .address_space:  global
        .offset:         56
        .size:           8
        .value_kind:     global_buffer
      - .offset:         64
        .size:           4
        .value_kind:     hidden_block_count_x
      - .offset:         68
        .size:           4
        .value_kind:     hidden_block_count_y
      - .offset:         72
        .size:           4
        .value_kind:     hidden_block_count_z
      - .offset:         76
        .size:           2
        .value_kind:     hidden_group_size_x
      - .offset:         78
        .size:           2
        .value_kind:     hidden_group_size_y
      - .offset:         80
        .size:           2
        .value_kind:     hidden_group_size_z
      - .offset:         82
        .size:           2
        .value_kind:     hidden_remainder_x
      - .offset:         84
        .size:           2
        .value_kind:     hidden_remainder_y
      - .offset:         86
        .size:           2
        .value_kind:     hidden_remainder_z
      - .offset:         104
        .size:           8
        .value_kind:     hidden_global_offset_x
      - .offset:         112
        .size:           8
        .value_kind:     hidden_global_offset_y
      - .offset:         120
        .size:           8
        .value_kind:     hidden_global_offset_z
      - .offset:         128
        .size:           2
        .value_kind:     hidden_grid_dims
    .group_segment_fixed_size: 0
    .kernarg_segment_align: 8
    .kernarg_segment_size: 320
    .language:       OpenCL C
    .language_version:
      - 2
      - 0
    .max_flat_workgroup_size: 1024
    .name:           _ZN2at6native12_GLOBAL__N_133GammaBetaBackwardSimpleCUDAKernelIffLb0EEEvllPKT_S5_PKT0_S8_PS3_S9_
    .private_segment_fixed_size: 0
    .sgpr_count:     26
    .sgpr_spill_count: 0
    .symbol:         _ZN2at6native12_GLOBAL__N_133GammaBetaBackwardSimpleCUDAKernelIffLb0EEEvllPKT_S5_PKT0_S8_PS3_S9_.kd
    .uniform_work_group_size: 1
    .uses_dynamic_stack: false
    .vgpr_count:     10
    .vgpr_spill_count: 0
    .wavefront_size: 32
    .workgroup_processor_mode: 1
  - .args:
      - .offset:         0
        .size:           8
        .value_kind:     by_value
      - .offset:         8
        .size:           8
        .value_kind:     by_value
      - .actual_access:  read_only
        .address_space:  global
        .offset:         16
        .size:           8
        .value_kind:     global_buffer
      - .actual_access:  read_only
        .address_space:  global
        .offset:         24
        .size:           8
        .value_kind:     global_buffer
      - .actual_access:  read_only
        .address_space:  global
        .offset:         32
        .size:           8
        .value_kind:     global_buffer
      - .actual_access:  read_only
        .address_space:  global
        .offset:         40
        .size:           8
        .value_kind:     global_buffer
      - .actual_access:  write_only
        .address_space:  global
        .offset:         48
        .size:           8
        .value_kind:     global_buffer
      - .actual_access:  write_only
        .address_space:  global
        .offset:         56
        .size:           8
        .value_kind:     global_buffer
      - .offset:         64
        .size:           4
        .value_kind:     hidden_block_count_x
      - .offset:         68
        .size:           4
        .value_kind:     hidden_block_count_y
      - .offset:         72
        .size:           4
        .value_kind:     hidden_block_count_z
      - .offset:         76
        .size:           2
        .value_kind:     hidden_group_size_x
      - .offset:         78
        .size:           2
        .value_kind:     hidden_group_size_y
      - .offset:         80
        .size:           2
        .value_kind:     hidden_group_size_z
      - .offset:         82
        .size:           2
        .value_kind:     hidden_remainder_x
      - .offset:         84
        .size:           2
        .value_kind:     hidden_remainder_y
      - .offset:         86
        .size:           2
        .value_kind:     hidden_remainder_z
      - .offset:         104
        .size:           8
        .value_kind:     hidden_global_offset_x
      - .offset:         112
        .size:           8
        .value_kind:     hidden_global_offset_y
      - .offset:         120
        .size:           8
        .value_kind:     hidden_global_offset_z
      - .offset:         128
        .size:           2
        .value_kind:     hidden_grid_dims
    .group_segment_fixed_size: 0
    .kernarg_segment_align: 8
    .kernarg_segment_size: 320
    .language:       OpenCL C
    .language_version:
      - 2
      - 0
    .max_flat_workgroup_size: 64
    .name:           _ZN2at6native12_GLOBAL__N_135GammaBetaBackwardCUDAKernelTemplateIffLj64ELj1ELj32ELb1ELb1ELb0EEEvllPKT_S5_PKT0_S8_PS3_S9_
    .private_segment_fixed_size: 0
    .sgpr_count:     34
    .sgpr_spill_count: 0
    .symbol:         _ZN2at6native12_GLOBAL__N_135GammaBetaBackwardCUDAKernelTemplateIffLj64ELj1ELj32ELb1ELb1ELb0EEEvllPKT_S5_PKT0_S8_PS3_S9_.kd
    .uniform_work_group_size: 1
    .uses_dynamic_stack: false
    .vgpr_count:     88
    .vgpr_spill_count: 0
    .wavefront_size: 32
    .workgroup_processor_mode: 1
  - .args:
      - .offset:         0
        .size:           8
        .value_kind:     by_value
      - .offset:         8
        .size:           8
        .value_kind:     by_value
      - .actual_access:  read_only
        .address_space:  global
        .offset:         16
        .size:           8
        .value_kind:     global_buffer
      - .actual_access:  read_only
        .address_space:  global
        .offset:         24
        .size:           8
        .value_kind:     global_buffer
      - .actual_access:  read_only
        .address_space:  global
        .offset:         32
        .size:           8
        .value_kind:     global_buffer
      - .actual_access:  read_only
        .address_space:  global
        .offset:         40
        .size:           8
        .value_kind:     global_buffer
      - .actual_access:  write_only
        .address_space:  global
        .offset:         48
        .size:           8
        .value_kind:     global_buffer
      - .actual_access:  write_only
        .address_space:  global
        .offset:         56
        .size:           8
        .value_kind:     global_buffer
      - .offset:         64
        .size:           4
        .value_kind:     hidden_block_count_x
      - .offset:         68
        .size:           4
        .value_kind:     hidden_block_count_y
      - .offset:         72
        .size:           4
        .value_kind:     hidden_block_count_z
      - .offset:         76
        .size:           2
        .value_kind:     hidden_group_size_x
      - .offset:         78
        .size:           2
        .value_kind:     hidden_group_size_y
      - .offset:         80
        .size:           2
        .value_kind:     hidden_group_size_z
      - .offset:         82
        .size:           2
        .value_kind:     hidden_remainder_x
      - .offset:         84
        .size:           2
        .value_kind:     hidden_remainder_y
      - .offset:         86
        .size:           2
        .value_kind:     hidden_remainder_z
      - .offset:         104
        .size:           8
        .value_kind:     hidden_global_offset_x
      - .offset:         112
        .size:           8
        .value_kind:     hidden_global_offset_y
      - .offset:         120
        .size:           8
        .value_kind:     hidden_global_offset_z
      - .offset:         128
        .size:           2
        .value_kind:     hidden_grid_dims
    .group_segment_fixed_size: 0
    .kernarg_segment_align: 8
    .kernarg_segment_size: 320
    .language:       OpenCL C
    .language_version:
      - 2
      - 0
    .max_flat_workgroup_size: 64
    .name:           _ZN2at6native12_GLOBAL__N_135GammaBetaBackwardCUDAKernelTemplateIffLj64ELj1ELj32ELb1ELb0ELb0EEEvllPKT_S5_PKT0_S8_PS3_S9_
    .private_segment_fixed_size: 316
    .sgpr_count:     42
    .sgpr_spill_count: 0
    .symbol:         _ZN2at6native12_GLOBAL__N_135GammaBetaBackwardCUDAKernelTemplateIffLj64ELj1ELj32ELb1ELb0ELb0EEEvllPKT_S5_PKT0_S8_PS3_S9_.kd
    .uniform_work_group_size: 1
    .uses_dynamic_stack: false
    .vgpr_count:     256
    .vgpr_spill_count: 152
    .wavefront_size: 32
    .workgroup_processor_mode: 1
  - .args:
      - .offset:         0
        .size:           8
        .value_kind:     by_value
      - .offset:         8
        .size:           8
        .value_kind:     by_value
      - .actual_access:  read_only
        .address_space:  global
        .offset:         16
        .size:           8
        .value_kind:     global_buffer
      - .actual_access:  read_only
        .address_space:  global
        .offset:         24
        .size:           8
        .value_kind:     global_buffer
      - .actual_access:  read_only
        .address_space:  global
        .offset:         32
        .size:           8
        .value_kind:     global_buffer
      - .actual_access:  read_only
        .address_space:  global
        .offset:         40
        .size:           8
        .value_kind:     global_buffer
      - .actual_access:  write_only
        .address_space:  global
        .offset:         48
        .size:           8
        .value_kind:     global_buffer
      - .actual_access:  write_only
        .address_space:  global
        .offset:         56
        .size:           8
        .value_kind:     global_buffer
      - .offset:         64
        .size:           4
        .value_kind:     hidden_block_count_x
      - .offset:         68
        .size:           4
        .value_kind:     hidden_block_count_y
      - .offset:         72
        .size:           4
        .value_kind:     hidden_block_count_z
      - .offset:         76
        .size:           2
        .value_kind:     hidden_group_size_x
      - .offset:         78
        .size:           2
        .value_kind:     hidden_group_size_y
      - .offset:         80
        .size:           2
        .value_kind:     hidden_group_size_z
      - .offset:         82
        .size:           2
        .value_kind:     hidden_remainder_x
      - .offset:         84
        .size:           2
        .value_kind:     hidden_remainder_y
      - .offset:         86
        .size:           2
        .value_kind:     hidden_remainder_z
      - .offset:         104
        .size:           8
        .value_kind:     hidden_global_offset_x
      - .offset:         112
        .size:           8
        .value_kind:     hidden_global_offset_y
      - .offset:         120
        .size:           8
        .value_kind:     hidden_global_offset_z
      - .offset:         128
        .size:           2
        .value_kind:     hidden_grid_dims
    .group_segment_fixed_size: 0
    .kernarg_segment_align: 8
    .kernarg_segment_size: 320
    .language:       OpenCL C
    .language_version:
      - 2
      - 0
    .max_flat_workgroup_size: 64
    .name:           _ZN2at6native12_GLOBAL__N_135GammaBetaBackwardCUDAKernelTemplateIffLj64ELj1ELj8ELb1ELb1ELb0EEEvllPKT_S5_PKT0_S8_PS3_S9_
    .private_segment_fixed_size: 0
    .sgpr_count:     34
    .sgpr_spill_count: 0
    .symbol:         _ZN2at6native12_GLOBAL__N_135GammaBetaBackwardCUDAKernelTemplateIffLj64ELj1ELj8ELb1ELb1ELb0EEEvllPKT_S5_PKT0_S8_PS3_S9_.kd
    .uniform_work_group_size: 1
    .uses_dynamic_stack: false
    .vgpr_count:     44
    .vgpr_spill_count: 0
    .wavefront_size: 32
    .workgroup_processor_mode: 1
  - .args:
      - .offset:         0
        .size:           8
        .value_kind:     by_value
      - .offset:         8
        .size:           8
        .value_kind:     by_value
      - .actual_access:  read_only
        .address_space:  global
        .offset:         16
        .size:           8
        .value_kind:     global_buffer
      - .actual_access:  read_only
        .address_space:  global
        .offset:         24
        .size:           8
        .value_kind:     global_buffer
      - .actual_access:  read_only
        .address_space:  global
        .offset:         32
        .size:           8
        .value_kind:     global_buffer
      - .actual_access:  read_only
        .address_space:  global
        .offset:         40
        .size:           8
        .value_kind:     global_buffer
      - .actual_access:  write_only
        .address_space:  global
        .offset:         48
        .size:           8
        .value_kind:     global_buffer
      - .actual_access:  write_only
        .address_space:  global
        .offset:         56
        .size:           8
        .value_kind:     global_buffer
      - .offset:         64
        .size:           4
        .value_kind:     hidden_block_count_x
      - .offset:         68
        .size:           4
        .value_kind:     hidden_block_count_y
      - .offset:         72
        .size:           4
        .value_kind:     hidden_block_count_z
      - .offset:         76
        .size:           2
        .value_kind:     hidden_group_size_x
      - .offset:         78
        .size:           2
        .value_kind:     hidden_group_size_y
      - .offset:         80
        .size:           2
        .value_kind:     hidden_group_size_z
      - .offset:         82
        .size:           2
        .value_kind:     hidden_remainder_x
      - .offset:         84
        .size:           2
        .value_kind:     hidden_remainder_y
      - .offset:         86
        .size:           2
        .value_kind:     hidden_remainder_z
      - .offset:         104
        .size:           8
        .value_kind:     hidden_global_offset_x
      - .offset:         112
        .size:           8
        .value_kind:     hidden_global_offset_y
      - .offset:         120
        .size:           8
        .value_kind:     hidden_global_offset_z
      - .offset:         128
        .size:           2
        .value_kind:     hidden_grid_dims
    .group_segment_fixed_size: 0
    .kernarg_segment_align: 8
    .kernarg_segment_size: 320
    .language:       OpenCL C
    .language_version:
      - 2
      - 0
    .max_flat_workgroup_size: 64
    .name:           _ZN2at6native12_GLOBAL__N_135GammaBetaBackwardCUDAKernelTemplateIffLj64ELj1ELj8ELb1ELb0ELb0EEEvllPKT_S5_PKT0_S8_PS3_S9_
    .private_segment_fixed_size: 0
    .sgpr_count:     34
    .sgpr_spill_count: 0
    .symbol:         _ZN2at6native12_GLOBAL__N_135GammaBetaBackwardCUDAKernelTemplateIffLj64ELj1ELj8ELb1ELb0ELb0EEEvllPKT_S5_PKT0_S8_PS3_S9_.kd
    .uniform_work_group_size: 1
    .uses_dynamic_stack: false
    .vgpr_count:     95
    .vgpr_spill_count: 0
    .wavefront_size: 32
    .workgroup_processor_mode: 1
  - .args:
      - .offset:         0
        .size:           8
        .value_kind:     by_value
      - .offset:         8
        .size:           8
        .value_kind:     by_value
      - .actual_access:  read_only
        .address_space:  global
        .offset:         16
        .size:           8
        .value_kind:     global_buffer
      - .actual_access:  read_only
        .address_space:  global
        .offset:         24
        .size:           8
        .value_kind:     global_buffer
      - .actual_access:  read_only
        .address_space:  global
        .offset:         32
        .size:           8
        .value_kind:     global_buffer
      - .actual_access:  read_only
        .address_space:  global
        .offset:         40
        .size:           8
        .value_kind:     global_buffer
      - .actual_access:  write_only
        .address_space:  global
        .offset:         48
        .size:           8
        .value_kind:     global_buffer
      - .actual_access:  write_only
        .address_space:  global
        .offset:         56
        .size:           8
        .value_kind:     global_buffer
      - .offset:         64
        .size:           4
        .value_kind:     hidden_block_count_x
      - .offset:         68
        .size:           4
        .value_kind:     hidden_block_count_y
      - .offset:         72
        .size:           4
        .value_kind:     hidden_block_count_z
      - .offset:         76
        .size:           2
        .value_kind:     hidden_group_size_x
      - .offset:         78
        .size:           2
        .value_kind:     hidden_group_size_y
      - .offset:         80
        .size:           2
        .value_kind:     hidden_group_size_z
      - .offset:         82
        .size:           2
        .value_kind:     hidden_remainder_x
      - .offset:         84
        .size:           2
        .value_kind:     hidden_remainder_y
      - .offset:         86
        .size:           2
        .value_kind:     hidden_remainder_z
      - .offset:         104
        .size:           8
        .value_kind:     hidden_global_offset_x
      - .offset:         112
        .size:           8
        .value_kind:     hidden_global_offset_y
      - .offset:         120
        .size:           8
        .value_kind:     hidden_global_offset_z
      - .offset:         128
        .size:           2
        .value_kind:     hidden_grid_dims
      - .offset:         184
        .size:           4
        .value_kind:     hidden_dynamic_lds_size
    .group_segment_fixed_size: 0
    .kernarg_segment_align: 8
    .kernarg_segment_size: 320
    .language:       OpenCL C
    .language_version:
      - 2
      - 0
    .max_flat_workgroup_size: 512
    .name:           _ZN2at6native12_GLOBAL__N_135GammaBetaBackwardCUDAKernelTemplateIffLj64ELj8ELj64ELb0ELb1ELb0EEEvllPKT_S5_PKT0_S8_PS3_S9_
    .private_segment_fixed_size: 0
    .sgpr_count:     30
    .sgpr_spill_count: 0
    .symbol:         _ZN2at6native12_GLOBAL__N_135GammaBetaBackwardCUDAKernelTemplateIffLj64ELj8ELj64ELb0ELb1ELb0EEEvllPKT_S5_PKT0_S8_PS3_S9_.kd
    .uniform_work_group_size: 1
    .uses_dynamic_stack: false
    .vgpr_count:     44
    .vgpr_spill_count: 0
    .wavefront_size: 32
    .workgroup_processor_mode: 1
  - .args:
      - .offset:         0
        .size:           8
        .value_kind:     by_value
      - .offset:         8
        .size:           8
        .value_kind:     by_value
      - .actual_access:  read_only
        .address_space:  global
        .offset:         16
        .size:           8
        .value_kind:     global_buffer
      - .actual_access:  read_only
        .address_space:  global
        .offset:         24
        .size:           8
        .value_kind:     global_buffer
      - .actual_access:  read_only
        .address_space:  global
        .offset:         32
        .size:           8
        .value_kind:     global_buffer
      - .actual_access:  read_only
        .address_space:  global
        .offset:         40
        .size:           8
        .value_kind:     global_buffer
      - .actual_access:  write_only
        .address_space:  global
        .offset:         48
        .size:           8
        .value_kind:     global_buffer
      - .actual_access:  write_only
        .address_space:  global
        .offset:         56
        .size:           8
        .value_kind:     global_buffer
      - .offset:         64
        .size:           4
        .value_kind:     hidden_block_count_x
      - .offset:         68
        .size:           4
        .value_kind:     hidden_block_count_y
      - .offset:         72
        .size:           4
        .value_kind:     hidden_block_count_z
      - .offset:         76
        .size:           2
        .value_kind:     hidden_group_size_x
      - .offset:         78
        .size:           2
        .value_kind:     hidden_group_size_y
      - .offset:         80
        .size:           2
        .value_kind:     hidden_group_size_z
      - .offset:         82
        .size:           2
        .value_kind:     hidden_remainder_x
      - .offset:         84
        .size:           2
        .value_kind:     hidden_remainder_y
      - .offset:         86
        .size:           2
        .value_kind:     hidden_remainder_z
      - .offset:         104
        .size:           8
        .value_kind:     hidden_global_offset_x
      - .offset:         112
        .size:           8
        .value_kind:     hidden_global_offset_y
      - .offset:         120
        .size:           8
        .value_kind:     hidden_global_offset_z
      - .offset:         128
        .size:           2
        .value_kind:     hidden_grid_dims
      - .offset:         184
        .size:           4
        .value_kind:     hidden_dynamic_lds_size
    .group_segment_fixed_size: 0
    .kernarg_segment_align: 8
    .kernarg_segment_size: 320
    .language:       OpenCL C
    .language_version:
      - 2
      - 0
    .max_flat_workgroup_size: 512
    .name:           _ZN2at6native12_GLOBAL__N_135GammaBetaBackwardCUDAKernelTemplateIffLj64ELj8ELj64ELb0ELb0ELb0EEEvllPKT_S5_PKT0_S8_PS3_S9_
    .private_segment_fixed_size: 0
    .sgpr_count:     38
    .sgpr_spill_count: 0
    .symbol:         _ZN2at6native12_GLOBAL__N_135GammaBetaBackwardCUDAKernelTemplateIffLj64ELj8ELj64ELb0ELb0ELb0EEEvllPKT_S5_PKT0_S8_PS3_S9_.kd
    .uniform_work_group_size: 1
    .uses_dynamic_stack: false
    .vgpr_count:     94
    .vgpr_spill_count: 0
    .wavefront_size: 32
    .workgroup_processor_mode: 1
  - .args:
      - .offset:         0
        .size:           8
        .value_kind:     by_value
      - .offset:         8
        .size:           8
        .value_kind:     by_value
      - .actual_access:  read_only
        .address_space:  global
        .offset:         16
        .size:           8
        .value_kind:     global_buffer
      - .actual_access:  read_only
        .address_space:  global
        .offset:         24
        .size:           8
        .value_kind:     global_buffer
      - .actual_access:  read_only
        .address_space:  global
        .offset:         32
        .size:           8
        .value_kind:     global_buffer
      - .actual_access:  read_only
        .address_space:  global
        .offset:         40
        .size:           8
        .value_kind:     global_buffer
      - .actual_access:  write_only
        .address_space:  global
        .offset:         48
        .size:           8
        .value_kind:     global_buffer
      - .actual_access:  write_only
        .address_space:  global
        .offset:         56
        .size:           8
        .value_kind:     global_buffer
      - .offset:         64
        .size:           4
        .value_kind:     hidden_block_count_x
      - .offset:         68
        .size:           4
        .value_kind:     hidden_block_count_y
      - .offset:         72
        .size:           4
        .value_kind:     hidden_block_count_z
      - .offset:         76
        .size:           2
        .value_kind:     hidden_group_size_x
      - .offset:         78
        .size:           2
        .value_kind:     hidden_group_size_y
      - .offset:         80
        .size:           2
        .value_kind:     hidden_group_size_z
      - .offset:         82
        .size:           2
        .value_kind:     hidden_remainder_x
      - .offset:         84
        .size:           2
        .value_kind:     hidden_remainder_y
      - .offset:         86
        .size:           2
        .value_kind:     hidden_remainder_z
      - .offset:         104
        .size:           8
        .value_kind:     hidden_global_offset_x
      - .offset:         112
        .size:           8
        .value_kind:     hidden_global_offset_y
      - .offset:         120
        .size:           8
        .value_kind:     hidden_global_offset_z
      - .offset:         128
        .size:           2
        .value_kind:     hidden_grid_dims
      - .offset:         184
        .size:           4
        .value_kind:     hidden_dynamic_lds_size
    .group_segment_fixed_size: 0
    .kernarg_segment_align: 8
    .kernarg_segment_size: 320
    .language:       OpenCL C
    .language_version:
      - 2
      - 0
    .max_flat_workgroup_size: 1024
    .name:           _ZN2at6native12_GLOBAL__N_135GammaBetaBackwardCUDAKernelTemplateIffLj64ELj16ELj128ELb0ELb1ELb0EEEvllPKT_S5_PKT0_S8_PS3_S9_
    .private_segment_fixed_size: 0
    .sgpr_count:     30
    .sgpr_spill_count: 0
    .symbol:         _ZN2at6native12_GLOBAL__N_135GammaBetaBackwardCUDAKernelTemplateIffLj64ELj16ELj128ELb0ELb1ELb0EEEvllPKT_S5_PKT0_S8_PS3_S9_.kd
    .uniform_work_group_size: 1
    .uses_dynamic_stack: false
    .vgpr_count:     44
    .vgpr_spill_count: 0
    .wavefront_size: 32
    .workgroup_processor_mode: 1
  - .args:
      - .offset:         0
        .size:           8
        .value_kind:     by_value
      - .offset:         8
        .size:           8
        .value_kind:     by_value
      - .actual_access:  read_only
        .address_space:  global
        .offset:         16
        .size:           8
        .value_kind:     global_buffer
      - .actual_access:  read_only
        .address_space:  global
        .offset:         24
        .size:           8
        .value_kind:     global_buffer
      - .actual_access:  read_only
        .address_space:  global
        .offset:         32
        .size:           8
        .value_kind:     global_buffer
      - .actual_access:  read_only
        .address_space:  global
        .offset:         40
        .size:           8
        .value_kind:     global_buffer
      - .actual_access:  write_only
        .address_space:  global
        .offset:         48
        .size:           8
        .value_kind:     global_buffer
      - .actual_access:  write_only
        .address_space:  global
        .offset:         56
        .size:           8
        .value_kind:     global_buffer
      - .offset:         64
        .size:           4
        .value_kind:     hidden_block_count_x
      - .offset:         68
        .size:           4
        .value_kind:     hidden_block_count_y
      - .offset:         72
        .size:           4
        .value_kind:     hidden_block_count_z
      - .offset:         76
        .size:           2
        .value_kind:     hidden_group_size_x
      - .offset:         78
        .size:           2
        .value_kind:     hidden_group_size_y
      - .offset:         80
        .size:           2
        .value_kind:     hidden_group_size_z
      - .offset:         82
        .size:           2
        .value_kind:     hidden_remainder_x
      - .offset:         84
        .size:           2
        .value_kind:     hidden_remainder_y
      - .offset:         86
        .size:           2
        .value_kind:     hidden_remainder_z
      - .offset:         104
        .size:           8
        .value_kind:     hidden_global_offset_x
      - .offset:         112
        .size:           8
        .value_kind:     hidden_global_offset_y
      - .offset:         120
        .size:           8
        .value_kind:     hidden_global_offset_z
      - .offset:         128
        .size:           2
        .value_kind:     hidden_grid_dims
      - .offset:         184
        .size:           4
        .value_kind:     hidden_dynamic_lds_size
    .group_segment_fixed_size: 0
    .kernarg_segment_align: 8
    .kernarg_segment_size: 320
    .language:       OpenCL C
    .language_version:
      - 2
      - 0
    .max_flat_workgroup_size: 1024
    .name:           _ZN2at6native12_GLOBAL__N_135GammaBetaBackwardCUDAKernelTemplateIffLj64ELj16ELj128ELb0ELb0ELb0EEEvllPKT_S5_PKT0_S8_PS3_S9_
    .private_segment_fixed_size: 0
    .sgpr_count:     38
    .sgpr_spill_count: 0
    .symbol:         _ZN2at6native12_GLOBAL__N_135GammaBetaBackwardCUDAKernelTemplateIffLj64ELj16ELj128ELb0ELb0ELb0EEEvllPKT_S5_PKT0_S8_PS3_S9_.kd
    .uniform_work_group_size: 1
    .uses_dynamic_stack: false
    .vgpr_count:     94
    .vgpr_spill_count: 0
    .wavefront_size: 32
    .workgroup_processor_mode: 1
  - .args:
      - .offset:         0
        .size:           8
        .value_kind:     by_value
      - .offset:         8
        .size:           8
        .value_kind:     by_value
      - .actual_access:  read_only
        .address_space:  global
        .offset:         16
        .size:           8
        .value_kind:     global_buffer
      - .actual_access:  read_only
        .address_space:  global
        .offset:         24
        .size:           8
        .value_kind:     global_buffer
      - .actual_access:  read_only
        .address_space:  global
        .offset:         32
        .size:           8
        .value_kind:     global_buffer
      - .actual_access:  read_only
        .address_space:  global
        .offset:         40
        .size:           8
        .value_kind:     global_buffer
      - .actual_access:  write_only
        .address_space:  global
        .offset:         48
        .size:           8
        .value_kind:     global_buffer
      - .actual_access:  write_only
        .address_space:  global
        .offset:         56
        .size:           8
        .value_kind:     global_buffer
      - .offset:         64
        .size:           4
        .value_kind:     hidden_block_count_x
      - .offset:         68
        .size:           4
        .value_kind:     hidden_block_count_y
      - .offset:         72
        .size:           4
        .value_kind:     hidden_block_count_z
      - .offset:         76
        .size:           2
        .value_kind:     hidden_group_size_x
      - .offset:         78
        .size:           2
        .value_kind:     hidden_group_size_y
      - .offset:         80
        .size:           2
        .value_kind:     hidden_group_size_z
      - .offset:         82
        .size:           2
        .value_kind:     hidden_remainder_x
      - .offset:         84
        .size:           2
        .value_kind:     hidden_remainder_y
      - .offset:         86
        .size:           2
        .value_kind:     hidden_remainder_z
      - .offset:         104
        .size:           8
        .value_kind:     hidden_global_offset_x
      - .offset:         112
        .size:           8
        .value_kind:     hidden_global_offset_y
      - .offset:         120
        .size:           8
        .value_kind:     hidden_global_offset_z
      - .offset:         128
        .size:           2
        .value_kind:     hidden_grid_dims
      - .offset:         184
        .size:           4
        .value_kind:     hidden_dynamic_lds_size
    .group_segment_fixed_size: 0
    .kernarg_segment_align: 8
    .kernarg_segment_size: 320
    .language:       OpenCL C
    .language_version:
      - 2
      - 0
    .max_flat_workgroup_size: 1024
    .name:           _ZN2at6native12_GLOBAL__N_135GammaBetaBackwardCUDAKernelTemplateIffLj64ELj16ELj256ELb0ELb1ELb0EEEvllPKT_S5_PKT0_S8_PS3_S9_
    .private_segment_fixed_size: 0
    .sgpr_count:     30
    .sgpr_spill_count: 0
    .symbol:         _ZN2at6native12_GLOBAL__N_135GammaBetaBackwardCUDAKernelTemplateIffLj64ELj16ELj256ELb0ELb1ELb0EEEvllPKT_S5_PKT0_S8_PS3_S9_.kd
    .uniform_work_group_size: 1
    .uses_dynamic_stack: false
    .vgpr_count:     64
    .vgpr_spill_count: 0
    .wavefront_size: 32
    .workgroup_processor_mode: 1
  - .args:
      - .offset:         0
        .size:           8
        .value_kind:     by_value
      - .offset:         8
        .size:           8
        .value_kind:     by_value
      - .actual_access:  read_only
        .address_space:  global
        .offset:         16
        .size:           8
        .value_kind:     global_buffer
      - .actual_access:  read_only
        .address_space:  global
        .offset:         24
        .size:           8
        .value_kind:     global_buffer
      - .actual_access:  read_only
        .address_space:  global
        .offset:         32
        .size:           8
        .value_kind:     global_buffer
      - .actual_access:  read_only
        .address_space:  global
        .offset:         40
        .size:           8
        .value_kind:     global_buffer
      - .actual_access:  write_only
        .address_space:  global
        .offset:         48
        .size:           8
        .value_kind:     global_buffer
      - .actual_access:  write_only
        .address_space:  global
        .offset:         56
        .size:           8
        .value_kind:     global_buffer
      - .offset:         64
        .size:           4
        .value_kind:     hidden_block_count_x
      - .offset:         68
        .size:           4
        .value_kind:     hidden_block_count_y
      - .offset:         72
        .size:           4
        .value_kind:     hidden_block_count_z
      - .offset:         76
        .size:           2
        .value_kind:     hidden_group_size_x
      - .offset:         78
        .size:           2
        .value_kind:     hidden_group_size_y
      - .offset:         80
        .size:           2
        .value_kind:     hidden_group_size_z
      - .offset:         82
        .size:           2
        .value_kind:     hidden_remainder_x
      - .offset:         84
        .size:           2
        .value_kind:     hidden_remainder_y
      - .offset:         86
        .size:           2
        .value_kind:     hidden_remainder_z
      - .offset:         104
        .size:           8
        .value_kind:     hidden_global_offset_x
      - .offset:         112
        .size:           8
        .value_kind:     hidden_global_offset_y
      - .offset:         120
        .size:           8
        .value_kind:     hidden_global_offset_z
      - .offset:         128
        .size:           2
        .value_kind:     hidden_grid_dims
      - .offset:         184
        .size:           4
        .value_kind:     hidden_dynamic_lds_size
    .group_segment_fixed_size: 0
    .kernarg_segment_align: 8
    .kernarg_segment_size: 320
    .language:       OpenCL C
    .language_version:
      - 2
      - 0
    .max_flat_workgroup_size: 1024
    .name:           _ZN2at6native12_GLOBAL__N_135GammaBetaBackwardCUDAKernelTemplateIffLj64ELj16ELj256ELb0ELb0ELb0EEEvllPKT_S5_PKT0_S8_PS3_S9_
    .private_segment_fixed_size: 172
    .sgpr_count:     42
    .sgpr_spill_count: 0
    .symbol:         _ZN2at6native12_GLOBAL__N_135GammaBetaBackwardCUDAKernelTemplateIffLj64ELj16ELj256ELb0ELb0ELb0EEEvllPKT_S5_PKT0_S8_PS3_S9_.kd
    .uniform_work_group_size: 1
    .uses_dynamic_stack: false
    .vgpr_count:     128
    .vgpr_spill_count: 81
    .wavefront_size: 32
    .workgroup_processor_mode: 1
  - .args:
      - .offset:         0
        .size:           8
        .value_kind:     by_value
      - .offset:         8
        .size:           8
        .value_kind:     by_value
      - .actual_access:  read_only
        .address_space:  global
        .offset:         16
        .size:           8
        .value_kind:     global_buffer
      - .actual_access:  read_only
        .address_space:  global
        .offset:         24
        .size:           8
        .value_kind:     global_buffer
      - .actual_access:  read_only
        .address_space:  global
        .offset:         32
        .size:           8
        .value_kind:     global_buffer
      - .actual_access:  read_only
        .address_space:  global
        .offset:         40
        .size:           8
        .value_kind:     global_buffer
      - .actual_access:  write_only
        .address_space:  global
        .offset:         48
        .size:           8
        .value_kind:     global_buffer
      - .actual_access:  write_only
        .address_space:  global
        .offset:         56
        .size:           8
        .value_kind:     global_buffer
      - .offset:         64
        .size:           4
        .value_kind:     hidden_block_count_x
      - .offset:         68
        .size:           4
        .value_kind:     hidden_block_count_y
      - .offset:         72
        .size:           4
        .value_kind:     hidden_block_count_z
      - .offset:         76
        .size:           2
        .value_kind:     hidden_group_size_x
      - .offset:         78
        .size:           2
        .value_kind:     hidden_group_size_y
      - .offset:         80
        .size:           2
        .value_kind:     hidden_group_size_z
      - .offset:         82
        .size:           2
        .value_kind:     hidden_remainder_x
      - .offset:         84
        .size:           2
        .value_kind:     hidden_remainder_y
      - .offset:         86
        .size:           2
        .value_kind:     hidden_remainder_z
      - .offset:         104
        .size:           8
        .value_kind:     hidden_global_offset_x
      - .offset:         112
        .size:           8
        .value_kind:     hidden_global_offset_y
      - .offset:         120
        .size:           8
        .value_kind:     hidden_global_offset_z
      - .offset:         128
        .size:           2
        .value_kind:     hidden_grid_dims
    .group_segment_fixed_size: 0
    .kernarg_segment_align: 8
    .kernarg_segment_size: 320
    .language:       OpenCL C
    .language_version:
      - 2
      - 0
    .max_flat_workgroup_size: 32
    .name:           _ZN2at6native12_GLOBAL__N_135GammaBetaBackwardCUDAKernelTemplateIffLj32ELj1ELj32ELb1ELb1ELb0EEEvllPKT_S5_PKT0_S8_PS3_S9_
    .private_segment_fixed_size: 0
    .sgpr_count:     34
    .sgpr_spill_count: 0
    .symbol:         _ZN2at6native12_GLOBAL__N_135GammaBetaBackwardCUDAKernelTemplateIffLj32ELj1ELj32ELb1ELb1ELb0EEEvllPKT_S5_PKT0_S8_PS3_S9_.kd
    .uniform_work_group_size: 1
    .uses_dynamic_stack: false
    .vgpr_count:     88
    .vgpr_spill_count: 0
    .wavefront_size: 32
    .workgroup_processor_mode: 1
  - .args:
      - .offset:         0
        .size:           8
        .value_kind:     by_value
      - .offset:         8
        .size:           8
        .value_kind:     by_value
      - .actual_access:  read_only
        .address_space:  global
        .offset:         16
        .size:           8
        .value_kind:     global_buffer
      - .actual_access:  read_only
        .address_space:  global
        .offset:         24
        .size:           8
        .value_kind:     global_buffer
      - .actual_access:  read_only
        .address_space:  global
        .offset:         32
        .size:           8
        .value_kind:     global_buffer
      - .actual_access:  read_only
        .address_space:  global
        .offset:         40
        .size:           8
        .value_kind:     global_buffer
      - .actual_access:  write_only
        .address_space:  global
        .offset:         48
        .size:           8
        .value_kind:     global_buffer
      - .actual_access:  write_only
        .address_space:  global
        .offset:         56
        .size:           8
        .value_kind:     global_buffer
      - .offset:         64
        .size:           4
        .value_kind:     hidden_block_count_x
      - .offset:         68
        .size:           4
        .value_kind:     hidden_block_count_y
      - .offset:         72
        .size:           4
        .value_kind:     hidden_block_count_z
      - .offset:         76
        .size:           2
        .value_kind:     hidden_group_size_x
      - .offset:         78
        .size:           2
        .value_kind:     hidden_group_size_y
      - .offset:         80
        .size:           2
        .value_kind:     hidden_group_size_z
      - .offset:         82
        .size:           2
        .value_kind:     hidden_remainder_x
      - .offset:         84
        .size:           2
        .value_kind:     hidden_remainder_y
      - .offset:         86
        .size:           2
        .value_kind:     hidden_remainder_z
      - .offset:         104
        .size:           8
        .value_kind:     hidden_global_offset_x
      - .offset:         112
        .size:           8
        .value_kind:     hidden_global_offset_y
      - .offset:         120
        .size:           8
        .value_kind:     hidden_global_offset_z
      - .offset:         128
        .size:           2
        .value_kind:     hidden_grid_dims
    .group_segment_fixed_size: 0
    .kernarg_segment_align: 8
    .kernarg_segment_size: 320
    .language:       OpenCL C
    .language_version:
      - 2
      - 0
    .max_flat_workgroup_size: 32
    .name:           _ZN2at6native12_GLOBAL__N_135GammaBetaBackwardCUDAKernelTemplateIffLj32ELj1ELj32ELb1ELb0ELb0EEEvllPKT_S5_PKT0_S8_PS3_S9_
    .private_segment_fixed_size: 316
    .sgpr_count:     42
    .sgpr_spill_count: 0
    .symbol:         _ZN2at6native12_GLOBAL__N_135GammaBetaBackwardCUDAKernelTemplateIffLj32ELj1ELj32ELb1ELb0ELb0EEEvllPKT_S5_PKT0_S8_PS3_S9_.kd
    .uniform_work_group_size: 1
    .uses_dynamic_stack: false
    .vgpr_count:     256
    .vgpr_spill_count: 152
    .wavefront_size: 32
    .workgroup_processor_mode: 1
  - .args:
      - .offset:         0
        .size:           8
        .value_kind:     by_value
      - .offset:         8
        .size:           8
        .value_kind:     by_value
      - .actual_access:  read_only
        .address_space:  global
        .offset:         16
        .size:           8
        .value_kind:     global_buffer
      - .actual_access:  read_only
        .address_space:  global
        .offset:         24
        .size:           8
        .value_kind:     global_buffer
      - .actual_access:  read_only
        .address_space:  global
        .offset:         32
        .size:           8
        .value_kind:     global_buffer
      - .actual_access:  read_only
        .address_space:  global
        .offset:         40
        .size:           8
        .value_kind:     global_buffer
      - .actual_access:  write_only
        .address_space:  global
        .offset:         48
        .size:           8
        .value_kind:     global_buffer
      - .actual_access:  write_only
        .address_space:  global
        .offset:         56
        .size:           8
        .value_kind:     global_buffer
      - .offset:         64
        .size:           4
        .value_kind:     hidden_block_count_x
      - .offset:         68
        .size:           4
        .value_kind:     hidden_block_count_y
      - .offset:         72
        .size:           4
        .value_kind:     hidden_block_count_z
      - .offset:         76
        .size:           2
        .value_kind:     hidden_group_size_x
      - .offset:         78
        .size:           2
        .value_kind:     hidden_group_size_y
      - .offset:         80
        .size:           2
        .value_kind:     hidden_group_size_z
      - .offset:         82
        .size:           2
        .value_kind:     hidden_remainder_x
      - .offset:         84
        .size:           2
        .value_kind:     hidden_remainder_y
      - .offset:         86
        .size:           2
        .value_kind:     hidden_remainder_z
      - .offset:         104
        .size:           8
        .value_kind:     hidden_global_offset_x
      - .offset:         112
        .size:           8
        .value_kind:     hidden_global_offset_y
      - .offset:         120
        .size:           8
        .value_kind:     hidden_global_offset_z
      - .offset:         128
        .size:           2
        .value_kind:     hidden_grid_dims
    .group_segment_fixed_size: 0
    .kernarg_segment_align: 8
    .kernarg_segment_size: 320
    .language:       OpenCL C
    .language_version:
      - 2
      - 0
    .max_flat_workgroup_size: 32
    .name:           _ZN2at6native12_GLOBAL__N_135GammaBetaBackwardCUDAKernelTemplateIffLj32ELj1ELj8ELb1ELb1ELb0EEEvllPKT_S5_PKT0_S8_PS3_S9_
    .private_segment_fixed_size: 0
    .sgpr_count:     34
    .sgpr_spill_count: 0
    .symbol:         _ZN2at6native12_GLOBAL__N_135GammaBetaBackwardCUDAKernelTemplateIffLj32ELj1ELj8ELb1ELb1ELb0EEEvllPKT_S5_PKT0_S8_PS3_S9_.kd
    .uniform_work_group_size: 1
    .uses_dynamic_stack: false
    .vgpr_count:     44
    .vgpr_spill_count: 0
    .wavefront_size: 32
    .workgroup_processor_mode: 1
  - .args:
      - .offset:         0
        .size:           8
        .value_kind:     by_value
      - .offset:         8
        .size:           8
        .value_kind:     by_value
      - .actual_access:  read_only
        .address_space:  global
        .offset:         16
        .size:           8
        .value_kind:     global_buffer
      - .actual_access:  read_only
        .address_space:  global
        .offset:         24
        .size:           8
        .value_kind:     global_buffer
      - .actual_access:  read_only
        .address_space:  global
        .offset:         32
        .size:           8
        .value_kind:     global_buffer
      - .actual_access:  read_only
        .address_space:  global
        .offset:         40
        .size:           8
        .value_kind:     global_buffer
      - .actual_access:  write_only
        .address_space:  global
        .offset:         48
        .size:           8
        .value_kind:     global_buffer
      - .actual_access:  write_only
        .address_space:  global
        .offset:         56
        .size:           8
        .value_kind:     global_buffer
      - .offset:         64
        .size:           4
        .value_kind:     hidden_block_count_x
      - .offset:         68
        .size:           4
        .value_kind:     hidden_block_count_y
      - .offset:         72
        .size:           4
        .value_kind:     hidden_block_count_z
      - .offset:         76
        .size:           2
        .value_kind:     hidden_group_size_x
      - .offset:         78
        .size:           2
        .value_kind:     hidden_group_size_y
      - .offset:         80
        .size:           2
        .value_kind:     hidden_group_size_z
      - .offset:         82
        .size:           2
        .value_kind:     hidden_remainder_x
      - .offset:         84
        .size:           2
        .value_kind:     hidden_remainder_y
      - .offset:         86
        .size:           2
        .value_kind:     hidden_remainder_z
      - .offset:         104
        .size:           8
        .value_kind:     hidden_global_offset_x
      - .offset:         112
        .size:           8
        .value_kind:     hidden_global_offset_y
      - .offset:         120
        .size:           8
        .value_kind:     hidden_global_offset_z
      - .offset:         128
        .size:           2
        .value_kind:     hidden_grid_dims
    .group_segment_fixed_size: 0
    .kernarg_segment_align: 8
    .kernarg_segment_size: 320
    .language:       OpenCL C
    .language_version:
      - 2
      - 0
    .max_flat_workgroup_size: 32
    .name:           _ZN2at6native12_GLOBAL__N_135GammaBetaBackwardCUDAKernelTemplateIffLj32ELj1ELj8ELb1ELb0ELb0EEEvllPKT_S5_PKT0_S8_PS3_S9_
    .private_segment_fixed_size: 0
    .sgpr_count:     34
    .sgpr_spill_count: 0
    .symbol:         _ZN2at6native12_GLOBAL__N_135GammaBetaBackwardCUDAKernelTemplateIffLj32ELj1ELj8ELb1ELb0ELb0EEEvllPKT_S5_PKT0_S8_PS3_S9_.kd
    .uniform_work_group_size: 1
    .uses_dynamic_stack: false
    .vgpr_count:     95
    .vgpr_spill_count: 0
    .wavefront_size: 32
    .workgroup_processor_mode: 1
  - .args:
      - .offset:         0
        .size:           8
        .value_kind:     by_value
      - .offset:         8
        .size:           8
        .value_kind:     by_value
      - .actual_access:  read_only
        .address_space:  global
        .offset:         16
        .size:           8
        .value_kind:     global_buffer
      - .actual_access:  read_only
        .address_space:  global
        .offset:         24
        .size:           8
        .value_kind:     global_buffer
      - .actual_access:  read_only
        .address_space:  global
        .offset:         32
        .size:           8
        .value_kind:     global_buffer
      - .actual_access:  read_only
        .address_space:  global
        .offset:         40
        .size:           8
        .value_kind:     global_buffer
      - .actual_access:  write_only
        .address_space:  global
        .offset:         48
        .size:           8
        .value_kind:     global_buffer
      - .actual_access:  write_only
        .address_space:  global
        .offset:         56
        .size:           8
        .value_kind:     global_buffer
      - .offset:         64
        .size:           4
        .value_kind:     hidden_block_count_x
      - .offset:         68
        .size:           4
        .value_kind:     hidden_block_count_y
      - .offset:         72
        .size:           4
        .value_kind:     hidden_block_count_z
      - .offset:         76
        .size:           2
        .value_kind:     hidden_group_size_x
      - .offset:         78
        .size:           2
        .value_kind:     hidden_group_size_y
      - .offset:         80
        .size:           2
        .value_kind:     hidden_group_size_z
      - .offset:         82
        .size:           2
        .value_kind:     hidden_remainder_x
      - .offset:         84
        .size:           2
        .value_kind:     hidden_remainder_y
      - .offset:         86
        .size:           2
        .value_kind:     hidden_remainder_z
      - .offset:         104
        .size:           8
        .value_kind:     hidden_global_offset_x
      - .offset:         112
        .size:           8
        .value_kind:     hidden_global_offset_y
      - .offset:         120
        .size:           8
        .value_kind:     hidden_global_offset_z
      - .offset:         128
        .size:           2
        .value_kind:     hidden_grid_dims
      - .offset:         184
        .size:           4
        .value_kind:     hidden_dynamic_lds_size
    .group_segment_fixed_size: 0
    .kernarg_segment_align: 8
    .kernarg_segment_size: 320
    .language:       OpenCL C
    .language_version:
      - 2
      - 0
    .max_flat_workgroup_size: 256
    .name:           _ZN2at6native12_GLOBAL__N_135GammaBetaBackwardCUDAKernelTemplateIffLj32ELj8ELj64ELb0ELb1ELb0EEEvllPKT_S5_PKT0_S8_PS3_S9_
    .private_segment_fixed_size: 0
    .sgpr_count:     30
    .sgpr_spill_count: 0
    .symbol:         _ZN2at6native12_GLOBAL__N_135GammaBetaBackwardCUDAKernelTemplateIffLj32ELj8ELj64ELb0ELb1ELb0EEEvllPKT_S5_PKT0_S8_PS3_S9_.kd
    .uniform_work_group_size: 1
    .uses_dynamic_stack: false
    .vgpr_count:     44
    .vgpr_spill_count: 0
    .wavefront_size: 32
    .workgroup_processor_mode: 1
  - .args:
      - .offset:         0
        .size:           8
        .value_kind:     by_value
      - .offset:         8
        .size:           8
        .value_kind:     by_value
      - .actual_access:  read_only
        .address_space:  global
        .offset:         16
        .size:           8
        .value_kind:     global_buffer
      - .actual_access:  read_only
        .address_space:  global
        .offset:         24
        .size:           8
        .value_kind:     global_buffer
      - .actual_access:  read_only
        .address_space:  global
        .offset:         32
        .size:           8
        .value_kind:     global_buffer
      - .actual_access:  read_only
        .address_space:  global
        .offset:         40
        .size:           8
        .value_kind:     global_buffer
      - .actual_access:  write_only
        .address_space:  global
        .offset:         48
        .size:           8
        .value_kind:     global_buffer
      - .actual_access:  write_only
        .address_space:  global
        .offset:         56
        .size:           8
        .value_kind:     global_buffer
      - .offset:         64
        .size:           4
        .value_kind:     hidden_block_count_x
      - .offset:         68
        .size:           4
        .value_kind:     hidden_block_count_y
      - .offset:         72
        .size:           4
        .value_kind:     hidden_block_count_z
      - .offset:         76
        .size:           2
        .value_kind:     hidden_group_size_x
      - .offset:         78
        .size:           2
        .value_kind:     hidden_group_size_y
      - .offset:         80
        .size:           2
        .value_kind:     hidden_group_size_z
      - .offset:         82
        .size:           2
        .value_kind:     hidden_remainder_x
      - .offset:         84
        .size:           2
        .value_kind:     hidden_remainder_y
      - .offset:         86
        .size:           2
        .value_kind:     hidden_remainder_z
      - .offset:         104
        .size:           8
        .value_kind:     hidden_global_offset_x
      - .offset:         112
        .size:           8
        .value_kind:     hidden_global_offset_y
      - .offset:         120
        .size:           8
        .value_kind:     hidden_global_offset_z
      - .offset:         128
        .size:           2
        .value_kind:     hidden_grid_dims
      - .offset:         184
        .size:           4
        .value_kind:     hidden_dynamic_lds_size
    .group_segment_fixed_size: 0
    .kernarg_segment_align: 8
    .kernarg_segment_size: 320
    .language:       OpenCL C
    .language_version:
      - 2
      - 0
    .max_flat_workgroup_size: 256
    .name:           _ZN2at6native12_GLOBAL__N_135GammaBetaBackwardCUDAKernelTemplateIffLj32ELj8ELj64ELb0ELb0ELb0EEEvllPKT_S5_PKT0_S8_PS3_S9_
    .private_segment_fixed_size: 0
    .sgpr_count:     38
    .sgpr_spill_count: 0
    .symbol:         _ZN2at6native12_GLOBAL__N_135GammaBetaBackwardCUDAKernelTemplateIffLj32ELj8ELj64ELb0ELb0ELb0EEEvllPKT_S5_PKT0_S8_PS3_S9_.kd
    .uniform_work_group_size: 1
    .uses_dynamic_stack: false
    .vgpr_count:     94
    .vgpr_spill_count: 0
    .wavefront_size: 32
    .workgroup_processor_mode: 1
  - .args:
      - .offset:         0
        .size:           8
        .value_kind:     by_value
      - .offset:         8
        .size:           8
        .value_kind:     by_value
      - .actual_access:  read_only
        .address_space:  global
        .offset:         16
        .size:           8
        .value_kind:     global_buffer
      - .actual_access:  read_only
        .address_space:  global
        .offset:         24
        .size:           8
        .value_kind:     global_buffer
      - .actual_access:  read_only
        .address_space:  global
        .offset:         32
        .size:           8
        .value_kind:     global_buffer
      - .actual_access:  read_only
        .address_space:  global
        .offset:         40
        .size:           8
        .value_kind:     global_buffer
      - .actual_access:  write_only
        .address_space:  global
        .offset:         48
        .size:           8
        .value_kind:     global_buffer
      - .actual_access:  write_only
        .address_space:  global
        .offset:         56
        .size:           8
        .value_kind:     global_buffer
      - .offset:         64
        .size:           4
        .value_kind:     hidden_block_count_x
      - .offset:         68
        .size:           4
        .value_kind:     hidden_block_count_y
      - .offset:         72
        .size:           4
        .value_kind:     hidden_block_count_z
      - .offset:         76
        .size:           2
        .value_kind:     hidden_group_size_x
      - .offset:         78
        .size:           2
        .value_kind:     hidden_group_size_y
      - .offset:         80
        .size:           2
        .value_kind:     hidden_group_size_z
      - .offset:         82
        .size:           2
        .value_kind:     hidden_remainder_x
      - .offset:         84
        .size:           2
        .value_kind:     hidden_remainder_y
      - .offset:         86
        .size:           2
        .value_kind:     hidden_remainder_z
      - .offset:         104
        .size:           8
        .value_kind:     hidden_global_offset_x
      - .offset:         112
        .size:           8
        .value_kind:     hidden_global_offset_y
      - .offset:         120
        .size:           8
        .value_kind:     hidden_global_offset_z
      - .offset:         128
        .size:           2
        .value_kind:     hidden_grid_dims
      - .offset:         184
        .size:           4
        .value_kind:     hidden_dynamic_lds_size
    .group_segment_fixed_size: 0
    .kernarg_segment_align: 8
    .kernarg_segment_size: 320
    .language:       OpenCL C
    .language_version:
      - 2
      - 0
    .max_flat_workgroup_size: 512
    .name:           _ZN2at6native12_GLOBAL__N_135GammaBetaBackwardCUDAKernelTemplateIffLj32ELj16ELj128ELb0ELb1ELb0EEEvllPKT_S5_PKT0_S8_PS3_S9_
    .private_segment_fixed_size: 0
    .sgpr_count:     30
    .sgpr_spill_count: 0
    .symbol:         _ZN2at6native12_GLOBAL__N_135GammaBetaBackwardCUDAKernelTemplateIffLj32ELj16ELj128ELb0ELb1ELb0EEEvllPKT_S5_PKT0_S8_PS3_S9_.kd
    .uniform_work_group_size: 1
    .uses_dynamic_stack: false
    .vgpr_count:     44
    .vgpr_spill_count: 0
    .wavefront_size: 32
    .workgroup_processor_mode: 1
  - .args:
      - .offset:         0
        .size:           8
        .value_kind:     by_value
      - .offset:         8
        .size:           8
        .value_kind:     by_value
      - .actual_access:  read_only
        .address_space:  global
        .offset:         16
        .size:           8
        .value_kind:     global_buffer
      - .actual_access:  read_only
        .address_space:  global
        .offset:         24
        .size:           8
        .value_kind:     global_buffer
      - .actual_access:  read_only
        .address_space:  global
        .offset:         32
        .size:           8
        .value_kind:     global_buffer
      - .actual_access:  read_only
        .address_space:  global
        .offset:         40
        .size:           8
        .value_kind:     global_buffer
      - .actual_access:  write_only
        .address_space:  global
        .offset:         48
        .size:           8
        .value_kind:     global_buffer
      - .actual_access:  write_only
        .address_space:  global
        .offset:         56
        .size:           8
        .value_kind:     global_buffer
      - .offset:         64
        .size:           4
        .value_kind:     hidden_block_count_x
      - .offset:         68
        .size:           4
        .value_kind:     hidden_block_count_y
      - .offset:         72
        .size:           4
        .value_kind:     hidden_block_count_z
      - .offset:         76
        .size:           2
        .value_kind:     hidden_group_size_x
      - .offset:         78
        .size:           2
        .value_kind:     hidden_group_size_y
      - .offset:         80
        .size:           2
        .value_kind:     hidden_group_size_z
      - .offset:         82
        .size:           2
        .value_kind:     hidden_remainder_x
      - .offset:         84
        .size:           2
        .value_kind:     hidden_remainder_y
      - .offset:         86
        .size:           2
        .value_kind:     hidden_remainder_z
      - .offset:         104
        .size:           8
        .value_kind:     hidden_global_offset_x
      - .offset:         112
        .size:           8
        .value_kind:     hidden_global_offset_y
      - .offset:         120
        .size:           8
        .value_kind:     hidden_global_offset_z
      - .offset:         128
        .size:           2
        .value_kind:     hidden_grid_dims
      - .offset:         184
        .size:           4
        .value_kind:     hidden_dynamic_lds_size
    .group_segment_fixed_size: 0
    .kernarg_segment_align: 8
    .kernarg_segment_size: 320
    .language:       OpenCL C
    .language_version:
      - 2
      - 0
    .max_flat_workgroup_size: 512
    .name:           _ZN2at6native12_GLOBAL__N_135GammaBetaBackwardCUDAKernelTemplateIffLj32ELj16ELj128ELb0ELb0ELb0EEEvllPKT_S5_PKT0_S8_PS3_S9_
    .private_segment_fixed_size: 0
    .sgpr_count:     38
    .sgpr_spill_count: 0
    .symbol:         _ZN2at6native12_GLOBAL__N_135GammaBetaBackwardCUDAKernelTemplateIffLj32ELj16ELj128ELb0ELb0ELb0EEEvllPKT_S5_PKT0_S8_PS3_S9_.kd
    .uniform_work_group_size: 1
    .uses_dynamic_stack: false
    .vgpr_count:     94
    .vgpr_spill_count: 0
    .wavefront_size: 32
    .workgroup_processor_mode: 1
  - .args:
      - .offset:         0
        .size:           8
        .value_kind:     by_value
      - .offset:         8
        .size:           8
        .value_kind:     by_value
      - .actual_access:  read_only
        .address_space:  global
        .offset:         16
        .size:           8
        .value_kind:     global_buffer
      - .actual_access:  read_only
        .address_space:  global
        .offset:         24
        .size:           8
        .value_kind:     global_buffer
      - .actual_access:  read_only
        .address_space:  global
        .offset:         32
        .size:           8
        .value_kind:     global_buffer
      - .actual_access:  read_only
        .address_space:  global
        .offset:         40
        .size:           8
        .value_kind:     global_buffer
      - .actual_access:  write_only
        .address_space:  global
        .offset:         48
        .size:           8
        .value_kind:     global_buffer
      - .actual_access:  write_only
        .address_space:  global
        .offset:         56
        .size:           8
        .value_kind:     global_buffer
      - .offset:         64
        .size:           4
        .value_kind:     hidden_block_count_x
      - .offset:         68
        .size:           4
        .value_kind:     hidden_block_count_y
      - .offset:         72
        .size:           4
        .value_kind:     hidden_block_count_z
      - .offset:         76
        .size:           2
        .value_kind:     hidden_group_size_x
      - .offset:         78
        .size:           2
        .value_kind:     hidden_group_size_y
      - .offset:         80
        .size:           2
        .value_kind:     hidden_group_size_z
      - .offset:         82
        .size:           2
        .value_kind:     hidden_remainder_x
      - .offset:         84
        .size:           2
        .value_kind:     hidden_remainder_y
      - .offset:         86
        .size:           2
        .value_kind:     hidden_remainder_z
      - .offset:         104
        .size:           8
        .value_kind:     hidden_global_offset_x
      - .offset:         112
        .size:           8
        .value_kind:     hidden_global_offset_y
      - .offset:         120
        .size:           8
        .value_kind:     hidden_global_offset_z
      - .offset:         128
        .size:           2
        .value_kind:     hidden_grid_dims
      - .offset:         184
        .size:           4
        .value_kind:     hidden_dynamic_lds_size
    .group_segment_fixed_size: 0
    .kernarg_segment_align: 8
    .kernarg_segment_size: 320
    .language:       OpenCL C
    .language_version:
      - 2
      - 0
    .max_flat_workgroup_size: 1024
    .name:           _ZN2at6native12_GLOBAL__N_135GammaBetaBackwardCUDAKernelTemplateIffLj32ELj32ELj256ELb0ELb1ELb0EEEvllPKT_S5_PKT0_S8_PS3_S9_
    .private_segment_fixed_size: 0
    .sgpr_count:     30
    .sgpr_spill_count: 0
    .symbol:         _ZN2at6native12_GLOBAL__N_135GammaBetaBackwardCUDAKernelTemplateIffLj32ELj32ELj256ELb0ELb1ELb0EEEvllPKT_S5_PKT0_S8_PS3_S9_.kd
    .uniform_work_group_size: 1
    .uses_dynamic_stack: false
    .vgpr_count:     44
    .vgpr_spill_count: 0
    .wavefront_size: 32
    .workgroup_processor_mode: 1
  - .args:
      - .offset:         0
        .size:           8
        .value_kind:     by_value
      - .offset:         8
        .size:           8
        .value_kind:     by_value
      - .actual_access:  read_only
        .address_space:  global
        .offset:         16
        .size:           8
        .value_kind:     global_buffer
      - .actual_access:  read_only
        .address_space:  global
        .offset:         24
        .size:           8
        .value_kind:     global_buffer
      - .actual_access:  read_only
        .address_space:  global
        .offset:         32
        .size:           8
        .value_kind:     global_buffer
      - .actual_access:  read_only
        .address_space:  global
        .offset:         40
        .size:           8
        .value_kind:     global_buffer
      - .actual_access:  write_only
        .address_space:  global
        .offset:         48
        .size:           8
        .value_kind:     global_buffer
      - .actual_access:  write_only
        .address_space:  global
        .offset:         56
        .size:           8
        .value_kind:     global_buffer
      - .offset:         64
        .size:           4
        .value_kind:     hidden_block_count_x
      - .offset:         68
        .size:           4
        .value_kind:     hidden_block_count_y
      - .offset:         72
        .size:           4
        .value_kind:     hidden_block_count_z
      - .offset:         76
        .size:           2
        .value_kind:     hidden_group_size_x
      - .offset:         78
        .size:           2
        .value_kind:     hidden_group_size_y
      - .offset:         80
        .size:           2
        .value_kind:     hidden_group_size_z
      - .offset:         82
        .size:           2
        .value_kind:     hidden_remainder_x
      - .offset:         84
        .size:           2
        .value_kind:     hidden_remainder_y
      - .offset:         86
        .size:           2
        .value_kind:     hidden_remainder_z
      - .offset:         104
        .size:           8
        .value_kind:     hidden_global_offset_x
      - .offset:         112
        .size:           8
        .value_kind:     hidden_global_offset_y
      - .offset:         120
        .size:           8
        .value_kind:     hidden_global_offset_z
      - .offset:         128
        .size:           2
        .value_kind:     hidden_grid_dims
      - .offset:         184
        .size:           4
        .value_kind:     hidden_dynamic_lds_size
    .group_segment_fixed_size: 0
    .kernarg_segment_align: 8
    .kernarg_segment_size: 320
    .language:       OpenCL C
    .language_version:
      - 2
      - 0
    .max_flat_workgroup_size: 1024
    .name:           _ZN2at6native12_GLOBAL__N_135GammaBetaBackwardCUDAKernelTemplateIffLj32ELj32ELj256ELb0ELb0ELb0EEEvllPKT_S5_PKT0_S8_PS3_S9_
    .private_segment_fixed_size: 0
    .sgpr_count:     38
    .sgpr_spill_count: 0
    .symbol:         _ZN2at6native12_GLOBAL__N_135GammaBetaBackwardCUDAKernelTemplateIffLj32ELj32ELj256ELb0ELb0ELb0EEEvllPKT_S5_PKT0_S8_PS3_S9_.kd
    .uniform_work_group_size: 1
    .uses_dynamic_stack: false
    .vgpr_count:     94
    .vgpr_spill_count: 0
    .wavefront_size: 32
    .workgroup_processor_mode: 1
  - .args:
      - .actual_access:  read_only
        .address_space:  global
        .offset:         0
        .size:           8
        .value_kind:     global_buffer
      - .actual_access:  read_only
        .address_space:  global
        .offset:         8
        .size:           8
        .value_kind:     global_buffer
      - .offset:         16
        .size:           8
        .value_kind:     by_value
      - .offset:         24
        .size:           8
        .value_kind:     by_value
      - .actual_access:  read_only
        .address_space:  global
        .offset:         32
        .size:           8
        .value_kind:     global_buffer
      - .actual_access:  read_only
        .address_space:  global
        .offset:         40
        .size:           8
        .value_kind:     global_buffer
      - .address_space:  global
        .offset:         48
        .size:           8
        .value_kind:     global_buffer
      - .address_space:  global
        .offset:         56
        .size:           8
        .value_kind:     global_buffer
      - .offset:         64
        .size:           4
        .value_kind:     hidden_block_count_x
      - .offset:         68
        .size:           4
        .value_kind:     hidden_block_count_y
      - .offset:         72
        .size:           4
        .value_kind:     hidden_block_count_z
      - .offset:         76
        .size:           2
        .value_kind:     hidden_group_size_x
      - .offset:         78
        .size:           2
        .value_kind:     hidden_group_size_y
      - .offset:         80
        .size:           2
        .value_kind:     hidden_group_size_z
      - .offset:         82
        .size:           2
        .value_kind:     hidden_remainder_x
      - .offset:         84
        .size:           2
        .value_kind:     hidden_remainder_y
      - .offset:         86
        .size:           2
        .value_kind:     hidden_remainder_z
      - .offset:         104
        .size:           8
        .value_kind:     hidden_global_offset_x
      - .offset:         112
        .size:           8
        .value_kind:     hidden_global_offset_y
      - .offset:         120
        .size:           8
        .value_kind:     hidden_global_offset_z
      - .offset:         128
        .size:           2
        .value_kind:     hidden_grid_dims
      - .offset:         184
        .size:           4
        .value_kind:     hidden_dynamic_lds_size
    .group_segment_fixed_size: 0
    .kernarg_segment_align: 8
    .kernarg_segment_size: 320
    .language:       OpenCL C
    .language_version:
      - 2
      - 0
    .max_flat_workgroup_size: 1024
    .name:           _ZN2at6native12_GLOBAL__N_118cuComputeGradInputIN3c104HalfEfLb0EEEvPKT_S7_llPKT0_SA_S7_PS5_
    .private_segment_fixed_size: 0
    .sgpr_count:     44
    .sgpr_spill_count: 0
    .symbol:         _ZN2at6native12_GLOBAL__N_118cuComputeGradInputIN3c104HalfEfLb0EEEvPKT_S7_llPKT0_SA_S7_PS5_.kd
    .uniform_work_group_size: 1
    .uses_dynamic_stack: false
    .vgpr_count:     26
    .vgpr_spill_count: 0
    .wavefront_size: 32
    .workgroup_processor_mode: 1
  - .args:
      - .actual_access:  read_only
        .address_space:  global
        .offset:         0
        .size:           8
        .value_kind:     global_buffer
      - .actual_access:  read_only
        .address_space:  global
        .offset:         8
        .size:           8
        .value_kind:     global_buffer
      - .actual_access:  read_only
        .address_space:  global
        .offset:         16
        .size:           8
        .value_kind:     global_buffer
      - .actual_access:  read_only
        .address_space:  global
        .offset:         24
        .size:           8
        .value_kind:     global_buffer
      - .actual_access:  read_only
        .address_space:  global
        .offset:         32
        .size:           8
        .value_kind:     global_buffer
      - .address_space:  global
        .offset:         40
        .size:           8
        .value_kind:     global_buffer
      - .offset:         48
        .size:           4
        .value_kind:     by_value
      - .offset:         56
        .size:           4
        .value_kind:     hidden_block_count_x
      - .offset:         60
        .size:           4
        .value_kind:     hidden_block_count_y
      - .offset:         64
        .size:           4
        .value_kind:     hidden_block_count_z
      - .offset:         68
        .size:           2
        .value_kind:     hidden_group_size_x
      - .offset:         70
        .size:           2
        .value_kind:     hidden_group_size_y
      - .offset:         72
        .size:           2
        .value_kind:     hidden_group_size_z
      - .offset:         74
        .size:           2
        .value_kind:     hidden_remainder_x
      - .offset:         76
        .size:           2
        .value_kind:     hidden_remainder_y
      - .offset:         78
        .size:           2
        .value_kind:     hidden_remainder_z
      - .offset:         96
        .size:           8
        .value_kind:     hidden_global_offset_x
      - .offset:         104
        .size:           8
        .value_kind:     hidden_global_offset_y
      - .offset:         112
        .size:           8
        .value_kind:     hidden_global_offset_z
      - .offset:         120
        .size:           2
        .value_kind:     hidden_grid_dims
      - .offset:         176
        .size:           4
        .value_kind:     hidden_dynamic_lds_size
    .group_segment_fixed_size: 0
    .kernarg_segment_align: 8
    .kernarg_segment_size: 312
    .language:       OpenCL C
    .language_version:
      - 2
      - 0
    .max_flat_workgroup_size: 1024
    .name:           _ZN2at6native12_GLOBAL__N_128layer_norm_grad_input_kernelIN3c104HalfEfLb0EEEvPKT_S7_PKT0_SA_S7_PS5_i
    .private_segment_fixed_size: 0
    .sgpr_count:     23
    .sgpr_spill_count: 0
    .symbol:         _ZN2at6native12_GLOBAL__N_128layer_norm_grad_input_kernelIN3c104HalfEfLb0EEEvPKT_S7_PKT0_SA_S7_PS5_i.kd
    .uniform_work_group_size: 1
    .uses_dynamic_stack: false
    .vgpr_count:     22
    .vgpr_spill_count: 0
    .wavefront_size: 32
    .workgroup_processor_mode: 1
  - .args:
      - .offset:         0
        .size:           8
        .value_kind:     by_value
      - .offset:         8
        .size:           8
        .value_kind:     by_value
      - .address_space:  global
        .offset:         16
        .size:           8
        .value_kind:     global_buffer
      - .address_space:  global
        .offset:         24
        .size:           8
        .value_kind:     global_buffer
      - .address_space:  global
        .offset:         32
        .size:           8
        .value_kind:     global_buffer
      - .address_space:  global
        .offset:         40
        .size:           8
        .value_kind:     global_buffer
      - .address_space:  global
        .offset:         48
        .size:           8
        .value_kind:     global_buffer
      - .address_space:  global
        .offset:         56
        .size:           8
        .value_kind:     global_buffer
      - .offset:         64
        .size:           4
        .value_kind:     hidden_block_count_x
      - .offset:         68
        .size:           4
        .value_kind:     hidden_block_count_y
      - .offset:         72
        .size:           4
        .value_kind:     hidden_block_count_z
      - .offset:         76
        .size:           2
        .value_kind:     hidden_group_size_x
      - .offset:         78
        .size:           2
        .value_kind:     hidden_group_size_y
      - .offset:         80
        .size:           2
        .value_kind:     hidden_group_size_z
      - .offset:         82
        .size:           2
        .value_kind:     hidden_remainder_x
      - .offset:         84
        .size:           2
        .value_kind:     hidden_remainder_y
      - .offset:         86
        .size:           2
        .value_kind:     hidden_remainder_z
      - .offset:         104
        .size:           8
        .value_kind:     hidden_global_offset_x
      - .offset:         112
        .size:           8
        .value_kind:     hidden_global_offset_y
      - .offset:         120
        .size:           8
        .value_kind:     hidden_global_offset_z
      - .offset:         128
        .size:           2
        .value_kind:     hidden_grid_dims
    .group_segment_fixed_size: 0
    .kernarg_segment_align: 8
    .kernarg_segment_size: 320
    .language:       OpenCL C
    .language_version:
      - 2
      - 0
    .max_flat_workgroup_size: 1024
    .name:           _ZN2at6native12_GLOBAL__N_133GammaBetaBackwardSimpleCUDAKernelIN3c104HalfEfLb0EEEvllPKT_S7_PKT0_SA_PS5_SB_
    .private_segment_fixed_size: 0
    .sgpr_count:     26
    .sgpr_spill_count: 0
    .symbol:         _ZN2at6native12_GLOBAL__N_133GammaBetaBackwardSimpleCUDAKernelIN3c104HalfEfLb0EEEvllPKT_S7_PKT0_SA_PS5_SB_.kd
    .uniform_work_group_size: 1
    .uses_dynamic_stack: false
    .vgpr_count:     10
    .vgpr_spill_count: 0
    .wavefront_size: 32
    .workgroup_processor_mode: 1
  - .args:
      - .offset:         0
        .size:           8
        .value_kind:     by_value
      - .offset:         8
        .size:           8
        .value_kind:     by_value
      - .actual_access:  read_only
        .address_space:  global
        .offset:         16
        .size:           8
        .value_kind:     global_buffer
      - .actual_access:  read_only
        .address_space:  global
        .offset:         24
        .size:           8
        .value_kind:     global_buffer
      - .actual_access:  read_only
        .address_space:  global
        .offset:         32
        .size:           8
        .value_kind:     global_buffer
      - .actual_access:  read_only
        .address_space:  global
        .offset:         40
        .size:           8
        .value_kind:     global_buffer
      - .actual_access:  write_only
        .address_space:  global
        .offset:         48
        .size:           8
        .value_kind:     global_buffer
      - .actual_access:  write_only
        .address_space:  global
        .offset:         56
        .size:           8
        .value_kind:     global_buffer
      - .offset:         64
        .size:           4
        .value_kind:     hidden_block_count_x
      - .offset:         68
        .size:           4
        .value_kind:     hidden_block_count_y
      - .offset:         72
        .size:           4
        .value_kind:     hidden_block_count_z
      - .offset:         76
        .size:           2
        .value_kind:     hidden_group_size_x
      - .offset:         78
        .size:           2
        .value_kind:     hidden_group_size_y
      - .offset:         80
        .size:           2
        .value_kind:     hidden_group_size_z
      - .offset:         82
        .size:           2
        .value_kind:     hidden_remainder_x
      - .offset:         84
        .size:           2
        .value_kind:     hidden_remainder_y
      - .offset:         86
        .size:           2
        .value_kind:     hidden_remainder_z
      - .offset:         104
        .size:           8
        .value_kind:     hidden_global_offset_x
      - .offset:         112
        .size:           8
        .value_kind:     hidden_global_offset_y
      - .offset:         120
        .size:           8
        .value_kind:     hidden_global_offset_z
      - .offset:         128
        .size:           2
        .value_kind:     hidden_grid_dims
    .group_segment_fixed_size: 0
    .kernarg_segment_align: 8
    .kernarg_segment_size: 320
    .language:       OpenCL C
    .language_version:
      - 2
      - 0
    .max_flat_workgroup_size: 64
    .name:           _ZN2at6native12_GLOBAL__N_135GammaBetaBackwardCUDAKernelTemplateIN3c104HalfEfLj64ELj1ELj32ELb1ELb1ELb0EEEvllPKT_S7_PKT0_SA_PS5_SB_
    .private_segment_fixed_size: 0
    .sgpr_count:     34
    .sgpr_spill_count: 0
    .symbol:         _ZN2at6native12_GLOBAL__N_135GammaBetaBackwardCUDAKernelTemplateIN3c104HalfEfLj64ELj1ELj32ELb1ELb1ELb0EEEvllPKT_S7_PKT0_SA_PS5_SB_.kd
    .uniform_work_group_size: 1
    .uses_dynamic_stack: false
    .vgpr_count:     87
    .vgpr_spill_count: 0
    .wavefront_size: 32
    .workgroup_processor_mode: 1
  - .args:
      - .offset:         0
        .size:           8
        .value_kind:     by_value
      - .offset:         8
        .size:           8
        .value_kind:     by_value
      - .actual_access:  read_only
        .address_space:  global
        .offset:         16
        .size:           8
        .value_kind:     global_buffer
      - .actual_access:  read_only
        .address_space:  global
        .offset:         24
        .size:           8
        .value_kind:     global_buffer
      - .actual_access:  read_only
        .address_space:  global
        .offset:         32
        .size:           8
        .value_kind:     global_buffer
      - .actual_access:  read_only
        .address_space:  global
        .offset:         40
        .size:           8
        .value_kind:     global_buffer
      - .actual_access:  write_only
        .address_space:  global
        .offset:         48
        .size:           8
        .value_kind:     global_buffer
      - .actual_access:  write_only
        .address_space:  global
        .offset:         56
        .size:           8
        .value_kind:     global_buffer
      - .offset:         64
        .size:           4
        .value_kind:     hidden_block_count_x
      - .offset:         68
        .size:           4
        .value_kind:     hidden_block_count_y
      - .offset:         72
        .size:           4
        .value_kind:     hidden_block_count_z
      - .offset:         76
        .size:           2
        .value_kind:     hidden_group_size_x
      - .offset:         78
        .size:           2
        .value_kind:     hidden_group_size_y
      - .offset:         80
        .size:           2
        .value_kind:     hidden_group_size_z
      - .offset:         82
        .size:           2
        .value_kind:     hidden_remainder_x
      - .offset:         84
        .size:           2
        .value_kind:     hidden_remainder_y
      - .offset:         86
        .size:           2
        .value_kind:     hidden_remainder_z
      - .offset:         104
        .size:           8
        .value_kind:     hidden_global_offset_x
      - .offset:         112
        .size:           8
        .value_kind:     hidden_global_offset_y
      - .offset:         120
        .size:           8
        .value_kind:     hidden_global_offset_z
      - .offset:         128
        .size:           2
        .value_kind:     hidden_grid_dims
    .group_segment_fixed_size: 0
    .kernarg_segment_align: 8
    .kernarg_segment_size: 320
    .language:       OpenCL C
    .language_version:
      - 2
      - 0
    .max_flat_workgroup_size: 64
    .name:           _ZN2at6native12_GLOBAL__N_135GammaBetaBackwardCUDAKernelTemplateIN3c104HalfEfLj64ELj1ELj32ELb1ELb0ELb0EEEvllPKT_S7_PKT0_SA_PS5_SB_
    .private_segment_fixed_size: 312
    .sgpr_count:     42
    .sgpr_spill_count: 0
    .symbol:         _ZN2at6native12_GLOBAL__N_135GammaBetaBackwardCUDAKernelTemplateIN3c104HalfEfLj64ELj1ELj32ELb1ELb0ELb0EEEvllPKT_S7_PKT0_SA_PS5_SB_.kd
    .uniform_work_group_size: 1
    .uses_dynamic_stack: false
    .vgpr_count:     256
    .vgpr_spill_count: 150
    .wavefront_size: 32
    .workgroup_processor_mode: 1
  - .args:
      - .offset:         0
        .size:           8
        .value_kind:     by_value
      - .offset:         8
        .size:           8
        .value_kind:     by_value
      - .actual_access:  read_only
        .address_space:  global
        .offset:         16
        .size:           8
        .value_kind:     global_buffer
      - .actual_access:  read_only
        .address_space:  global
        .offset:         24
        .size:           8
        .value_kind:     global_buffer
      - .actual_access:  read_only
        .address_space:  global
        .offset:         32
        .size:           8
        .value_kind:     global_buffer
      - .actual_access:  read_only
        .address_space:  global
        .offset:         40
        .size:           8
        .value_kind:     global_buffer
      - .actual_access:  write_only
        .address_space:  global
        .offset:         48
        .size:           8
        .value_kind:     global_buffer
      - .actual_access:  write_only
        .address_space:  global
        .offset:         56
        .size:           8
        .value_kind:     global_buffer
      - .offset:         64
        .size:           4
        .value_kind:     hidden_block_count_x
      - .offset:         68
        .size:           4
        .value_kind:     hidden_block_count_y
      - .offset:         72
        .size:           4
        .value_kind:     hidden_block_count_z
      - .offset:         76
        .size:           2
        .value_kind:     hidden_group_size_x
      - .offset:         78
        .size:           2
        .value_kind:     hidden_group_size_y
      - .offset:         80
        .size:           2
        .value_kind:     hidden_group_size_z
      - .offset:         82
        .size:           2
        .value_kind:     hidden_remainder_x
      - .offset:         84
        .size:           2
        .value_kind:     hidden_remainder_y
      - .offset:         86
        .size:           2
        .value_kind:     hidden_remainder_z
      - .offset:         104
        .size:           8
        .value_kind:     hidden_global_offset_x
      - .offset:         112
        .size:           8
        .value_kind:     hidden_global_offset_y
      - .offset:         120
        .size:           8
        .value_kind:     hidden_global_offset_z
      - .offset:         128
        .size:           2
        .value_kind:     hidden_grid_dims
    .group_segment_fixed_size: 0
    .kernarg_segment_align: 8
    .kernarg_segment_size: 320
    .language:       OpenCL C
    .language_version:
      - 2
      - 0
    .max_flat_workgroup_size: 64
    .name:           _ZN2at6native12_GLOBAL__N_135GammaBetaBackwardCUDAKernelTemplateIN3c104HalfEfLj64ELj1ELj8ELb1ELb1ELb0EEEvllPKT_S7_PKT0_SA_PS5_SB_
    .private_segment_fixed_size: 0
    .sgpr_count:     34
    .sgpr_spill_count: 0
    .symbol:         _ZN2at6native12_GLOBAL__N_135GammaBetaBackwardCUDAKernelTemplateIN3c104HalfEfLj64ELj1ELj8ELb1ELb1ELb0EEEvllPKT_S7_PKT0_SA_PS5_SB_.kd
    .uniform_work_group_size: 1
    .uses_dynamic_stack: false
    .vgpr_count:     50
    .vgpr_spill_count: 0
    .wavefront_size: 32
    .workgroup_processor_mode: 1
  - .args:
      - .offset:         0
        .size:           8
        .value_kind:     by_value
      - .offset:         8
        .size:           8
        .value_kind:     by_value
      - .actual_access:  read_only
        .address_space:  global
        .offset:         16
        .size:           8
        .value_kind:     global_buffer
      - .actual_access:  read_only
        .address_space:  global
        .offset:         24
        .size:           8
        .value_kind:     global_buffer
      - .actual_access:  read_only
        .address_space:  global
        .offset:         32
        .size:           8
        .value_kind:     global_buffer
      - .actual_access:  read_only
        .address_space:  global
        .offset:         40
        .size:           8
        .value_kind:     global_buffer
      - .actual_access:  write_only
        .address_space:  global
        .offset:         48
        .size:           8
        .value_kind:     global_buffer
      - .actual_access:  write_only
        .address_space:  global
        .offset:         56
        .size:           8
        .value_kind:     global_buffer
      - .offset:         64
        .size:           4
        .value_kind:     hidden_block_count_x
      - .offset:         68
        .size:           4
        .value_kind:     hidden_block_count_y
      - .offset:         72
        .size:           4
        .value_kind:     hidden_block_count_z
      - .offset:         76
        .size:           2
        .value_kind:     hidden_group_size_x
      - .offset:         78
        .size:           2
        .value_kind:     hidden_group_size_y
      - .offset:         80
        .size:           2
        .value_kind:     hidden_group_size_z
      - .offset:         82
        .size:           2
        .value_kind:     hidden_remainder_x
      - .offset:         84
        .size:           2
        .value_kind:     hidden_remainder_y
      - .offset:         86
        .size:           2
        .value_kind:     hidden_remainder_z
      - .offset:         104
        .size:           8
        .value_kind:     hidden_global_offset_x
      - .offset:         112
        .size:           8
        .value_kind:     hidden_global_offset_y
      - .offset:         120
        .size:           8
        .value_kind:     hidden_global_offset_z
      - .offset:         128
        .size:           2
        .value_kind:     hidden_grid_dims
    .group_segment_fixed_size: 0
    .kernarg_segment_align: 8
    .kernarg_segment_size: 320
    .language:       OpenCL C
    .language_version:
      - 2
      - 0
    .max_flat_workgroup_size: 64
    .name:           _ZN2at6native12_GLOBAL__N_135GammaBetaBackwardCUDAKernelTemplateIN3c104HalfEfLj64ELj1ELj8ELb1ELb0ELb0EEEvllPKT_S7_PKT0_SA_PS5_SB_
    .private_segment_fixed_size: 0
    .sgpr_count:     34
    .sgpr_spill_count: 0
    .symbol:         _ZN2at6native12_GLOBAL__N_135GammaBetaBackwardCUDAKernelTemplateIN3c104HalfEfLj64ELj1ELj8ELb1ELb0ELb0EEEvllPKT_S7_PKT0_SA_PS5_SB_.kd
    .uniform_work_group_size: 1
    .uses_dynamic_stack: false
    .vgpr_count:     94
    .vgpr_spill_count: 0
    .wavefront_size: 32
    .workgroup_processor_mode: 1
  - .args:
      - .offset:         0
        .size:           8
        .value_kind:     by_value
      - .offset:         8
        .size:           8
        .value_kind:     by_value
      - .actual_access:  read_only
        .address_space:  global
        .offset:         16
        .size:           8
        .value_kind:     global_buffer
      - .actual_access:  read_only
        .address_space:  global
        .offset:         24
        .size:           8
        .value_kind:     global_buffer
      - .actual_access:  read_only
        .address_space:  global
        .offset:         32
        .size:           8
        .value_kind:     global_buffer
      - .actual_access:  read_only
        .address_space:  global
        .offset:         40
        .size:           8
        .value_kind:     global_buffer
      - .actual_access:  write_only
        .address_space:  global
        .offset:         48
        .size:           8
        .value_kind:     global_buffer
      - .actual_access:  write_only
        .address_space:  global
        .offset:         56
        .size:           8
        .value_kind:     global_buffer
      - .offset:         64
        .size:           4
        .value_kind:     hidden_block_count_x
      - .offset:         68
        .size:           4
        .value_kind:     hidden_block_count_y
      - .offset:         72
        .size:           4
        .value_kind:     hidden_block_count_z
      - .offset:         76
        .size:           2
        .value_kind:     hidden_group_size_x
      - .offset:         78
        .size:           2
        .value_kind:     hidden_group_size_y
      - .offset:         80
        .size:           2
        .value_kind:     hidden_group_size_z
      - .offset:         82
        .size:           2
        .value_kind:     hidden_remainder_x
      - .offset:         84
        .size:           2
        .value_kind:     hidden_remainder_y
      - .offset:         86
        .size:           2
        .value_kind:     hidden_remainder_z
      - .offset:         104
        .size:           8
        .value_kind:     hidden_global_offset_x
      - .offset:         112
        .size:           8
        .value_kind:     hidden_global_offset_y
      - .offset:         120
        .size:           8
        .value_kind:     hidden_global_offset_z
      - .offset:         128
        .size:           2
        .value_kind:     hidden_grid_dims
      - .offset:         184
        .size:           4
        .value_kind:     hidden_dynamic_lds_size
    .group_segment_fixed_size: 0
    .kernarg_segment_align: 8
    .kernarg_segment_size: 320
    .language:       OpenCL C
    .language_version:
      - 2
      - 0
    .max_flat_workgroup_size: 512
    .name:           _ZN2at6native12_GLOBAL__N_135GammaBetaBackwardCUDAKernelTemplateIN3c104HalfEfLj64ELj8ELj64ELb0ELb1ELb0EEEvllPKT_S7_PKT0_SA_PS5_SB_
    .private_segment_fixed_size: 0
    .sgpr_count:     30
    .sgpr_spill_count: 0
    .symbol:         _ZN2at6native12_GLOBAL__N_135GammaBetaBackwardCUDAKernelTemplateIN3c104HalfEfLj64ELj8ELj64ELb0ELb1ELb0EEEvllPKT_S7_PKT0_SA_PS5_SB_.kd
    .uniform_work_group_size: 1
    .uses_dynamic_stack: false
    .vgpr_count:     50
    .vgpr_spill_count: 0
    .wavefront_size: 32
    .workgroup_processor_mode: 1
  - .args:
      - .offset:         0
        .size:           8
        .value_kind:     by_value
      - .offset:         8
        .size:           8
        .value_kind:     by_value
      - .actual_access:  read_only
        .address_space:  global
        .offset:         16
        .size:           8
        .value_kind:     global_buffer
      - .actual_access:  read_only
        .address_space:  global
        .offset:         24
        .size:           8
        .value_kind:     global_buffer
      - .actual_access:  read_only
        .address_space:  global
        .offset:         32
        .size:           8
        .value_kind:     global_buffer
      - .actual_access:  read_only
        .address_space:  global
        .offset:         40
        .size:           8
        .value_kind:     global_buffer
      - .actual_access:  write_only
        .address_space:  global
        .offset:         48
        .size:           8
        .value_kind:     global_buffer
      - .actual_access:  write_only
        .address_space:  global
        .offset:         56
        .size:           8
        .value_kind:     global_buffer
      - .offset:         64
        .size:           4
        .value_kind:     hidden_block_count_x
      - .offset:         68
        .size:           4
        .value_kind:     hidden_block_count_y
      - .offset:         72
        .size:           4
        .value_kind:     hidden_block_count_z
      - .offset:         76
        .size:           2
        .value_kind:     hidden_group_size_x
      - .offset:         78
        .size:           2
        .value_kind:     hidden_group_size_y
      - .offset:         80
        .size:           2
        .value_kind:     hidden_group_size_z
      - .offset:         82
        .size:           2
        .value_kind:     hidden_remainder_x
      - .offset:         84
        .size:           2
        .value_kind:     hidden_remainder_y
      - .offset:         86
        .size:           2
        .value_kind:     hidden_remainder_z
      - .offset:         104
        .size:           8
        .value_kind:     hidden_global_offset_x
      - .offset:         112
        .size:           8
        .value_kind:     hidden_global_offset_y
      - .offset:         120
        .size:           8
        .value_kind:     hidden_global_offset_z
      - .offset:         128
        .size:           2
        .value_kind:     hidden_grid_dims
      - .offset:         184
        .size:           4
        .value_kind:     hidden_dynamic_lds_size
    .group_segment_fixed_size: 0
    .kernarg_segment_align: 8
    .kernarg_segment_size: 320
    .language:       OpenCL C
    .language_version:
      - 2
      - 0
    .max_flat_workgroup_size: 512
    .name:           _ZN2at6native12_GLOBAL__N_135GammaBetaBackwardCUDAKernelTemplateIN3c104HalfEfLj64ELj8ELj64ELb0ELb0ELb0EEEvllPKT_S7_PKT0_SA_PS5_SB_
    .private_segment_fixed_size: 0
    .sgpr_count:     34
    .sgpr_spill_count: 0
    .symbol:         _ZN2at6native12_GLOBAL__N_135GammaBetaBackwardCUDAKernelTemplateIN3c104HalfEfLj64ELj8ELj64ELb0ELb0ELb0EEEvllPKT_S7_PKT0_SA_PS5_SB_.kd
    .uniform_work_group_size: 1
    .uses_dynamic_stack: false
    .vgpr_count:     93
    .vgpr_spill_count: 0
    .wavefront_size: 32
    .workgroup_processor_mode: 1
  - .args:
      - .offset:         0
        .size:           8
        .value_kind:     by_value
      - .offset:         8
        .size:           8
        .value_kind:     by_value
      - .actual_access:  read_only
        .address_space:  global
        .offset:         16
        .size:           8
        .value_kind:     global_buffer
      - .actual_access:  read_only
        .address_space:  global
        .offset:         24
        .size:           8
        .value_kind:     global_buffer
      - .actual_access:  read_only
        .address_space:  global
        .offset:         32
        .size:           8
        .value_kind:     global_buffer
      - .actual_access:  read_only
        .address_space:  global
        .offset:         40
        .size:           8
        .value_kind:     global_buffer
      - .actual_access:  write_only
        .address_space:  global
        .offset:         48
        .size:           8
        .value_kind:     global_buffer
      - .actual_access:  write_only
        .address_space:  global
        .offset:         56
        .size:           8
        .value_kind:     global_buffer
      - .offset:         64
        .size:           4
        .value_kind:     hidden_block_count_x
      - .offset:         68
        .size:           4
        .value_kind:     hidden_block_count_y
      - .offset:         72
        .size:           4
        .value_kind:     hidden_block_count_z
      - .offset:         76
        .size:           2
        .value_kind:     hidden_group_size_x
      - .offset:         78
        .size:           2
        .value_kind:     hidden_group_size_y
      - .offset:         80
        .size:           2
        .value_kind:     hidden_group_size_z
      - .offset:         82
        .size:           2
        .value_kind:     hidden_remainder_x
      - .offset:         84
        .size:           2
        .value_kind:     hidden_remainder_y
      - .offset:         86
        .size:           2
        .value_kind:     hidden_remainder_z
      - .offset:         104
        .size:           8
        .value_kind:     hidden_global_offset_x
      - .offset:         112
        .size:           8
        .value_kind:     hidden_global_offset_y
      - .offset:         120
        .size:           8
        .value_kind:     hidden_global_offset_z
      - .offset:         128
        .size:           2
        .value_kind:     hidden_grid_dims
      - .offset:         184
        .size:           4
        .value_kind:     hidden_dynamic_lds_size
    .group_segment_fixed_size: 0
    .kernarg_segment_align: 8
    .kernarg_segment_size: 320
    .language:       OpenCL C
    .language_version:
      - 2
      - 0
    .max_flat_workgroup_size: 1024
    .name:           _ZN2at6native12_GLOBAL__N_135GammaBetaBackwardCUDAKernelTemplateIN3c104HalfEfLj64ELj16ELj128ELb0ELb1ELb0EEEvllPKT_S7_PKT0_SA_PS5_SB_
    .private_segment_fixed_size: 0
    .sgpr_count:     30
    .sgpr_spill_count: 0
    .symbol:         _ZN2at6native12_GLOBAL__N_135GammaBetaBackwardCUDAKernelTemplateIN3c104HalfEfLj64ELj16ELj128ELb0ELb1ELb0EEEvllPKT_S7_PKT0_SA_PS5_SB_.kd
    .uniform_work_group_size: 1
    .uses_dynamic_stack: false
    .vgpr_count:     50
    .vgpr_spill_count: 0
    .wavefront_size: 32
    .workgroup_processor_mode: 1
  - .args:
      - .offset:         0
        .size:           8
        .value_kind:     by_value
      - .offset:         8
        .size:           8
        .value_kind:     by_value
      - .actual_access:  read_only
        .address_space:  global
        .offset:         16
        .size:           8
        .value_kind:     global_buffer
      - .actual_access:  read_only
        .address_space:  global
        .offset:         24
        .size:           8
        .value_kind:     global_buffer
      - .actual_access:  read_only
        .address_space:  global
        .offset:         32
        .size:           8
        .value_kind:     global_buffer
      - .actual_access:  read_only
        .address_space:  global
        .offset:         40
        .size:           8
        .value_kind:     global_buffer
      - .actual_access:  write_only
        .address_space:  global
        .offset:         48
        .size:           8
        .value_kind:     global_buffer
      - .actual_access:  write_only
        .address_space:  global
        .offset:         56
        .size:           8
        .value_kind:     global_buffer
      - .offset:         64
        .size:           4
        .value_kind:     hidden_block_count_x
      - .offset:         68
        .size:           4
        .value_kind:     hidden_block_count_y
      - .offset:         72
        .size:           4
        .value_kind:     hidden_block_count_z
      - .offset:         76
        .size:           2
        .value_kind:     hidden_group_size_x
      - .offset:         78
        .size:           2
        .value_kind:     hidden_group_size_y
      - .offset:         80
        .size:           2
        .value_kind:     hidden_group_size_z
      - .offset:         82
        .size:           2
        .value_kind:     hidden_remainder_x
      - .offset:         84
        .size:           2
        .value_kind:     hidden_remainder_y
      - .offset:         86
        .size:           2
        .value_kind:     hidden_remainder_z
      - .offset:         104
        .size:           8
        .value_kind:     hidden_global_offset_x
      - .offset:         112
        .size:           8
        .value_kind:     hidden_global_offset_y
      - .offset:         120
        .size:           8
        .value_kind:     hidden_global_offset_z
      - .offset:         128
        .size:           2
        .value_kind:     hidden_grid_dims
      - .offset:         184
        .size:           4
        .value_kind:     hidden_dynamic_lds_size
    .group_segment_fixed_size: 0
    .kernarg_segment_align: 8
    .kernarg_segment_size: 320
    .language:       OpenCL C
    .language_version:
      - 2
      - 0
    .max_flat_workgroup_size: 1024
    .name:           _ZN2at6native12_GLOBAL__N_135GammaBetaBackwardCUDAKernelTemplateIN3c104HalfEfLj64ELj16ELj128ELb0ELb0ELb0EEEvllPKT_S7_PKT0_SA_PS5_SB_
    .private_segment_fixed_size: 0
    .sgpr_count:     34
    .sgpr_spill_count: 0
    .symbol:         _ZN2at6native12_GLOBAL__N_135GammaBetaBackwardCUDAKernelTemplateIN3c104HalfEfLj64ELj16ELj128ELb0ELb0ELb0EEEvllPKT_S7_PKT0_SA_PS5_SB_.kd
    .uniform_work_group_size: 1
    .uses_dynamic_stack: false
    .vgpr_count:     93
    .vgpr_spill_count: 0
    .wavefront_size: 32
    .workgroup_processor_mode: 1
  - .args:
      - .offset:         0
        .size:           8
        .value_kind:     by_value
      - .offset:         8
        .size:           8
        .value_kind:     by_value
      - .actual_access:  read_only
        .address_space:  global
        .offset:         16
        .size:           8
        .value_kind:     global_buffer
      - .actual_access:  read_only
        .address_space:  global
        .offset:         24
        .size:           8
        .value_kind:     global_buffer
      - .actual_access:  read_only
        .address_space:  global
        .offset:         32
        .size:           8
        .value_kind:     global_buffer
      - .actual_access:  read_only
        .address_space:  global
        .offset:         40
        .size:           8
        .value_kind:     global_buffer
      - .actual_access:  write_only
        .address_space:  global
        .offset:         48
        .size:           8
        .value_kind:     global_buffer
      - .actual_access:  write_only
        .address_space:  global
        .offset:         56
        .size:           8
        .value_kind:     global_buffer
      - .offset:         64
        .size:           4
        .value_kind:     hidden_block_count_x
      - .offset:         68
        .size:           4
        .value_kind:     hidden_block_count_y
      - .offset:         72
        .size:           4
        .value_kind:     hidden_block_count_z
      - .offset:         76
        .size:           2
        .value_kind:     hidden_group_size_x
      - .offset:         78
        .size:           2
        .value_kind:     hidden_group_size_y
      - .offset:         80
        .size:           2
        .value_kind:     hidden_group_size_z
      - .offset:         82
        .size:           2
        .value_kind:     hidden_remainder_x
      - .offset:         84
        .size:           2
        .value_kind:     hidden_remainder_y
      - .offset:         86
        .size:           2
        .value_kind:     hidden_remainder_z
      - .offset:         104
        .size:           8
        .value_kind:     hidden_global_offset_x
      - .offset:         112
        .size:           8
        .value_kind:     hidden_global_offset_y
      - .offset:         120
        .size:           8
        .value_kind:     hidden_global_offset_z
      - .offset:         128
        .size:           2
        .value_kind:     hidden_grid_dims
      - .offset:         184
        .size:           4
        .value_kind:     hidden_dynamic_lds_size
    .group_segment_fixed_size: 0
    .kernarg_segment_align: 8
    .kernarg_segment_size: 320
    .language:       OpenCL C
    .language_version:
      - 2
      - 0
    .max_flat_workgroup_size: 1024
    .name:           _ZN2at6native12_GLOBAL__N_135GammaBetaBackwardCUDAKernelTemplateIN3c104HalfEfLj64ELj16ELj256ELb0ELb1ELb0EEEvllPKT_S7_PKT0_SA_PS5_SB_
    .private_segment_fixed_size: 0
    .sgpr_count:     30
    .sgpr_spill_count: 0
    .symbol:         _ZN2at6native12_GLOBAL__N_135GammaBetaBackwardCUDAKernelTemplateIN3c104HalfEfLj64ELj16ELj256ELb0ELb1ELb0EEEvllPKT_S7_PKT0_SA_PS5_SB_.kd
    .uniform_work_group_size: 1
    .uses_dynamic_stack: false
    .vgpr_count:     64
    .vgpr_spill_count: 0
    .wavefront_size: 32
    .workgroup_processor_mode: 1
  - .args:
      - .offset:         0
        .size:           8
        .value_kind:     by_value
      - .offset:         8
        .size:           8
        .value_kind:     by_value
      - .actual_access:  read_only
        .address_space:  global
        .offset:         16
        .size:           8
        .value_kind:     global_buffer
      - .actual_access:  read_only
        .address_space:  global
        .offset:         24
        .size:           8
        .value_kind:     global_buffer
      - .actual_access:  read_only
        .address_space:  global
        .offset:         32
        .size:           8
        .value_kind:     global_buffer
      - .actual_access:  read_only
        .address_space:  global
        .offset:         40
        .size:           8
        .value_kind:     global_buffer
      - .actual_access:  write_only
        .address_space:  global
        .offset:         48
        .size:           8
        .value_kind:     global_buffer
      - .actual_access:  write_only
        .address_space:  global
        .offset:         56
        .size:           8
        .value_kind:     global_buffer
      - .offset:         64
        .size:           4
        .value_kind:     hidden_block_count_x
      - .offset:         68
        .size:           4
        .value_kind:     hidden_block_count_y
      - .offset:         72
        .size:           4
        .value_kind:     hidden_block_count_z
      - .offset:         76
        .size:           2
        .value_kind:     hidden_group_size_x
      - .offset:         78
        .size:           2
        .value_kind:     hidden_group_size_y
      - .offset:         80
        .size:           2
        .value_kind:     hidden_group_size_z
      - .offset:         82
        .size:           2
        .value_kind:     hidden_remainder_x
      - .offset:         84
        .size:           2
        .value_kind:     hidden_remainder_y
      - .offset:         86
        .size:           2
        .value_kind:     hidden_remainder_z
      - .offset:         104
        .size:           8
        .value_kind:     hidden_global_offset_x
      - .offset:         112
        .size:           8
        .value_kind:     hidden_global_offset_y
      - .offset:         120
        .size:           8
        .value_kind:     hidden_global_offset_z
      - .offset:         128
        .size:           2
        .value_kind:     hidden_grid_dims
      - .offset:         184
        .size:           4
        .value_kind:     hidden_dynamic_lds_size
    .group_segment_fixed_size: 0
    .kernarg_segment_align: 8
    .kernarg_segment_size: 320
    .language:       OpenCL C
    .language_version:
      - 2
      - 0
    .max_flat_workgroup_size: 1024
    .name:           _ZN2at6native12_GLOBAL__N_135GammaBetaBackwardCUDAKernelTemplateIN3c104HalfEfLj64ELj16ELj256ELb0ELb0ELb0EEEvllPKT_S7_PKT0_SA_PS5_SB_
    .private_segment_fixed_size: 176
    .sgpr_count:     42
    .sgpr_spill_count: 0
    .symbol:         _ZN2at6native12_GLOBAL__N_135GammaBetaBackwardCUDAKernelTemplateIN3c104HalfEfLj64ELj16ELj256ELb0ELb0ELb0EEEvllPKT_S7_PKT0_SA_PS5_SB_.kd
    .uniform_work_group_size: 1
    .uses_dynamic_stack: false
    .vgpr_count:     128
    .vgpr_spill_count: 82
    .wavefront_size: 32
    .workgroup_processor_mode: 1
  - .args:
      - .offset:         0
        .size:           8
        .value_kind:     by_value
      - .offset:         8
        .size:           8
        .value_kind:     by_value
      - .actual_access:  read_only
        .address_space:  global
        .offset:         16
        .size:           8
        .value_kind:     global_buffer
      - .actual_access:  read_only
        .address_space:  global
        .offset:         24
        .size:           8
        .value_kind:     global_buffer
      - .actual_access:  read_only
        .address_space:  global
        .offset:         32
        .size:           8
        .value_kind:     global_buffer
      - .actual_access:  read_only
        .address_space:  global
        .offset:         40
        .size:           8
        .value_kind:     global_buffer
      - .actual_access:  write_only
        .address_space:  global
        .offset:         48
        .size:           8
        .value_kind:     global_buffer
      - .actual_access:  write_only
        .address_space:  global
        .offset:         56
        .size:           8
        .value_kind:     global_buffer
      - .offset:         64
        .size:           4
        .value_kind:     hidden_block_count_x
      - .offset:         68
        .size:           4
        .value_kind:     hidden_block_count_y
      - .offset:         72
        .size:           4
        .value_kind:     hidden_block_count_z
      - .offset:         76
        .size:           2
        .value_kind:     hidden_group_size_x
      - .offset:         78
        .size:           2
        .value_kind:     hidden_group_size_y
      - .offset:         80
        .size:           2
        .value_kind:     hidden_group_size_z
      - .offset:         82
        .size:           2
        .value_kind:     hidden_remainder_x
      - .offset:         84
        .size:           2
        .value_kind:     hidden_remainder_y
      - .offset:         86
        .size:           2
        .value_kind:     hidden_remainder_z
      - .offset:         104
        .size:           8
        .value_kind:     hidden_global_offset_x
      - .offset:         112
        .size:           8
        .value_kind:     hidden_global_offset_y
      - .offset:         120
        .size:           8
        .value_kind:     hidden_global_offset_z
      - .offset:         128
        .size:           2
        .value_kind:     hidden_grid_dims
    .group_segment_fixed_size: 0
    .kernarg_segment_align: 8
    .kernarg_segment_size: 320
    .language:       OpenCL C
    .language_version:
      - 2
      - 0
    .max_flat_workgroup_size: 32
    .name:           _ZN2at6native12_GLOBAL__N_135GammaBetaBackwardCUDAKernelTemplateIN3c104HalfEfLj32ELj1ELj32ELb1ELb1ELb0EEEvllPKT_S7_PKT0_SA_PS5_SB_
    .private_segment_fixed_size: 0
    .sgpr_count:     34
    .sgpr_spill_count: 0
    .symbol:         _ZN2at6native12_GLOBAL__N_135GammaBetaBackwardCUDAKernelTemplateIN3c104HalfEfLj32ELj1ELj32ELb1ELb1ELb0EEEvllPKT_S7_PKT0_SA_PS5_SB_.kd
    .uniform_work_group_size: 1
    .uses_dynamic_stack: false
    .vgpr_count:     87
    .vgpr_spill_count: 0
    .wavefront_size: 32
    .workgroup_processor_mode: 1
  - .args:
      - .offset:         0
        .size:           8
        .value_kind:     by_value
      - .offset:         8
        .size:           8
        .value_kind:     by_value
      - .actual_access:  read_only
        .address_space:  global
        .offset:         16
        .size:           8
        .value_kind:     global_buffer
      - .actual_access:  read_only
        .address_space:  global
        .offset:         24
        .size:           8
        .value_kind:     global_buffer
      - .actual_access:  read_only
        .address_space:  global
        .offset:         32
        .size:           8
        .value_kind:     global_buffer
      - .actual_access:  read_only
        .address_space:  global
        .offset:         40
        .size:           8
        .value_kind:     global_buffer
      - .actual_access:  write_only
        .address_space:  global
        .offset:         48
        .size:           8
        .value_kind:     global_buffer
      - .actual_access:  write_only
        .address_space:  global
        .offset:         56
        .size:           8
        .value_kind:     global_buffer
      - .offset:         64
        .size:           4
        .value_kind:     hidden_block_count_x
      - .offset:         68
        .size:           4
        .value_kind:     hidden_block_count_y
      - .offset:         72
        .size:           4
        .value_kind:     hidden_block_count_z
      - .offset:         76
        .size:           2
        .value_kind:     hidden_group_size_x
      - .offset:         78
        .size:           2
        .value_kind:     hidden_group_size_y
      - .offset:         80
        .size:           2
        .value_kind:     hidden_group_size_z
      - .offset:         82
        .size:           2
        .value_kind:     hidden_remainder_x
      - .offset:         84
        .size:           2
        .value_kind:     hidden_remainder_y
      - .offset:         86
        .size:           2
        .value_kind:     hidden_remainder_z
      - .offset:         104
        .size:           8
        .value_kind:     hidden_global_offset_x
      - .offset:         112
        .size:           8
        .value_kind:     hidden_global_offset_y
      - .offset:         120
        .size:           8
        .value_kind:     hidden_global_offset_z
      - .offset:         128
        .size:           2
        .value_kind:     hidden_grid_dims
    .group_segment_fixed_size: 0
    .kernarg_segment_align: 8
    .kernarg_segment_size: 320
    .language:       OpenCL C
    .language_version:
      - 2
      - 0
    .max_flat_workgroup_size: 32
    .name:           _ZN2at6native12_GLOBAL__N_135GammaBetaBackwardCUDAKernelTemplateIN3c104HalfEfLj32ELj1ELj32ELb1ELb0ELb0EEEvllPKT_S7_PKT0_SA_PS5_SB_
    .private_segment_fixed_size: 312
    .sgpr_count:     42
    .sgpr_spill_count: 0
    .symbol:         _ZN2at6native12_GLOBAL__N_135GammaBetaBackwardCUDAKernelTemplateIN3c104HalfEfLj32ELj1ELj32ELb1ELb0ELb0EEEvllPKT_S7_PKT0_SA_PS5_SB_.kd
    .uniform_work_group_size: 1
    .uses_dynamic_stack: false
    .vgpr_count:     256
    .vgpr_spill_count: 150
    .wavefront_size: 32
    .workgroup_processor_mode: 1
  - .args:
      - .offset:         0
        .size:           8
        .value_kind:     by_value
      - .offset:         8
        .size:           8
        .value_kind:     by_value
      - .actual_access:  read_only
        .address_space:  global
        .offset:         16
        .size:           8
        .value_kind:     global_buffer
      - .actual_access:  read_only
        .address_space:  global
        .offset:         24
        .size:           8
        .value_kind:     global_buffer
      - .actual_access:  read_only
        .address_space:  global
        .offset:         32
        .size:           8
        .value_kind:     global_buffer
      - .actual_access:  read_only
        .address_space:  global
        .offset:         40
        .size:           8
        .value_kind:     global_buffer
      - .actual_access:  write_only
        .address_space:  global
        .offset:         48
        .size:           8
        .value_kind:     global_buffer
      - .actual_access:  write_only
        .address_space:  global
        .offset:         56
        .size:           8
        .value_kind:     global_buffer
      - .offset:         64
        .size:           4
        .value_kind:     hidden_block_count_x
      - .offset:         68
        .size:           4
        .value_kind:     hidden_block_count_y
      - .offset:         72
        .size:           4
        .value_kind:     hidden_block_count_z
      - .offset:         76
        .size:           2
        .value_kind:     hidden_group_size_x
      - .offset:         78
        .size:           2
        .value_kind:     hidden_group_size_y
      - .offset:         80
        .size:           2
        .value_kind:     hidden_group_size_z
      - .offset:         82
        .size:           2
        .value_kind:     hidden_remainder_x
      - .offset:         84
        .size:           2
        .value_kind:     hidden_remainder_y
      - .offset:         86
        .size:           2
        .value_kind:     hidden_remainder_z
      - .offset:         104
        .size:           8
        .value_kind:     hidden_global_offset_x
      - .offset:         112
        .size:           8
        .value_kind:     hidden_global_offset_y
      - .offset:         120
        .size:           8
        .value_kind:     hidden_global_offset_z
      - .offset:         128
        .size:           2
        .value_kind:     hidden_grid_dims
    .group_segment_fixed_size: 0
    .kernarg_segment_align: 8
    .kernarg_segment_size: 320
    .language:       OpenCL C
    .language_version:
      - 2
      - 0
    .max_flat_workgroup_size: 32
    .name:           _ZN2at6native12_GLOBAL__N_135GammaBetaBackwardCUDAKernelTemplateIN3c104HalfEfLj32ELj1ELj8ELb1ELb1ELb0EEEvllPKT_S7_PKT0_SA_PS5_SB_
    .private_segment_fixed_size: 0
    .sgpr_count:     34
    .sgpr_spill_count: 0
    .symbol:         _ZN2at6native12_GLOBAL__N_135GammaBetaBackwardCUDAKernelTemplateIN3c104HalfEfLj32ELj1ELj8ELb1ELb1ELb0EEEvllPKT_S7_PKT0_SA_PS5_SB_.kd
    .uniform_work_group_size: 1
    .uses_dynamic_stack: false
    .vgpr_count:     50
    .vgpr_spill_count: 0
    .wavefront_size: 32
    .workgroup_processor_mode: 1
  - .args:
      - .offset:         0
        .size:           8
        .value_kind:     by_value
      - .offset:         8
        .size:           8
        .value_kind:     by_value
      - .actual_access:  read_only
        .address_space:  global
        .offset:         16
        .size:           8
        .value_kind:     global_buffer
      - .actual_access:  read_only
        .address_space:  global
        .offset:         24
        .size:           8
        .value_kind:     global_buffer
      - .actual_access:  read_only
        .address_space:  global
        .offset:         32
        .size:           8
        .value_kind:     global_buffer
      - .actual_access:  read_only
        .address_space:  global
        .offset:         40
        .size:           8
        .value_kind:     global_buffer
      - .actual_access:  write_only
        .address_space:  global
        .offset:         48
        .size:           8
        .value_kind:     global_buffer
      - .actual_access:  write_only
        .address_space:  global
        .offset:         56
        .size:           8
        .value_kind:     global_buffer
      - .offset:         64
        .size:           4
        .value_kind:     hidden_block_count_x
      - .offset:         68
        .size:           4
        .value_kind:     hidden_block_count_y
      - .offset:         72
        .size:           4
        .value_kind:     hidden_block_count_z
      - .offset:         76
        .size:           2
        .value_kind:     hidden_group_size_x
      - .offset:         78
        .size:           2
        .value_kind:     hidden_group_size_y
      - .offset:         80
        .size:           2
        .value_kind:     hidden_group_size_z
      - .offset:         82
        .size:           2
        .value_kind:     hidden_remainder_x
      - .offset:         84
        .size:           2
        .value_kind:     hidden_remainder_y
      - .offset:         86
        .size:           2
        .value_kind:     hidden_remainder_z
      - .offset:         104
        .size:           8
        .value_kind:     hidden_global_offset_x
      - .offset:         112
        .size:           8
        .value_kind:     hidden_global_offset_y
      - .offset:         120
        .size:           8
        .value_kind:     hidden_global_offset_z
      - .offset:         128
        .size:           2
        .value_kind:     hidden_grid_dims
    .group_segment_fixed_size: 0
    .kernarg_segment_align: 8
    .kernarg_segment_size: 320
    .language:       OpenCL C
    .language_version:
      - 2
      - 0
    .max_flat_workgroup_size: 32
    .name:           _ZN2at6native12_GLOBAL__N_135GammaBetaBackwardCUDAKernelTemplateIN3c104HalfEfLj32ELj1ELj8ELb1ELb0ELb0EEEvllPKT_S7_PKT0_SA_PS5_SB_
    .private_segment_fixed_size: 0
    .sgpr_count:     34
    .sgpr_spill_count: 0
    .symbol:         _ZN2at6native12_GLOBAL__N_135GammaBetaBackwardCUDAKernelTemplateIN3c104HalfEfLj32ELj1ELj8ELb1ELb0ELb0EEEvllPKT_S7_PKT0_SA_PS5_SB_.kd
    .uniform_work_group_size: 1
    .uses_dynamic_stack: false
    .vgpr_count:     94
    .vgpr_spill_count: 0
    .wavefront_size: 32
    .workgroup_processor_mode: 1
  - .args:
      - .offset:         0
        .size:           8
        .value_kind:     by_value
      - .offset:         8
        .size:           8
        .value_kind:     by_value
      - .actual_access:  read_only
        .address_space:  global
        .offset:         16
        .size:           8
        .value_kind:     global_buffer
      - .actual_access:  read_only
        .address_space:  global
        .offset:         24
        .size:           8
        .value_kind:     global_buffer
      - .actual_access:  read_only
        .address_space:  global
        .offset:         32
        .size:           8
        .value_kind:     global_buffer
      - .actual_access:  read_only
        .address_space:  global
        .offset:         40
        .size:           8
        .value_kind:     global_buffer
      - .actual_access:  write_only
        .address_space:  global
        .offset:         48
        .size:           8
        .value_kind:     global_buffer
      - .actual_access:  write_only
        .address_space:  global
        .offset:         56
        .size:           8
        .value_kind:     global_buffer
      - .offset:         64
        .size:           4
        .value_kind:     hidden_block_count_x
      - .offset:         68
        .size:           4
        .value_kind:     hidden_block_count_y
      - .offset:         72
        .size:           4
        .value_kind:     hidden_block_count_z
      - .offset:         76
        .size:           2
        .value_kind:     hidden_group_size_x
      - .offset:         78
        .size:           2
        .value_kind:     hidden_group_size_y
      - .offset:         80
        .size:           2
        .value_kind:     hidden_group_size_z
      - .offset:         82
        .size:           2
        .value_kind:     hidden_remainder_x
      - .offset:         84
        .size:           2
        .value_kind:     hidden_remainder_y
      - .offset:         86
        .size:           2
        .value_kind:     hidden_remainder_z
      - .offset:         104
        .size:           8
        .value_kind:     hidden_global_offset_x
      - .offset:         112
        .size:           8
        .value_kind:     hidden_global_offset_y
      - .offset:         120
        .size:           8
        .value_kind:     hidden_global_offset_z
      - .offset:         128
        .size:           2
        .value_kind:     hidden_grid_dims
      - .offset:         184
        .size:           4
        .value_kind:     hidden_dynamic_lds_size
    .group_segment_fixed_size: 0
    .kernarg_segment_align: 8
    .kernarg_segment_size: 320
    .language:       OpenCL C
    .language_version:
      - 2
      - 0
    .max_flat_workgroup_size: 256
    .name:           _ZN2at6native12_GLOBAL__N_135GammaBetaBackwardCUDAKernelTemplateIN3c104HalfEfLj32ELj8ELj64ELb0ELb1ELb0EEEvllPKT_S7_PKT0_SA_PS5_SB_
    .private_segment_fixed_size: 0
    .sgpr_count:     30
    .sgpr_spill_count: 0
    .symbol:         _ZN2at6native12_GLOBAL__N_135GammaBetaBackwardCUDAKernelTemplateIN3c104HalfEfLj32ELj8ELj64ELb0ELb1ELb0EEEvllPKT_S7_PKT0_SA_PS5_SB_.kd
    .uniform_work_group_size: 1
    .uses_dynamic_stack: false
    .vgpr_count:     50
    .vgpr_spill_count: 0
    .wavefront_size: 32
    .workgroup_processor_mode: 1
  - .args:
      - .offset:         0
        .size:           8
        .value_kind:     by_value
      - .offset:         8
        .size:           8
        .value_kind:     by_value
      - .actual_access:  read_only
        .address_space:  global
        .offset:         16
        .size:           8
        .value_kind:     global_buffer
      - .actual_access:  read_only
        .address_space:  global
        .offset:         24
        .size:           8
        .value_kind:     global_buffer
      - .actual_access:  read_only
        .address_space:  global
        .offset:         32
        .size:           8
        .value_kind:     global_buffer
      - .actual_access:  read_only
        .address_space:  global
        .offset:         40
        .size:           8
        .value_kind:     global_buffer
      - .actual_access:  write_only
        .address_space:  global
        .offset:         48
        .size:           8
        .value_kind:     global_buffer
      - .actual_access:  write_only
        .address_space:  global
        .offset:         56
        .size:           8
        .value_kind:     global_buffer
      - .offset:         64
        .size:           4
        .value_kind:     hidden_block_count_x
      - .offset:         68
        .size:           4
        .value_kind:     hidden_block_count_y
      - .offset:         72
        .size:           4
        .value_kind:     hidden_block_count_z
      - .offset:         76
        .size:           2
        .value_kind:     hidden_group_size_x
      - .offset:         78
        .size:           2
        .value_kind:     hidden_group_size_y
      - .offset:         80
        .size:           2
        .value_kind:     hidden_group_size_z
      - .offset:         82
        .size:           2
        .value_kind:     hidden_remainder_x
      - .offset:         84
        .size:           2
        .value_kind:     hidden_remainder_y
      - .offset:         86
        .size:           2
        .value_kind:     hidden_remainder_z
      - .offset:         104
        .size:           8
        .value_kind:     hidden_global_offset_x
      - .offset:         112
        .size:           8
        .value_kind:     hidden_global_offset_y
      - .offset:         120
        .size:           8
        .value_kind:     hidden_global_offset_z
      - .offset:         128
        .size:           2
        .value_kind:     hidden_grid_dims
      - .offset:         184
        .size:           4
        .value_kind:     hidden_dynamic_lds_size
    .group_segment_fixed_size: 0
    .kernarg_segment_align: 8
    .kernarg_segment_size: 320
    .language:       OpenCL C
    .language_version:
      - 2
      - 0
    .max_flat_workgroup_size: 256
    .name:           _ZN2at6native12_GLOBAL__N_135GammaBetaBackwardCUDAKernelTemplateIN3c104HalfEfLj32ELj8ELj64ELb0ELb0ELb0EEEvllPKT_S7_PKT0_SA_PS5_SB_
    .private_segment_fixed_size: 0
    .sgpr_count:     34
    .sgpr_spill_count: 0
    .symbol:         _ZN2at6native12_GLOBAL__N_135GammaBetaBackwardCUDAKernelTemplateIN3c104HalfEfLj32ELj8ELj64ELb0ELb0ELb0EEEvllPKT_S7_PKT0_SA_PS5_SB_.kd
    .uniform_work_group_size: 1
    .uses_dynamic_stack: false
    .vgpr_count:     93
    .vgpr_spill_count: 0
    .wavefront_size: 32
    .workgroup_processor_mode: 1
  - .args:
      - .offset:         0
        .size:           8
        .value_kind:     by_value
      - .offset:         8
        .size:           8
        .value_kind:     by_value
      - .actual_access:  read_only
        .address_space:  global
        .offset:         16
        .size:           8
        .value_kind:     global_buffer
      - .actual_access:  read_only
        .address_space:  global
        .offset:         24
        .size:           8
        .value_kind:     global_buffer
      - .actual_access:  read_only
        .address_space:  global
        .offset:         32
        .size:           8
        .value_kind:     global_buffer
      - .actual_access:  read_only
        .address_space:  global
        .offset:         40
        .size:           8
        .value_kind:     global_buffer
      - .actual_access:  write_only
        .address_space:  global
        .offset:         48
        .size:           8
        .value_kind:     global_buffer
      - .actual_access:  write_only
        .address_space:  global
        .offset:         56
        .size:           8
        .value_kind:     global_buffer
      - .offset:         64
        .size:           4
        .value_kind:     hidden_block_count_x
      - .offset:         68
        .size:           4
        .value_kind:     hidden_block_count_y
      - .offset:         72
        .size:           4
        .value_kind:     hidden_block_count_z
      - .offset:         76
        .size:           2
        .value_kind:     hidden_group_size_x
      - .offset:         78
        .size:           2
        .value_kind:     hidden_group_size_y
      - .offset:         80
        .size:           2
        .value_kind:     hidden_group_size_z
      - .offset:         82
        .size:           2
        .value_kind:     hidden_remainder_x
      - .offset:         84
        .size:           2
        .value_kind:     hidden_remainder_y
      - .offset:         86
        .size:           2
        .value_kind:     hidden_remainder_z
      - .offset:         104
        .size:           8
        .value_kind:     hidden_global_offset_x
      - .offset:         112
        .size:           8
        .value_kind:     hidden_global_offset_y
      - .offset:         120
        .size:           8
        .value_kind:     hidden_global_offset_z
      - .offset:         128
        .size:           2
        .value_kind:     hidden_grid_dims
      - .offset:         184
        .size:           4
        .value_kind:     hidden_dynamic_lds_size
    .group_segment_fixed_size: 0
    .kernarg_segment_align: 8
    .kernarg_segment_size: 320
    .language:       OpenCL C
    .language_version:
      - 2
      - 0
    .max_flat_workgroup_size: 512
    .name:           _ZN2at6native12_GLOBAL__N_135GammaBetaBackwardCUDAKernelTemplateIN3c104HalfEfLj32ELj16ELj128ELb0ELb1ELb0EEEvllPKT_S7_PKT0_SA_PS5_SB_
    .private_segment_fixed_size: 0
    .sgpr_count:     30
    .sgpr_spill_count: 0
    .symbol:         _ZN2at6native12_GLOBAL__N_135GammaBetaBackwardCUDAKernelTemplateIN3c104HalfEfLj32ELj16ELj128ELb0ELb1ELb0EEEvllPKT_S7_PKT0_SA_PS5_SB_.kd
    .uniform_work_group_size: 1
    .uses_dynamic_stack: false
    .vgpr_count:     50
    .vgpr_spill_count: 0
    .wavefront_size: 32
    .workgroup_processor_mode: 1
  - .args:
      - .offset:         0
        .size:           8
        .value_kind:     by_value
      - .offset:         8
        .size:           8
        .value_kind:     by_value
      - .actual_access:  read_only
        .address_space:  global
        .offset:         16
        .size:           8
        .value_kind:     global_buffer
      - .actual_access:  read_only
        .address_space:  global
        .offset:         24
        .size:           8
        .value_kind:     global_buffer
      - .actual_access:  read_only
        .address_space:  global
        .offset:         32
        .size:           8
        .value_kind:     global_buffer
      - .actual_access:  read_only
        .address_space:  global
        .offset:         40
        .size:           8
        .value_kind:     global_buffer
      - .actual_access:  write_only
        .address_space:  global
        .offset:         48
        .size:           8
        .value_kind:     global_buffer
      - .actual_access:  write_only
        .address_space:  global
        .offset:         56
        .size:           8
        .value_kind:     global_buffer
      - .offset:         64
        .size:           4
        .value_kind:     hidden_block_count_x
      - .offset:         68
        .size:           4
        .value_kind:     hidden_block_count_y
      - .offset:         72
        .size:           4
        .value_kind:     hidden_block_count_z
      - .offset:         76
        .size:           2
        .value_kind:     hidden_group_size_x
      - .offset:         78
        .size:           2
        .value_kind:     hidden_group_size_y
      - .offset:         80
        .size:           2
        .value_kind:     hidden_group_size_z
      - .offset:         82
        .size:           2
        .value_kind:     hidden_remainder_x
      - .offset:         84
        .size:           2
        .value_kind:     hidden_remainder_y
      - .offset:         86
        .size:           2
        .value_kind:     hidden_remainder_z
      - .offset:         104
        .size:           8
        .value_kind:     hidden_global_offset_x
      - .offset:         112
        .size:           8
        .value_kind:     hidden_global_offset_y
      - .offset:         120
        .size:           8
        .value_kind:     hidden_global_offset_z
      - .offset:         128
        .size:           2
        .value_kind:     hidden_grid_dims
      - .offset:         184
        .size:           4
        .value_kind:     hidden_dynamic_lds_size
    .group_segment_fixed_size: 0
    .kernarg_segment_align: 8
    .kernarg_segment_size: 320
    .language:       OpenCL C
    .language_version:
      - 2
      - 0
    .max_flat_workgroup_size: 512
    .name:           _ZN2at6native12_GLOBAL__N_135GammaBetaBackwardCUDAKernelTemplateIN3c104HalfEfLj32ELj16ELj128ELb0ELb0ELb0EEEvllPKT_S7_PKT0_SA_PS5_SB_
    .private_segment_fixed_size: 0
    .sgpr_count:     34
    .sgpr_spill_count: 0
    .symbol:         _ZN2at6native12_GLOBAL__N_135GammaBetaBackwardCUDAKernelTemplateIN3c104HalfEfLj32ELj16ELj128ELb0ELb0ELb0EEEvllPKT_S7_PKT0_SA_PS5_SB_.kd
    .uniform_work_group_size: 1
    .uses_dynamic_stack: false
    .vgpr_count:     93
    .vgpr_spill_count: 0
    .wavefront_size: 32
    .workgroup_processor_mode: 1
  - .args:
      - .offset:         0
        .size:           8
        .value_kind:     by_value
      - .offset:         8
        .size:           8
        .value_kind:     by_value
      - .actual_access:  read_only
        .address_space:  global
        .offset:         16
        .size:           8
        .value_kind:     global_buffer
      - .actual_access:  read_only
        .address_space:  global
        .offset:         24
        .size:           8
        .value_kind:     global_buffer
      - .actual_access:  read_only
        .address_space:  global
        .offset:         32
        .size:           8
        .value_kind:     global_buffer
      - .actual_access:  read_only
        .address_space:  global
        .offset:         40
        .size:           8
        .value_kind:     global_buffer
      - .actual_access:  write_only
        .address_space:  global
        .offset:         48
        .size:           8
        .value_kind:     global_buffer
      - .actual_access:  write_only
        .address_space:  global
        .offset:         56
        .size:           8
        .value_kind:     global_buffer
      - .offset:         64
        .size:           4
        .value_kind:     hidden_block_count_x
      - .offset:         68
        .size:           4
        .value_kind:     hidden_block_count_y
      - .offset:         72
        .size:           4
        .value_kind:     hidden_block_count_z
      - .offset:         76
        .size:           2
        .value_kind:     hidden_group_size_x
      - .offset:         78
        .size:           2
        .value_kind:     hidden_group_size_y
      - .offset:         80
        .size:           2
        .value_kind:     hidden_group_size_z
      - .offset:         82
        .size:           2
        .value_kind:     hidden_remainder_x
      - .offset:         84
        .size:           2
        .value_kind:     hidden_remainder_y
      - .offset:         86
        .size:           2
        .value_kind:     hidden_remainder_z
      - .offset:         104
        .size:           8
        .value_kind:     hidden_global_offset_x
      - .offset:         112
        .size:           8
        .value_kind:     hidden_global_offset_y
      - .offset:         120
        .size:           8
        .value_kind:     hidden_global_offset_z
      - .offset:         128
        .size:           2
        .value_kind:     hidden_grid_dims
      - .offset:         184
        .size:           4
        .value_kind:     hidden_dynamic_lds_size
    .group_segment_fixed_size: 0
    .kernarg_segment_align: 8
    .kernarg_segment_size: 320
    .language:       OpenCL C
    .language_version:
      - 2
      - 0
    .max_flat_workgroup_size: 1024
    .name:           _ZN2at6native12_GLOBAL__N_135GammaBetaBackwardCUDAKernelTemplateIN3c104HalfEfLj32ELj32ELj256ELb0ELb1ELb0EEEvllPKT_S7_PKT0_SA_PS5_SB_
    .private_segment_fixed_size: 0
    .sgpr_count:     30
    .sgpr_spill_count: 0
    .symbol:         _ZN2at6native12_GLOBAL__N_135GammaBetaBackwardCUDAKernelTemplateIN3c104HalfEfLj32ELj32ELj256ELb0ELb1ELb0EEEvllPKT_S7_PKT0_SA_PS5_SB_.kd
    .uniform_work_group_size: 1
    .uses_dynamic_stack: false
    .vgpr_count:     50
    .vgpr_spill_count: 0
    .wavefront_size: 32
    .workgroup_processor_mode: 1
  - .args:
      - .offset:         0
        .size:           8
        .value_kind:     by_value
      - .offset:         8
        .size:           8
        .value_kind:     by_value
      - .actual_access:  read_only
        .address_space:  global
        .offset:         16
        .size:           8
        .value_kind:     global_buffer
      - .actual_access:  read_only
        .address_space:  global
        .offset:         24
        .size:           8
        .value_kind:     global_buffer
      - .actual_access:  read_only
        .address_space:  global
        .offset:         32
        .size:           8
        .value_kind:     global_buffer
      - .actual_access:  read_only
        .address_space:  global
        .offset:         40
        .size:           8
        .value_kind:     global_buffer
      - .actual_access:  write_only
        .address_space:  global
        .offset:         48
        .size:           8
        .value_kind:     global_buffer
      - .actual_access:  write_only
        .address_space:  global
        .offset:         56
        .size:           8
        .value_kind:     global_buffer
      - .offset:         64
        .size:           4
        .value_kind:     hidden_block_count_x
      - .offset:         68
        .size:           4
        .value_kind:     hidden_block_count_y
      - .offset:         72
        .size:           4
        .value_kind:     hidden_block_count_z
      - .offset:         76
        .size:           2
        .value_kind:     hidden_group_size_x
      - .offset:         78
        .size:           2
        .value_kind:     hidden_group_size_y
      - .offset:         80
        .size:           2
        .value_kind:     hidden_group_size_z
      - .offset:         82
        .size:           2
        .value_kind:     hidden_remainder_x
      - .offset:         84
        .size:           2
        .value_kind:     hidden_remainder_y
      - .offset:         86
        .size:           2
        .value_kind:     hidden_remainder_z
      - .offset:         104
        .size:           8
        .value_kind:     hidden_global_offset_x
      - .offset:         112
        .size:           8
        .value_kind:     hidden_global_offset_y
      - .offset:         120
        .size:           8
        .value_kind:     hidden_global_offset_z
      - .offset:         128
        .size:           2
        .value_kind:     hidden_grid_dims
      - .offset:         184
        .size:           4
        .value_kind:     hidden_dynamic_lds_size
    .group_segment_fixed_size: 0
    .kernarg_segment_align: 8
    .kernarg_segment_size: 320
    .language:       OpenCL C
    .language_version:
      - 2
      - 0
    .max_flat_workgroup_size: 1024
    .name:           _ZN2at6native12_GLOBAL__N_135GammaBetaBackwardCUDAKernelTemplateIN3c104HalfEfLj32ELj32ELj256ELb0ELb0ELb0EEEvllPKT_S7_PKT0_SA_PS5_SB_
    .private_segment_fixed_size: 0
    .sgpr_count:     34
    .sgpr_spill_count: 0
    .symbol:         _ZN2at6native12_GLOBAL__N_135GammaBetaBackwardCUDAKernelTemplateIN3c104HalfEfLj32ELj32ELj256ELb0ELb0ELb0EEEvllPKT_S7_PKT0_SA_PS5_SB_.kd
    .uniform_work_group_size: 1
    .uses_dynamic_stack: false
    .vgpr_count:     93
    .vgpr_spill_count: 0
    .wavefront_size: 32
    .workgroup_processor_mode: 1
  - .args:
      - .actual_access:  read_only
        .address_space:  global
        .offset:         0
        .size:           8
        .value_kind:     global_buffer
      - .actual_access:  read_only
        .address_space:  global
        .offset:         8
        .size:           8
        .value_kind:     global_buffer
      - .offset:         16
        .size:           8
        .value_kind:     by_value
      - .offset:         24
        .size:           8
        .value_kind:     by_value
      - .actual_access:  read_only
        .address_space:  global
        .offset:         32
        .size:           8
        .value_kind:     global_buffer
      - .actual_access:  read_only
        .address_space:  global
        .offset:         40
        .size:           8
        .value_kind:     global_buffer
      - .address_space:  global
        .offset:         48
        .size:           8
        .value_kind:     global_buffer
      - .address_space:  global
        .offset:         56
        .size:           8
        .value_kind:     global_buffer
      - .offset:         64
        .size:           4
        .value_kind:     hidden_block_count_x
      - .offset:         68
        .size:           4
        .value_kind:     hidden_block_count_y
      - .offset:         72
        .size:           4
        .value_kind:     hidden_block_count_z
      - .offset:         76
        .size:           2
        .value_kind:     hidden_group_size_x
      - .offset:         78
        .size:           2
        .value_kind:     hidden_group_size_y
      - .offset:         80
        .size:           2
        .value_kind:     hidden_group_size_z
      - .offset:         82
        .size:           2
        .value_kind:     hidden_remainder_x
      - .offset:         84
        .size:           2
        .value_kind:     hidden_remainder_y
      - .offset:         86
        .size:           2
        .value_kind:     hidden_remainder_z
      - .offset:         104
        .size:           8
        .value_kind:     hidden_global_offset_x
      - .offset:         112
        .size:           8
        .value_kind:     hidden_global_offset_y
      - .offset:         120
        .size:           8
        .value_kind:     hidden_global_offset_z
      - .offset:         128
        .size:           2
        .value_kind:     hidden_grid_dims
      - .offset:         184
        .size:           4
        .value_kind:     hidden_dynamic_lds_size
    .group_segment_fixed_size: 0
    .kernarg_segment_align: 8
    .kernarg_segment_size: 320
    .language:       OpenCL C
    .language_version:
      - 2
      - 0
    .max_flat_workgroup_size: 1024
    .name:           _ZN2at6native12_GLOBAL__N_118cuComputeGradInputIN3c108BFloat16EfLb0EEEvPKT_S7_llPKT0_SA_S7_PS5_
    .private_segment_fixed_size: 0
    .sgpr_count:     43
    .sgpr_spill_count: 0
    .symbol:         _ZN2at6native12_GLOBAL__N_118cuComputeGradInputIN3c108BFloat16EfLb0EEEvPKT_S7_llPKT0_SA_S7_PS5_.kd
    .uniform_work_group_size: 1
    .uses_dynamic_stack: false
    .vgpr_count:     25
    .vgpr_spill_count: 0
    .wavefront_size: 32
    .workgroup_processor_mode: 1
  - .args:
      - .actual_access:  read_only
        .address_space:  global
        .offset:         0
        .size:           8
        .value_kind:     global_buffer
      - .actual_access:  read_only
        .address_space:  global
        .offset:         8
        .size:           8
        .value_kind:     global_buffer
      - .actual_access:  read_only
        .address_space:  global
        .offset:         16
        .size:           8
        .value_kind:     global_buffer
      - .actual_access:  read_only
        .address_space:  global
        .offset:         24
        .size:           8
        .value_kind:     global_buffer
      - .actual_access:  read_only
        .address_space:  global
        .offset:         32
        .size:           8
        .value_kind:     global_buffer
      - .address_space:  global
        .offset:         40
        .size:           8
        .value_kind:     global_buffer
      - .offset:         48
        .size:           4
        .value_kind:     by_value
      - .offset:         56
        .size:           4
        .value_kind:     hidden_block_count_x
      - .offset:         60
        .size:           4
        .value_kind:     hidden_block_count_y
      - .offset:         64
        .size:           4
        .value_kind:     hidden_block_count_z
      - .offset:         68
        .size:           2
        .value_kind:     hidden_group_size_x
      - .offset:         70
        .size:           2
        .value_kind:     hidden_group_size_y
      - .offset:         72
        .size:           2
        .value_kind:     hidden_group_size_z
      - .offset:         74
        .size:           2
        .value_kind:     hidden_remainder_x
      - .offset:         76
        .size:           2
        .value_kind:     hidden_remainder_y
      - .offset:         78
        .size:           2
        .value_kind:     hidden_remainder_z
      - .offset:         96
        .size:           8
        .value_kind:     hidden_global_offset_x
      - .offset:         104
        .size:           8
        .value_kind:     hidden_global_offset_y
      - .offset:         112
        .size:           8
        .value_kind:     hidden_global_offset_z
      - .offset:         120
        .size:           2
        .value_kind:     hidden_grid_dims
      - .offset:         176
        .size:           4
        .value_kind:     hidden_dynamic_lds_size
    .group_segment_fixed_size: 0
    .kernarg_segment_align: 8
    .kernarg_segment_size: 312
    .language:       OpenCL C
    .language_version:
      - 2
      - 0
    .max_flat_workgroup_size: 1024
    .name:           _ZN2at6native12_GLOBAL__N_128layer_norm_grad_input_kernelIN3c108BFloat16EfLb0EEEvPKT_S7_PKT0_SA_S7_PS5_i
    .private_segment_fixed_size: 0
    .sgpr_count:     23
    .sgpr_spill_count: 0
    .symbol:         _ZN2at6native12_GLOBAL__N_128layer_norm_grad_input_kernelIN3c108BFloat16EfLb0EEEvPKT_S7_PKT0_SA_S7_PS5_i.kd
    .uniform_work_group_size: 1
    .uses_dynamic_stack: false
    .vgpr_count:     21
    .vgpr_spill_count: 0
    .wavefront_size: 32
    .workgroup_processor_mode: 1
  - .args:
      - .offset:         0
        .size:           8
        .value_kind:     by_value
      - .offset:         8
        .size:           8
        .value_kind:     by_value
      - .address_space:  global
        .offset:         16
        .size:           8
        .value_kind:     global_buffer
      - .address_space:  global
        .offset:         24
        .size:           8
        .value_kind:     global_buffer
      - .address_space:  global
        .offset:         32
        .size:           8
        .value_kind:     global_buffer
      - .address_space:  global
        .offset:         40
        .size:           8
        .value_kind:     global_buffer
      - .address_space:  global
        .offset:         48
        .size:           8
        .value_kind:     global_buffer
      - .address_space:  global
        .offset:         56
        .size:           8
        .value_kind:     global_buffer
      - .offset:         64
        .size:           4
        .value_kind:     hidden_block_count_x
      - .offset:         68
        .size:           4
        .value_kind:     hidden_block_count_y
      - .offset:         72
        .size:           4
        .value_kind:     hidden_block_count_z
      - .offset:         76
        .size:           2
        .value_kind:     hidden_group_size_x
      - .offset:         78
        .size:           2
        .value_kind:     hidden_group_size_y
      - .offset:         80
        .size:           2
        .value_kind:     hidden_group_size_z
      - .offset:         82
        .size:           2
        .value_kind:     hidden_remainder_x
      - .offset:         84
        .size:           2
        .value_kind:     hidden_remainder_y
      - .offset:         86
        .size:           2
        .value_kind:     hidden_remainder_z
      - .offset:         104
        .size:           8
        .value_kind:     hidden_global_offset_x
      - .offset:         112
        .size:           8
        .value_kind:     hidden_global_offset_y
      - .offset:         120
        .size:           8
        .value_kind:     hidden_global_offset_z
      - .offset:         128
        .size:           2
        .value_kind:     hidden_grid_dims
    .group_segment_fixed_size: 0
    .kernarg_segment_align: 8
    .kernarg_segment_size: 320
    .language:       OpenCL C
    .language_version:
      - 2
      - 0
    .max_flat_workgroup_size: 1024
    .name:           _ZN2at6native12_GLOBAL__N_133GammaBetaBackwardSimpleCUDAKernelIN3c108BFloat16EfLb0EEEvllPKT_S7_PKT0_SA_PS5_SB_
    .private_segment_fixed_size: 0
    .sgpr_count:     26
    .sgpr_spill_count: 0
    .symbol:         _ZN2at6native12_GLOBAL__N_133GammaBetaBackwardSimpleCUDAKernelIN3c108BFloat16EfLb0EEEvllPKT_S7_PKT0_SA_PS5_SB_.kd
    .uniform_work_group_size: 1
    .uses_dynamic_stack: false
    .vgpr_count:     10
    .vgpr_spill_count: 0
    .wavefront_size: 32
    .workgroup_processor_mode: 1
  - .args:
      - .offset:         0
        .size:           8
        .value_kind:     by_value
      - .offset:         8
        .size:           8
        .value_kind:     by_value
      - .actual_access:  read_only
        .address_space:  global
        .offset:         16
        .size:           8
        .value_kind:     global_buffer
      - .actual_access:  read_only
        .address_space:  global
        .offset:         24
        .size:           8
        .value_kind:     global_buffer
      - .actual_access:  read_only
        .address_space:  global
        .offset:         32
        .size:           8
        .value_kind:     global_buffer
      - .actual_access:  read_only
        .address_space:  global
        .offset:         40
        .size:           8
        .value_kind:     global_buffer
      - .actual_access:  write_only
        .address_space:  global
        .offset:         48
        .size:           8
        .value_kind:     global_buffer
      - .actual_access:  write_only
        .address_space:  global
        .offset:         56
        .size:           8
        .value_kind:     global_buffer
      - .offset:         64
        .size:           4
        .value_kind:     hidden_block_count_x
      - .offset:         68
        .size:           4
        .value_kind:     hidden_block_count_y
      - .offset:         72
        .size:           4
        .value_kind:     hidden_block_count_z
      - .offset:         76
        .size:           2
        .value_kind:     hidden_group_size_x
      - .offset:         78
        .size:           2
        .value_kind:     hidden_group_size_y
      - .offset:         80
        .size:           2
        .value_kind:     hidden_group_size_z
      - .offset:         82
        .size:           2
        .value_kind:     hidden_remainder_x
      - .offset:         84
        .size:           2
        .value_kind:     hidden_remainder_y
      - .offset:         86
        .size:           2
        .value_kind:     hidden_remainder_z
      - .offset:         104
        .size:           8
        .value_kind:     hidden_global_offset_x
      - .offset:         112
        .size:           8
        .value_kind:     hidden_global_offset_y
      - .offset:         120
        .size:           8
        .value_kind:     hidden_global_offset_z
      - .offset:         128
        .size:           2
        .value_kind:     hidden_grid_dims
    .group_segment_fixed_size: 0
    .kernarg_segment_align: 8
    .kernarg_segment_size: 320
    .language:       OpenCL C
    .language_version:
      - 2
      - 0
    .max_flat_workgroup_size: 64
    .name:           _ZN2at6native12_GLOBAL__N_135GammaBetaBackwardCUDAKernelTemplateIN3c108BFloat16EfLj64ELj1ELj32ELb1ELb1ELb0EEEvllPKT_S7_PKT0_SA_PS5_SB_
    .private_segment_fixed_size: 0
    .sgpr_count:     34
    .sgpr_spill_count: 0
    .symbol:         _ZN2at6native12_GLOBAL__N_135GammaBetaBackwardCUDAKernelTemplateIN3c108BFloat16EfLj64ELj1ELj32ELb1ELb1ELb0EEEvllPKT_S7_PKT0_SA_PS5_SB_.kd
    .uniform_work_group_size: 1
    .uses_dynamic_stack: false
    .vgpr_count:     87
    .vgpr_spill_count: 0
    .wavefront_size: 32
    .workgroup_processor_mode: 1
  - .args:
      - .offset:         0
        .size:           8
        .value_kind:     by_value
      - .offset:         8
        .size:           8
        .value_kind:     by_value
      - .actual_access:  read_only
        .address_space:  global
        .offset:         16
        .size:           8
        .value_kind:     global_buffer
      - .actual_access:  read_only
        .address_space:  global
        .offset:         24
        .size:           8
        .value_kind:     global_buffer
      - .actual_access:  read_only
        .address_space:  global
        .offset:         32
        .size:           8
        .value_kind:     global_buffer
      - .actual_access:  read_only
        .address_space:  global
        .offset:         40
        .size:           8
        .value_kind:     global_buffer
      - .actual_access:  write_only
        .address_space:  global
        .offset:         48
        .size:           8
        .value_kind:     global_buffer
      - .actual_access:  write_only
        .address_space:  global
        .offset:         56
        .size:           8
        .value_kind:     global_buffer
      - .offset:         64
        .size:           4
        .value_kind:     hidden_block_count_x
      - .offset:         68
        .size:           4
        .value_kind:     hidden_block_count_y
      - .offset:         72
        .size:           4
        .value_kind:     hidden_block_count_z
      - .offset:         76
        .size:           2
        .value_kind:     hidden_group_size_x
      - .offset:         78
        .size:           2
        .value_kind:     hidden_group_size_y
      - .offset:         80
        .size:           2
        .value_kind:     hidden_group_size_z
      - .offset:         82
        .size:           2
        .value_kind:     hidden_remainder_x
      - .offset:         84
        .size:           2
        .value_kind:     hidden_remainder_y
      - .offset:         86
        .size:           2
        .value_kind:     hidden_remainder_z
      - .offset:         104
        .size:           8
        .value_kind:     hidden_global_offset_x
      - .offset:         112
        .size:           8
        .value_kind:     hidden_global_offset_y
      - .offset:         120
        .size:           8
        .value_kind:     hidden_global_offset_z
      - .offset:         128
        .size:           2
        .value_kind:     hidden_grid_dims
    .group_segment_fixed_size: 0
    .kernarg_segment_align: 8
    .kernarg_segment_size: 320
    .language:       OpenCL C
    .language_version:
      - 2
      - 0
    .max_flat_workgroup_size: 64
    .name:           _ZN2at6native12_GLOBAL__N_135GammaBetaBackwardCUDAKernelTemplateIN3c108BFloat16EfLj64ELj1ELj32ELb1ELb0ELb0EEEvllPKT_S7_PKT0_SA_PS5_SB_
    .private_segment_fixed_size: 312
    .sgpr_count:     42
    .sgpr_spill_count: 0
    .symbol:         _ZN2at6native12_GLOBAL__N_135GammaBetaBackwardCUDAKernelTemplateIN3c108BFloat16EfLj64ELj1ELj32ELb1ELb0ELb0EEEvllPKT_S7_PKT0_SA_PS5_SB_.kd
    .uniform_work_group_size: 1
    .uses_dynamic_stack: false
    .vgpr_count:     256
    .vgpr_spill_count: 150
    .wavefront_size: 32
    .workgroup_processor_mode: 1
  - .args:
      - .offset:         0
        .size:           8
        .value_kind:     by_value
      - .offset:         8
        .size:           8
        .value_kind:     by_value
      - .actual_access:  read_only
        .address_space:  global
        .offset:         16
        .size:           8
        .value_kind:     global_buffer
      - .actual_access:  read_only
        .address_space:  global
        .offset:         24
        .size:           8
        .value_kind:     global_buffer
      - .actual_access:  read_only
        .address_space:  global
        .offset:         32
        .size:           8
        .value_kind:     global_buffer
      - .actual_access:  read_only
        .address_space:  global
        .offset:         40
        .size:           8
        .value_kind:     global_buffer
      - .actual_access:  write_only
        .address_space:  global
        .offset:         48
        .size:           8
        .value_kind:     global_buffer
      - .actual_access:  write_only
        .address_space:  global
        .offset:         56
        .size:           8
        .value_kind:     global_buffer
      - .offset:         64
        .size:           4
        .value_kind:     hidden_block_count_x
      - .offset:         68
        .size:           4
        .value_kind:     hidden_block_count_y
      - .offset:         72
        .size:           4
        .value_kind:     hidden_block_count_z
      - .offset:         76
        .size:           2
        .value_kind:     hidden_group_size_x
      - .offset:         78
        .size:           2
        .value_kind:     hidden_group_size_y
      - .offset:         80
        .size:           2
        .value_kind:     hidden_group_size_z
      - .offset:         82
        .size:           2
        .value_kind:     hidden_remainder_x
      - .offset:         84
        .size:           2
        .value_kind:     hidden_remainder_y
      - .offset:         86
        .size:           2
        .value_kind:     hidden_remainder_z
      - .offset:         104
        .size:           8
        .value_kind:     hidden_global_offset_x
      - .offset:         112
        .size:           8
        .value_kind:     hidden_global_offset_y
      - .offset:         120
        .size:           8
        .value_kind:     hidden_global_offset_z
      - .offset:         128
        .size:           2
        .value_kind:     hidden_grid_dims
    .group_segment_fixed_size: 0
    .kernarg_segment_align: 8
    .kernarg_segment_size: 320
    .language:       OpenCL C
    .language_version:
      - 2
      - 0
    .max_flat_workgroup_size: 64
    .name:           _ZN2at6native12_GLOBAL__N_135GammaBetaBackwardCUDAKernelTemplateIN3c108BFloat16EfLj64ELj1ELj8ELb1ELb1ELb0EEEvllPKT_S7_PKT0_SA_PS5_SB_
    .private_segment_fixed_size: 0
    .sgpr_count:     34
    .sgpr_spill_count: 0
    .symbol:         _ZN2at6native12_GLOBAL__N_135GammaBetaBackwardCUDAKernelTemplateIN3c108BFloat16EfLj64ELj1ELj8ELb1ELb1ELb0EEEvllPKT_S7_PKT0_SA_PS5_SB_.kd
    .uniform_work_group_size: 1
    .uses_dynamic_stack: false
    .vgpr_count:     50
    .vgpr_spill_count: 0
    .wavefront_size: 32
    .workgroup_processor_mode: 1
  - .args:
      - .offset:         0
        .size:           8
        .value_kind:     by_value
      - .offset:         8
        .size:           8
        .value_kind:     by_value
      - .actual_access:  read_only
        .address_space:  global
        .offset:         16
        .size:           8
        .value_kind:     global_buffer
      - .actual_access:  read_only
        .address_space:  global
        .offset:         24
        .size:           8
        .value_kind:     global_buffer
      - .actual_access:  read_only
        .address_space:  global
        .offset:         32
        .size:           8
        .value_kind:     global_buffer
      - .actual_access:  read_only
        .address_space:  global
        .offset:         40
        .size:           8
        .value_kind:     global_buffer
      - .actual_access:  write_only
        .address_space:  global
        .offset:         48
        .size:           8
        .value_kind:     global_buffer
      - .actual_access:  write_only
        .address_space:  global
        .offset:         56
        .size:           8
        .value_kind:     global_buffer
      - .offset:         64
        .size:           4
        .value_kind:     hidden_block_count_x
      - .offset:         68
        .size:           4
        .value_kind:     hidden_block_count_y
      - .offset:         72
        .size:           4
        .value_kind:     hidden_block_count_z
      - .offset:         76
        .size:           2
        .value_kind:     hidden_group_size_x
      - .offset:         78
        .size:           2
        .value_kind:     hidden_group_size_y
      - .offset:         80
        .size:           2
        .value_kind:     hidden_group_size_z
      - .offset:         82
        .size:           2
        .value_kind:     hidden_remainder_x
      - .offset:         84
        .size:           2
        .value_kind:     hidden_remainder_y
      - .offset:         86
        .size:           2
        .value_kind:     hidden_remainder_z
      - .offset:         104
        .size:           8
        .value_kind:     hidden_global_offset_x
      - .offset:         112
        .size:           8
        .value_kind:     hidden_global_offset_y
      - .offset:         120
        .size:           8
        .value_kind:     hidden_global_offset_z
      - .offset:         128
        .size:           2
        .value_kind:     hidden_grid_dims
    .group_segment_fixed_size: 0
    .kernarg_segment_align: 8
    .kernarg_segment_size: 320
    .language:       OpenCL C
    .language_version:
      - 2
      - 0
    .max_flat_workgroup_size: 64
    .name:           _ZN2at6native12_GLOBAL__N_135GammaBetaBackwardCUDAKernelTemplateIN3c108BFloat16EfLj64ELj1ELj8ELb1ELb0ELb0EEEvllPKT_S7_PKT0_SA_PS5_SB_
    .private_segment_fixed_size: 0
    .sgpr_count:     34
    .sgpr_spill_count: 0
    .symbol:         _ZN2at6native12_GLOBAL__N_135GammaBetaBackwardCUDAKernelTemplateIN3c108BFloat16EfLj64ELj1ELj8ELb1ELb0ELb0EEEvllPKT_S7_PKT0_SA_PS5_SB_.kd
    .uniform_work_group_size: 1
    .uses_dynamic_stack: false
    .vgpr_count:     94
    .vgpr_spill_count: 0
    .wavefront_size: 32
    .workgroup_processor_mode: 1
  - .args:
      - .offset:         0
        .size:           8
        .value_kind:     by_value
      - .offset:         8
        .size:           8
        .value_kind:     by_value
      - .actual_access:  read_only
        .address_space:  global
        .offset:         16
        .size:           8
        .value_kind:     global_buffer
      - .actual_access:  read_only
        .address_space:  global
        .offset:         24
        .size:           8
        .value_kind:     global_buffer
      - .actual_access:  read_only
        .address_space:  global
        .offset:         32
        .size:           8
        .value_kind:     global_buffer
      - .actual_access:  read_only
        .address_space:  global
        .offset:         40
        .size:           8
        .value_kind:     global_buffer
      - .actual_access:  write_only
        .address_space:  global
        .offset:         48
        .size:           8
        .value_kind:     global_buffer
      - .actual_access:  write_only
        .address_space:  global
        .offset:         56
        .size:           8
        .value_kind:     global_buffer
      - .offset:         64
        .size:           4
        .value_kind:     hidden_block_count_x
      - .offset:         68
        .size:           4
        .value_kind:     hidden_block_count_y
      - .offset:         72
        .size:           4
        .value_kind:     hidden_block_count_z
      - .offset:         76
        .size:           2
        .value_kind:     hidden_group_size_x
      - .offset:         78
        .size:           2
        .value_kind:     hidden_group_size_y
      - .offset:         80
        .size:           2
        .value_kind:     hidden_group_size_z
      - .offset:         82
        .size:           2
        .value_kind:     hidden_remainder_x
      - .offset:         84
        .size:           2
        .value_kind:     hidden_remainder_y
      - .offset:         86
        .size:           2
        .value_kind:     hidden_remainder_z
      - .offset:         104
        .size:           8
        .value_kind:     hidden_global_offset_x
      - .offset:         112
        .size:           8
        .value_kind:     hidden_global_offset_y
      - .offset:         120
        .size:           8
        .value_kind:     hidden_global_offset_z
      - .offset:         128
        .size:           2
        .value_kind:     hidden_grid_dims
      - .offset:         184
        .size:           4
        .value_kind:     hidden_dynamic_lds_size
    .group_segment_fixed_size: 0
    .kernarg_segment_align: 8
    .kernarg_segment_size: 320
    .language:       OpenCL C
    .language_version:
      - 2
      - 0
    .max_flat_workgroup_size: 512
    .name:           _ZN2at6native12_GLOBAL__N_135GammaBetaBackwardCUDAKernelTemplateIN3c108BFloat16EfLj64ELj8ELj64ELb0ELb1ELb0EEEvllPKT_S7_PKT0_SA_PS5_SB_
    .private_segment_fixed_size: 0
    .sgpr_count:     30
    .sgpr_spill_count: 0
    .symbol:         _ZN2at6native12_GLOBAL__N_135GammaBetaBackwardCUDAKernelTemplateIN3c108BFloat16EfLj64ELj8ELj64ELb0ELb1ELb0EEEvllPKT_S7_PKT0_SA_PS5_SB_.kd
    .uniform_work_group_size: 1
    .uses_dynamic_stack: false
    .vgpr_count:     50
    .vgpr_spill_count: 0
    .wavefront_size: 32
    .workgroup_processor_mode: 1
  - .args:
      - .offset:         0
        .size:           8
        .value_kind:     by_value
      - .offset:         8
        .size:           8
        .value_kind:     by_value
      - .actual_access:  read_only
        .address_space:  global
        .offset:         16
        .size:           8
        .value_kind:     global_buffer
      - .actual_access:  read_only
        .address_space:  global
        .offset:         24
        .size:           8
        .value_kind:     global_buffer
      - .actual_access:  read_only
        .address_space:  global
        .offset:         32
        .size:           8
        .value_kind:     global_buffer
      - .actual_access:  read_only
        .address_space:  global
        .offset:         40
        .size:           8
        .value_kind:     global_buffer
      - .actual_access:  write_only
        .address_space:  global
        .offset:         48
        .size:           8
        .value_kind:     global_buffer
      - .actual_access:  write_only
        .address_space:  global
        .offset:         56
        .size:           8
        .value_kind:     global_buffer
      - .offset:         64
        .size:           4
        .value_kind:     hidden_block_count_x
      - .offset:         68
        .size:           4
        .value_kind:     hidden_block_count_y
      - .offset:         72
        .size:           4
        .value_kind:     hidden_block_count_z
      - .offset:         76
        .size:           2
        .value_kind:     hidden_group_size_x
      - .offset:         78
        .size:           2
        .value_kind:     hidden_group_size_y
      - .offset:         80
        .size:           2
        .value_kind:     hidden_group_size_z
      - .offset:         82
        .size:           2
        .value_kind:     hidden_remainder_x
      - .offset:         84
        .size:           2
        .value_kind:     hidden_remainder_y
      - .offset:         86
        .size:           2
        .value_kind:     hidden_remainder_z
      - .offset:         104
        .size:           8
        .value_kind:     hidden_global_offset_x
      - .offset:         112
        .size:           8
        .value_kind:     hidden_global_offset_y
      - .offset:         120
        .size:           8
        .value_kind:     hidden_global_offset_z
      - .offset:         128
        .size:           2
        .value_kind:     hidden_grid_dims
      - .offset:         184
        .size:           4
        .value_kind:     hidden_dynamic_lds_size
    .group_segment_fixed_size: 0
    .kernarg_segment_align: 8
    .kernarg_segment_size: 320
    .language:       OpenCL C
    .language_version:
      - 2
      - 0
    .max_flat_workgroup_size: 512
    .name:           _ZN2at6native12_GLOBAL__N_135GammaBetaBackwardCUDAKernelTemplateIN3c108BFloat16EfLj64ELj8ELj64ELb0ELb0ELb0EEEvllPKT_S7_PKT0_SA_PS5_SB_
    .private_segment_fixed_size: 0
    .sgpr_count:     34
    .sgpr_spill_count: 0
    .symbol:         _ZN2at6native12_GLOBAL__N_135GammaBetaBackwardCUDAKernelTemplateIN3c108BFloat16EfLj64ELj8ELj64ELb0ELb0ELb0EEEvllPKT_S7_PKT0_SA_PS5_SB_.kd
    .uniform_work_group_size: 1
    .uses_dynamic_stack: false
    .vgpr_count:     93
    .vgpr_spill_count: 0
    .wavefront_size: 32
    .workgroup_processor_mode: 1
  - .args:
      - .offset:         0
        .size:           8
        .value_kind:     by_value
      - .offset:         8
        .size:           8
        .value_kind:     by_value
      - .actual_access:  read_only
        .address_space:  global
        .offset:         16
        .size:           8
        .value_kind:     global_buffer
      - .actual_access:  read_only
        .address_space:  global
        .offset:         24
        .size:           8
        .value_kind:     global_buffer
      - .actual_access:  read_only
        .address_space:  global
        .offset:         32
        .size:           8
        .value_kind:     global_buffer
      - .actual_access:  read_only
        .address_space:  global
        .offset:         40
        .size:           8
        .value_kind:     global_buffer
      - .actual_access:  write_only
        .address_space:  global
        .offset:         48
        .size:           8
        .value_kind:     global_buffer
      - .actual_access:  write_only
        .address_space:  global
        .offset:         56
        .size:           8
        .value_kind:     global_buffer
      - .offset:         64
        .size:           4
        .value_kind:     hidden_block_count_x
      - .offset:         68
        .size:           4
        .value_kind:     hidden_block_count_y
      - .offset:         72
        .size:           4
        .value_kind:     hidden_block_count_z
      - .offset:         76
        .size:           2
        .value_kind:     hidden_group_size_x
      - .offset:         78
        .size:           2
        .value_kind:     hidden_group_size_y
      - .offset:         80
        .size:           2
        .value_kind:     hidden_group_size_z
      - .offset:         82
        .size:           2
        .value_kind:     hidden_remainder_x
      - .offset:         84
        .size:           2
        .value_kind:     hidden_remainder_y
      - .offset:         86
        .size:           2
        .value_kind:     hidden_remainder_z
      - .offset:         104
        .size:           8
        .value_kind:     hidden_global_offset_x
      - .offset:         112
        .size:           8
        .value_kind:     hidden_global_offset_y
      - .offset:         120
        .size:           8
        .value_kind:     hidden_global_offset_z
      - .offset:         128
        .size:           2
        .value_kind:     hidden_grid_dims
      - .offset:         184
        .size:           4
        .value_kind:     hidden_dynamic_lds_size
    .group_segment_fixed_size: 0
    .kernarg_segment_align: 8
    .kernarg_segment_size: 320
    .language:       OpenCL C
    .language_version:
      - 2
      - 0
    .max_flat_workgroup_size: 1024
    .name:           _ZN2at6native12_GLOBAL__N_135GammaBetaBackwardCUDAKernelTemplateIN3c108BFloat16EfLj64ELj16ELj128ELb0ELb1ELb0EEEvllPKT_S7_PKT0_SA_PS5_SB_
    .private_segment_fixed_size: 0
    .sgpr_count:     30
    .sgpr_spill_count: 0
    .symbol:         _ZN2at6native12_GLOBAL__N_135GammaBetaBackwardCUDAKernelTemplateIN3c108BFloat16EfLj64ELj16ELj128ELb0ELb1ELb0EEEvllPKT_S7_PKT0_SA_PS5_SB_.kd
    .uniform_work_group_size: 1
    .uses_dynamic_stack: false
    .vgpr_count:     50
    .vgpr_spill_count: 0
    .wavefront_size: 32
    .workgroup_processor_mode: 1
  - .args:
      - .offset:         0
        .size:           8
        .value_kind:     by_value
      - .offset:         8
        .size:           8
        .value_kind:     by_value
      - .actual_access:  read_only
        .address_space:  global
        .offset:         16
        .size:           8
        .value_kind:     global_buffer
      - .actual_access:  read_only
        .address_space:  global
        .offset:         24
        .size:           8
        .value_kind:     global_buffer
      - .actual_access:  read_only
        .address_space:  global
        .offset:         32
        .size:           8
        .value_kind:     global_buffer
      - .actual_access:  read_only
        .address_space:  global
        .offset:         40
        .size:           8
        .value_kind:     global_buffer
      - .actual_access:  write_only
        .address_space:  global
        .offset:         48
        .size:           8
        .value_kind:     global_buffer
      - .actual_access:  write_only
        .address_space:  global
        .offset:         56
        .size:           8
        .value_kind:     global_buffer
      - .offset:         64
        .size:           4
        .value_kind:     hidden_block_count_x
      - .offset:         68
        .size:           4
        .value_kind:     hidden_block_count_y
      - .offset:         72
        .size:           4
        .value_kind:     hidden_block_count_z
      - .offset:         76
        .size:           2
        .value_kind:     hidden_group_size_x
      - .offset:         78
        .size:           2
        .value_kind:     hidden_group_size_y
      - .offset:         80
        .size:           2
        .value_kind:     hidden_group_size_z
      - .offset:         82
        .size:           2
        .value_kind:     hidden_remainder_x
      - .offset:         84
        .size:           2
        .value_kind:     hidden_remainder_y
      - .offset:         86
        .size:           2
        .value_kind:     hidden_remainder_z
      - .offset:         104
        .size:           8
        .value_kind:     hidden_global_offset_x
      - .offset:         112
        .size:           8
        .value_kind:     hidden_global_offset_y
      - .offset:         120
        .size:           8
        .value_kind:     hidden_global_offset_z
      - .offset:         128
        .size:           2
        .value_kind:     hidden_grid_dims
      - .offset:         184
        .size:           4
        .value_kind:     hidden_dynamic_lds_size
    .group_segment_fixed_size: 0
    .kernarg_segment_align: 8
    .kernarg_segment_size: 320
    .language:       OpenCL C
    .language_version:
      - 2
      - 0
    .max_flat_workgroup_size: 1024
    .name:           _ZN2at6native12_GLOBAL__N_135GammaBetaBackwardCUDAKernelTemplateIN3c108BFloat16EfLj64ELj16ELj128ELb0ELb0ELb0EEEvllPKT_S7_PKT0_SA_PS5_SB_
    .private_segment_fixed_size: 0
    .sgpr_count:     34
    .sgpr_spill_count: 0
    .symbol:         _ZN2at6native12_GLOBAL__N_135GammaBetaBackwardCUDAKernelTemplateIN3c108BFloat16EfLj64ELj16ELj128ELb0ELb0ELb0EEEvllPKT_S7_PKT0_SA_PS5_SB_.kd
    .uniform_work_group_size: 1
    .uses_dynamic_stack: false
    .vgpr_count:     93
    .vgpr_spill_count: 0
    .wavefront_size: 32
    .workgroup_processor_mode: 1
  - .args:
      - .offset:         0
        .size:           8
        .value_kind:     by_value
      - .offset:         8
        .size:           8
        .value_kind:     by_value
      - .actual_access:  read_only
        .address_space:  global
        .offset:         16
        .size:           8
        .value_kind:     global_buffer
      - .actual_access:  read_only
        .address_space:  global
        .offset:         24
        .size:           8
        .value_kind:     global_buffer
      - .actual_access:  read_only
        .address_space:  global
        .offset:         32
        .size:           8
        .value_kind:     global_buffer
      - .actual_access:  read_only
        .address_space:  global
        .offset:         40
        .size:           8
        .value_kind:     global_buffer
      - .actual_access:  write_only
        .address_space:  global
        .offset:         48
        .size:           8
        .value_kind:     global_buffer
      - .actual_access:  write_only
        .address_space:  global
        .offset:         56
        .size:           8
        .value_kind:     global_buffer
      - .offset:         64
        .size:           4
        .value_kind:     hidden_block_count_x
      - .offset:         68
        .size:           4
        .value_kind:     hidden_block_count_y
      - .offset:         72
        .size:           4
        .value_kind:     hidden_block_count_z
      - .offset:         76
        .size:           2
        .value_kind:     hidden_group_size_x
      - .offset:         78
        .size:           2
        .value_kind:     hidden_group_size_y
      - .offset:         80
        .size:           2
        .value_kind:     hidden_group_size_z
      - .offset:         82
        .size:           2
        .value_kind:     hidden_remainder_x
      - .offset:         84
        .size:           2
        .value_kind:     hidden_remainder_y
      - .offset:         86
        .size:           2
        .value_kind:     hidden_remainder_z
      - .offset:         104
        .size:           8
        .value_kind:     hidden_global_offset_x
      - .offset:         112
        .size:           8
        .value_kind:     hidden_global_offset_y
      - .offset:         120
        .size:           8
        .value_kind:     hidden_global_offset_z
      - .offset:         128
        .size:           2
        .value_kind:     hidden_grid_dims
      - .offset:         184
        .size:           4
        .value_kind:     hidden_dynamic_lds_size
    .group_segment_fixed_size: 0
    .kernarg_segment_align: 8
    .kernarg_segment_size: 320
    .language:       OpenCL C
    .language_version:
      - 2
      - 0
    .max_flat_workgroup_size: 1024
    .name:           _ZN2at6native12_GLOBAL__N_135GammaBetaBackwardCUDAKernelTemplateIN3c108BFloat16EfLj64ELj16ELj256ELb0ELb1ELb0EEEvllPKT_S7_PKT0_SA_PS5_SB_
    .private_segment_fixed_size: 0
    .sgpr_count:     30
    .sgpr_spill_count: 0
    .symbol:         _ZN2at6native12_GLOBAL__N_135GammaBetaBackwardCUDAKernelTemplateIN3c108BFloat16EfLj64ELj16ELj256ELb0ELb1ELb0EEEvllPKT_S7_PKT0_SA_PS5_SB_.kd
    .uniform_work_group_size: 1
    .uses_dynamic_stack: false
    .vgpr_count:     64
    .vgpr_spill_count: 0
    .wavefront_size: 32
    .workgroup_processor_mode: 1
  - .args:
      - .offset:         0
        .size:           8
        .value_kind:     by_value
      - .offset:         8
        .size:           8
        .value_kind:     by_value
      - .actual_access:  read_only
        .address_space:  global
        .offset:         16
        .size:           8
        .value_kind:     global_buffer
      - .actual_access:  read_only
        .address_space:  global
        .offset:         24
        .size:           8
        .value_kind:     global_buffer
      - .actual_access:  read_only
        .address_space:  global
        .offset:         32
        .size:           8
        .value_kind:     global_buffer
      - .actual_access:  read_only
        .address_space:  global
        .offset:         40
        .size:           8
        .value_kind:     global_buffer
      - .actual_access:  write_only
        .address_space:  global
        .offset:         48
        .size:           8
        .value_kind:     global_buffer
      - .actual_access:  write_only
        .address_space:  global
        .offset:         56
        .size:           8
        .value_kind:     global_buffer
      - .offset:         64
        .size:           4
        .value_kind:     hidden_block_count_x
      - .offset:         68
        .size:           4
        .value_kind:     hidden_block_count_y
      - .offset:         72
        .size:           4
        .value_kind:     hidden_block_count_z
      - .offset:         76
        .size:           2
        .value_kind:     hidden_group_size_x
      - .offset:         78
        .size:           2
        .value_kind:     hidden_group_size_y
      - .offset:         80
        .size:           2
        .value_kind:     hidden_group_size_z
      - .offset:         82
        .size:           2
        .value_kind:     hidden_remainder_x
      - .offset:         84
        .size:           2
        .value_kind:     hidden_remainder_y
      - .offset:         86
        .size:           2
        .value_kind:     hidden_remainder_z
      - .offset:         104
        .size:           8
        .value_kind:     hidden_global_offset_x
      - .offset:         112
        .size:           8
        .value_kind:     hidden_global_offset_y
      - .offset:         120
        .size:           8
        .value_kind:     hidden_global_offset_z
      - .offset:         128
        .size:           2
        .value_kind:     hidden_grid_dims
      - .offset:         184
        .size:           4
        .value_kind:     hidden_dynamic_lds_size
    .group_segment_fixed_size: 0
    .kernarg_segment_align: 8
    .kernarg_segment_size: 320
    .language:       OpenCL C
    .language_version:
      - 2
      - 0
    .max_flat_workgroup_size: 1024
    .name:           _ZN2at6native12_GLOBAL__N_135GammaBetaBackwardCUDAKernelTemplateIN3c108BFloat16EfLj64ELj16ELj256ELb0ELb0ELb0EEEvllPKT_S7_PKT0_SA_PS5_SB_
    .private_segment_fixed_size: 176
    .sgpr_count:     42
    .sgpr_spill_count: 0
    .symbol:         _ZN2at6native12_GLOBAL__N_135GammaBetaBackwardCUDAKernelTemplateIN3c108BFloat16EfLj64ELj16ELj256ELb0ELb0ELb0EEEvllPKT_S7_PKT0_SA_PS5_SB_.kd
    .uniform_work_group_size: 1
    .uses_dynamic_stack: false
    .vgpr_count:     128
    .vgpr_spill_count: 82
    .wavefront_size: 32
    .workgroup_processor_mode: 1
  - .args:
      - .offset:         0
        .size:           8
        .value_kind:     by_value
      - .offset:         8
        .size:           8
        .value_kind:     by_value
      - .actual_access:  read_only
        .address_space:  global
        .offset:         16
        .size:           8
        .value_kind:     global_buffer
      - .actual_access:  read_only
        .address_space:  global
        .offset:         24
        .size:           8
        .value_kind:     global_buffer
      - .actual_access:  read_only
        .address_space:  global
        .offset:         32
        .size:           8
        .value_kind:     global_buffer
      - .actual_access:  read_only
        .address_space:  global
        .offset:         40
        .size:           8
        .value_kind:     global_buffer
      - .actual_access:  write_only
        .address_space:  global
        .offset:         48
        .size:           8
        .value_kind:     global_buffer
      - .actual_access:  write_only
        .address_space:  global
        .offset:         56
        .size:           8
        .value_kind:     global_buffer
      - .offset:         64
        .size:           4
        .value_kind:     hidden_block_count_x
      - .offset:         68
        .size:           4
        .value_kind:     hidden_block_count_y
      - .offset:         72
        .size:           4
        .value_kind:     hidden_block_count_z
      - .offset:         76
        .size:           2
        .value_kind:     hidden_group_size_x
      - .offset:         78
        .size:           2
        .value_kind:     hidden_group_size_y
      - .offset:         80
        .size:           2
        .value_kind:     hidden_group_size_z
      - .offset:         82
        .size:           2
        .value_kind:     hidden_remainder_x
      - .offset:         84
        .size:           2
        .value_kind:     hidden_remainder_y
      - .offset:         86
        .size:           2
        .value_kind:     hidden_remainder_z
      - .offset:         104
        .size:           8
        .value_kind:     hidden_global_offset_x
      - .offset:         112
        .size:           8
        .value_kind:     hidden_global_offset_y
      - .offset:         120
        .size:           8
        .value_kind:     hidden_global_offset_z
      - .offset:         128
        .size:           2
        .value_kind:     hidden_grid_dims
    .group_segment_fixed_size: 0
    .kernarg_segment_align: 8
    .kernarg_segment_size: 320
    .language:       OpenCL C
    .language_version:
      - 2
      - 0
    .max_flat_workgroup_size: 32
    .name:           _ZN2at6native12_GLOBAL__N_135GammaBetaBackwardCUDAKernelTemplateIN3c108BFloat16EfLj32ELj1ELj32ELb1ELb1ELb0EEEvllPKT_S7_PKT0_SA_PS5_SB_
    .private_segment_fixed_size: 0
    .sgpr_count:     34
    .sgpr_spill_count: 0
    .symbol:         _ZN2at6native12_GLOBAL__N_135GammaBetaBackwardCUDAKernelTemplateIN3c108BFloat16EfLj32ELj1ELj32ELb1ELb1ELb0EEEvllPKT_S7_PKT0_SA_PS5_SB_.kd
    .uniform_work_group_size: 1
    .uses_dynamic_stack: false
    .vgpr_count:     87
    .vgpr_spill_count: 0
    .wavefront_size: 32
    .workgroup_processor_mode: 1
  - .args:
      - .offset:         0
        .size:           8
        .value_kind:     by_value
      - .offset:         8
        .size:           8
        .value_kind:     by_value
      - .actual_access:  read_only
        .address_space:  global
        .offset:         16
        .size:           8
        .value_kind:     global_buffer
      - .actual_access:  read_only
        .address_space:  global
        .offset:         24
        .size:           8
        .value_kind:     global_buffer
      - .actual_access:  read_only
        .address_space:  global
        .offset:         32
        .size:           8
        .value_kind:     global_buffer
      - .actual_access:  read_only
        .address_space:  global
        .offset:         40
        .size:           8
        .value_kind:     global_buffer
      - .actual_access:  write_only
        .address_space:  global
        .offset:         48
        .size:           8
        .value_kind:     global_buffer
      - .actual_access:  write_only
        .address_space:  global
        .offset:         56
        .size:           8
        .value_kind:     global_buffer
      - .offset:         64
        .size:           4
        .value_kind:     hidden_block_count_x
      - .offset:         68
        .size:           4
        .value_kind:     hidden_block_count_y
      - .offset:         72
        .size:           4
        .value_kind:     hidden_block_count_z
      - .offset:         76
        .size:           2
        .value_kind:     hidden_group_size_x
      - .offset:         78
        .size:           2
        .value_kind:     hidden_group_size_y
      - .offset:         80
        .size:           2
        .value_kind:     hidden_group_size_z
      - .offset:         82
        .size:           2
        .value_kind:     hidden_remainder_x
      - .offset:         84
        .size:           2
        .value_kind:     hidden_remainder_y
      - .offset:         86
        .size:           2
        .value_kind:     hidden_remainder_z
      - .offset:         104
        .size:           8
        .value_kind:     hidden_global_offset_x
      - .offset:         112
        .size:           8
        .value_kind:     hidden_global_offset_y
      - .offset:         120
        .size:           8
        .value_kind:     hidden_global_offset_z
      - .offset:         128
        .size:           2
        .value_kind:     hidden_grid_dims
    .group_segment_fixed_size: 0
    .kernarg_segment_align: 8
    .kernarg_segment_size: 320
    .language:       OpenCL C
    .language_version:
      - 2
      - 0
    .max_flat_workgroup_size: 32
    .name:           _ZN2at6native12_GLOBAL__N_135GammaBetaBackwardCUDAKernelTemplateIN3c108BFloat16EfLj32ELj1ELj32ELb1ELb0ELb0EEEvllPKT_S7_PKT0_SA_PS5_SB_
    .private_segment_fixed_size: 312
    .sgpr_count:     42
    .sgpr_spill_count: 0
    .symbol:         _ZN2at6native12_GLOBAL__N_135GammaBetaBackwardCUDAKernelTemplateIN3c108BFloat16EfLj32ELj1ELj32ELb1ELb0ELb0EEEvllPKT_S7_PKT0_SA_PS5_SB_.kd
    .uniform_work_group_size: 1
    .uses_dynamic_stack: false
    .vgpr_count:     256
    .vgpr_spill_count: 150
    .wavefront_size: 32
    .workgroup_processor_mode: 1
  - .args:
      - .offset:         0
        .size:           8
        .value_kind:     by_value
      - .offset:         8
        .size:           8
        .value_kind:     by_value
      - .actual_access:  read_only
        .address_space:  global
        .offset:         16
        .size:           8
        .value_kind:     global_buffer
      - .actual_access:  read_only
        .address_space:  global
        .offset:         24
        .size:           8
        .value_kind:     global_buffer
      - .actual_access:  read_only
        .address_space:  global
        .offset:         32
        .size:           8
        .value_kind:     global_buffer
      - .actual_access:  read_only
        .address_space:  global
        .offset:         40
        .size:           8
        .value_kind:     global_buffer
      - .actual_access:  write_only
        .address_space:  global
        .offset:         48
        .size:           8
        .value_kind:     global_buffer
      - .actual_access:  write_only
        .address_space:  global
        .offset:         56
        .size:           8
        .value_kind:     global_buffer
      - .offset:         64
        .size:           4
        .value_kind:     hidden_block_count_x
      - .offset:         68
        .size:           4
        .value_kind:     hidden_block_count_y
      - .offset:         72
        .size:           4
        .value_kind:     hidden_block_count_z
      - .offset:         76
        .size:           2
        .value_kind:     hidden_group_size_x
      - .offset:         78
        .size:           2
        .value_kind:     hidden_group_size_y
      - .offset:         80
        .size:           2
        .value_kind:     hidden_group_size_z
      - .offset:         82
        .size:           2
        .value_kind:     hidden_remainder_x
      - .offset:         84
        .size:           2
        .value_kind:     hidden_remainder_y
      - .offset:         86
        .size:           2
        .value_kind:     hidden_remainder_z
      - .offset:         104
        .size:           8
        .value_kind:     hidden_global_offset_x
      - .offset:         112
        .size:           8
        .value_kind:     hidden_global_offset_y
      - .offset:         120
        .size:           8
        .value_kind:     hidden_global_offset_z
      - .offset:         128
        .size:           2
        .value_kind:     hidden_grid_dims
    .group_segment_fixed_size: 0
    .kernarg_segment_align: 8
    .kernarg_segment_size: 320
    .language:       OpenCL C
    .language_version:
      - 2
      - 0
    .max_flat_workgroup_size: 32
    .name:           _ZN2at6native12_GLOBAL__N_135GammaBetaBackwardCUDAKernelTemplateIN3c108BFloat16EfLj32ELj1ELj8ELb1ELb1ELb0EEEvllPKT_S7_PKT0_SA_PS5_SB_
    .private_segment_fixed_size: 0
    .sgpr_count:     34
    .sgpr_spill_count: 0
    .symbol:         _ZN2at6native12_GLOBAL__N_135GammaBetaBackwardCUDAKernelTemplateIN3c108BFloat16EfLj32ELj1ELj8ELb1ELb1ELb0EEEvllPKT_S7_PKT0_SA_PS5_SB_.kd
    .uniform_work_group_size: 1
    .uses_dynamic_stack: false
    .vgpr_count:     50
    .vgpr_spill_count: 0
    .wavefront_size: 32
    .workgroup_processor_mode: 1
  - .args:
      - .offset:         0
        .size:           8
        .value_kind:     by_value
      - .offset:         8
        .size:           8
        .value_kind:     by_value
      - .actual_access:  read_only
        .address_space:  global
        .offset:         16
        .size:           8
        .value_kind:     global_buffer
      - .actual_access:  read_only
        .address_space:  global
        .offset:         24
        .size:           8
        .value_kind:     global_buffer
      - .actual_access:  read_only
        .address_space:  global
        .offset:         32
        .size:           8
        .value_kind:     global_buffer
      - .actual_access:  read_only
        .address_space:  global
        .offset:         40
        .size:           8
        .value_kind:     global_buffer
      - .actual_access:  write_only
        .address_space:  global
        .offset:         48
        .size:           8
        .value_kind:     global_buffer
      - .actual_access:  write_only
        .address_space:  global
        .offset:         56
        .size:           8
        .value_kind:     global_buffer
      - .offset:         64
        .size:           4
        .value_kind:     hidden_block_count_x
      - .offset:         68
        .size:           4
        .value_kind:     hidden_block_count_y
      - .offset:         72
        .size:           4
        .value_kind:     hidden_block_count_z
      - .offset:         76
        .size:           2
        .value_kind:     hidden_group_size_x
      - .offset:         78
        .size:           2
        .value_kind:     hidden_group_size_y
      - .offset:         80
        .size:           2
        .value_kind:     hidden_group_size_z
      - .offset:         82
        .size:           2
        .value_kind:     hidden_remainder_x
      - .offset:         84
        .size:           2
        .value_kind:     hidden_remainder_y
      - .offset:         86
        .size:           2
        .value_kind:     hidden_remainder_z
      - .offset:         104
        .size:           8
        .value_kind:     hidden_global_offset_x
      - .offset:         112
        .size:           8
        .value_kind:     hidden_global_offset_y
      - .offset:         120
        .size:           8
        .value_kind:     hidden_global_offset_z
      - .offset:         128
        .size:           2
        .value_kind:     hidden_grid_dims
    .group_segment_fixed_size: 0
    .kernarg_segment_align: 8
    .kernarg_segment_size: 320
    .language:       OpenCL C
    .language_version:
      - 2
      - 0
    .max_flat_workgroup_size: 32
    .name:           _ZN2at6native12_GLOBAL__N_135GammaBetaBackwardCUDAKernelTemplateIN3c108BFloat16EfLj32ELj1ELj8ELb1ELb0ELb0EEEvllPKT_S7_PKT0_SA_PS5_SB_
    .private_segment_fixed_size: 0
    .sgpr_count:     34
    .sgpr_spill_count: 0
    .symbol:         _ZN2at6native12_GLOBAL__N_135GammaBetaBackwardCUDAKernelTemplateIN3c108BFloat16EfLj32ELj1ELj8ELb1ELb0ELb0EEEvllPKT_S7_PKT0_SA_PS5_SB_.kd
    .uniform_work_group_size: 1
    .uses_dynamic_stack: false
    .vgpr_count:     94
    .vgpr_spill_count: 0
    .wavefront_size: 32
    .workgroup_processor_mode: 1
  - .args:
      - .offset:         0
        .size:           8
        .value_kind:     by_value
      - .offset:         8
        .size:           8
        .value_kind:     by_value
      - .actual_access:  read_only
        .address_space:  global
        .offset:         16
        .size:           8
        .value_kind:     global_buffer
      - .actual_access:  read_only
        .address_space:  global
        .offset:         24
        .size:           8
        .value_kind:     global_buffer
      - .actual_access:  read_only
        .address_space:  global
        .offset:         32
        .size:           8
        .value_kind:     global_buffer
      - .actual_access:  read_only
        .address_space:  global
        .offset:         40
        .size:           8
        .value_kind:     global_buffer
      - .actual_access:  write_only
        .address_space:  global
        .offset:         48
        .size:           8
        .value_kind:     global_buffer
      - .actual_access:  write_only
        .address_space:  global
        .offset:         56
        .size:           8
        .value_kind:     global_buffer
      - .offset:         64
        .size:           4
        .value_kind:     hidden_block_count_x
      - .offset:         68
        .size:           4
        .value_kind:     hidden_block_count_y
      - .offset:         72
        .size:           4
        .value_kind:     hidden_block_count_z
      - .offset:         76
        .size:           2
        .value_kind:     hidden_group_size_x
      - .offset:         78
        .size:           2
        .value_kind:     hidden_group_size_y
      - .offset:         80
        .size:           2
        .value_kind:     hidden_group_size_z
      - .offset:         82
        .size:           2
        .value_kind:     hidden_remainder_x
      - .offset:         84
        .size:           2
        .value_kind:     hidden_remainder_y
      - .offset:         86
        .size:           2
        .value_kind:     hidden_remainder_z
      - .offset:         104
        .size:           8
        .value_kind:     hidden_global_offset_x
      - .offset:         112
        .size:           8
        .value_kind:     hidden_global_offset_y
      - .offset:         120
        .size:           8
        .value_kind:     hidden_global_offset_z
      - .offset:         128
        .size:           2
        .value_kind:     hidden_grid_dims
      - .offset:         184
        .size:           4
        .value_kind:     hidden_dynamic_lds_size
    .group_segment_fixed_size: 0
    .kernarg_segment_align: 8
    .kernarg_segment_size: 320
    .language:       OpenCL C
    .language_version:
      - 2
      - 0
    .max_flat_workgroup_size: 256
    .name:           _ZN2at6native12_GLOBAL__N_135GammaBetaBackwardCUDAKernelTemplateIN3c108BFloat16EfLj32ELj8ELj64ELb0ELb1ELb0EEEvllPKT_S7_PKT0_SA_PS5_SB_
    .private_segment_fixed_size: 0
    .sgpr_count:     30
    .sgpr_spill_count: 0
    .symbol:         _ZN2at6native12_GLOBAL__N_135GammaBetaBackwardCUDAKernelTemplateIN3c108BFloat16EfLj32ELj8ELj64ELb0ELb1ELb0EEEvllPKT_S7_PKT0_SA_PS5_SB_.kd
    .uniform_work_group_size: 1
    .uses_dynamic_stack: false
    .vgpr_count:     50
    .vgpr_spill_count: 0
    .wavefront_size: 32
    .workgroup_processor_mode: 1
  - .args:
      - .offset:         0
        .size:           8
        .value_kind:     by_value
      - .offset:         8
        .size:           8
        .value_kind:     by_value
      - .actual_access:  read_only
        .address_space:  global
        .offset:         16
        .size:           8
        .value_kind:     global_buffer
      - .actual_access:  read_only
        .address_space:  global
        .offset:         24
        .size:           8
        .value_kind:     global_buffer
      - .actual_access:  read_only
        .address_space:  global
        .offset:         32
        .size:           8
        .value_kind:     global_buffer
      - .actual_access:  read_only
        .address_space:  global
        .offset:         40
        .size:           8
        .value_kind:     global_buffer
      - .actual_access:  write_only
        .address_space:  global
        .offset:         48
        .size:           8
        .value_kind:     global_buffer
      - .actual_access:  write_only
        .address_space:  global
        .offset:         56
        .size:           8
        .value_kind:     global_buffer
      - .offset:         64
        .size:           4
        .value_kind:     hidden_block_count_x
      - .offset:         68
        .size:           4
        .value_kind:     hidden_block_count_y
      - .offset:         72
        .size:           4
        .value_kind:     hidden_block_count_z
      - .offset:         76
        .size:           2
        .value_kind:     hidden_group_size_x
      - .offset:         78
        .size:           2
        .value_kind:     hidden_group_size_y
      - .offset:         80
        .size:           2
        .value_kind:     hidden_group_size_z
      - .offset:         82
        .size:           2
        .value_kind:     hidden_remainder_x
      - .offset:         84
        .size:           2
        .value_kind:     hidden_remainder_y
      - .offset:         86
        .size:           2
        .value_kind:     hidden_remainder_z
      - .offset:         104
        .size:           8
        .value_kind:     hidden_global_offset_x
      - .offset:         112
        .size:           8
        .value_kind:     hidden_global_offset_y
      - .offset:         120
        .size:           8
        .value_kind:     hidden_global_offset_z
      - .offset:         128
        .size:           2
        .value_kind:     hidden_grid_dims
      - .offset:         184
        .size:           4
        .value_kind:     hidden_dynamic_lds_size
    .group_segment_fixed_size: 0
    .kernarg_segment_align: 8
    .kernarg_segment_size: 320
    .language:       OpenCL C
    .language_version:
      - 2
      - 0
    .max_flat_workgroup_size: 256
    .name:           _ZN2at6native12_GLOBAL__N_135GammaBetaBackwardCUDAKernelTemplateIN3c108BFloat16EfLj32ELj8ELj64ELb0ELb0ELb0EEEvllPKT_S7_PKT0_SA_PS5_SB_
    .private_segment_fixed_size: 0
    .sgpr_count:     34
    .sgpr_spill_count: 0
    .symbol:         _ZN2at6native12_GLOBAL__N_135GammaBetaBackwardCUDAKernelTemplateIN3c108BFloat16EfLj32ELj8ELj64ELb0ELb0ELb0EEEvllPKT_S7_PKT0_SA_PS5_SB_.kd
    .uniform_work_group_size: 1
    .uses_dynamic_stack: false
    .vgpr_count:     93
    .vgpr_spill_count: 0
    .wavefront_size: 32
    .workgroup_processor_mode: 1
  - .args:
      - .offset:         0
        .size:           8
        .value_kind:     by_value
      - .offset:         8
        .size:           8
        .value_kind:     by_value
      - .actual_access:  read_only
        .address_space:  global
        .offset:         16
        .size:           8
        .value_kind:     global_buffer
      - .actual_access:  read_only
        .address_space:  global
        .offset:         24
        .size:           8
        .value_kind:     global_buffer
      - .actual_access:  read_only
        .address_space:  global
        .offset:         32
        .size:           8
        .value_kind:     global_buffer
      - .actual_access:  read_only
        .address_space:  global
        .offset:         40
        .size:           8
        .value_kind:     global_buffer
      - .actual_access:  write_only
        .address_space:  global
        .offset:         48
        .size:           8
        .value_kind:     global_buffer
      - .actual_access:  write_only
        .address_space:  global
        .offset:         56
        .size:           8
        .value_kind:     global_buffer
      - .offset:         64
        .size:           4
        .value_kind:     hidden_block_count_x
      - .offset:         68
        .size:           4
        .value_kind:     hidden_block_count_y
      - .offset:         72
        .size:           4
        .value_kind:     hidden_block_count_z
      - .offset:         76
        .size:           2
        .value_kind:     hidden_group_size_x
      - .offset:         78
        .size:           2
        .value_kind:     hidden_group_size_y
      - .offset:         80
        .size:           2
        .value_kind:     hidden_group_size_z
      - .offset:         82
        .size:           2
        .value_kind:     hidden_remainder_x
      - .offset:         84
        .size:           2
        .value_kind:     hidden_remainder_y
      - .offset:         86
        .size:           2
        .value_kind:     hidden_remainder_z
      - .offset:         104
        .size:           8
        .value_kind:     hidden_global_offset_x
      - .offset:         112
        .size:           8
        .value_kind:     hidden_global_offset_y
      - .offset:         120
        .size:           8
        .value_kind:     hidden_global_offset_z
      - .offset:         128
        .size:           2
        .value_kind:     hidden_grid_dims
      - .offset:         184
        .size:           4
        .value_kind:     hidden_dynamic_lds_size
    .group_segment_fixed_size: 0
    .kernarg_segment_align: 8
    .kernarg_segment_size: 320
    .language:       OpenCL C
    .language_version:
      - 2
      - 0
    .max_flat_workgroup_size: 512
    .name:           _ZN2at6native12_GLOBAL__N_135GammaBetaBackwardCUDAKernelTemplateIN3c108BFloat16EfLj32ELj16ELj128ELb0ELb1ELb0EEEvllPKT_S7_PKT0_SA_PS5_SB_
    .private_segment_fixed_size: 0
    .sgpr_count:     30
    .sgpr_spill_count: 0
    .symbol:         _ZN2at6native12_GLOBAL__N_135GammaBetaBackwardCUDAKernelTemplateIN3c108BFloat16EfLj32ELj16ELj128ELb0ELb1ELb0EEEvllPKT_S7_PKT0_SA_PS5_SB_.kd
    .uniform_work_group_size: 1
    .uses_dynamic_stack: false
    .vgpr_count:     50
    .vgpr_spill_count: 0
    .wavefront_size: 32
    .workgroup_processor_mode: 1
  - .args:
      - .offset:         0
        .size:           8
        .value_kind:     by_value
      - .offset:         8
        .size:           8
        .value_kind:     by_value
      - .actual_access:  read_only
        .address_space:  global
        .offset:         16
        .size:           8
        .value_kind:     global_buffer
      - .actual_access:  read_only
        .address_space:  global
        .offset:         24
        .size:           8
        .value_kind:     global_buffer
      - .actual_access:  read_only
        .address_space:  global
        .offset:         32
        .size:           8
        .value_kind:     global_buffer
      - .actual_access:  read_only
        .address_space:  global
        .offset:         40
        .size:           8
        .value_kind:     global_buffer
      - .actual_access:  write_only
        .address_space:  global
        .offset:         48
        .size:           8
        .value_kind:     global_buffer
      - .actual_access:  write_only
        .address_space:  global
        .offset:         56
        .size:           8
        .value_kind:     global_buffer
      - .offset:         64
        .size:           4
        .value_kind:     hidden_block_count_x
      - .offset:         68
        .size:           4
        .value_kind:     hidden_block_count_y
      - .offset:         72
        .size:           4
        .value_kind:     hidden_block_count_z
      - .offset:         76
        .size:           2
        .value_kind:     hidden_group_size_x
      - .offset:         78
        .size:           2
        .value_kind:     hidden_group_size_y
      - .offset:         80
        .size:           2
        .value_kind:     hidden_group_size_z
      - .offset:         82
        .size:           2
        .value_kind:     hidden_remainder_x
      - .offset:         84
        .size:           2
        .value_kind:     hidden_remainder_y
      - .offset:         86
        .size:           2
        .value_kind:     hidden_remainder_z
      - .offset:         104
        .size:           8
        .value_kind:     hidden_global_offset_x
      - .offset:         112
        .size:           8
        .value_kind:     hidden_global_offset_y
      - .offset:         120
        .size:           8
        .value_kind:     hidden_global_offset_z
      - .offset:         128
        .size:           2
        .value_kind:     hidden_grid_dims
      - .offset:         184
        .size:           4
        .value_kind:     hidden_dynamic_lds_size
    .group_segment_fixed_size: 0
    .kernarg_segment_align: 8
    .kernarg_segment_size: 320
    .language:       OpenCL C
    .language_version:
      - 2
      - 0
    .max_flat_workgroup_size: 512
    .name:           _ZN2at6native12_GLOBAL__N_135GammaBetaBackwardCUDAKernelTemplateIN3c108BFloat16EfLj32ELj16ELj128ELb0ELb0ELb0EEEvllPKT_S7_PKT0_SA_PS5_SB_
    .private_segment_fixed_size: 0
    .sgpr_count:     34
    .sgpr_spill_count: 0
    .symbol:         _ZN2at6native12_GLOBAL__N_135GammaBetaBackwardCUDAKernelTemplateIN3c108BFloat16EfLj32ELj16ELj128ELb0ELb0ELb0EEEvllPKT_S7_PKT0_SA_PS5_SB_.kd
    .uniform_work_group_size: 1
    .uses_dynamic_stack: false
    .vgpr_count:     93
    .vgpr_spill_count: 0
    .wavefront_size: 32
    .workgroup_processor_mode: 1
  - .args:
      - .offset:         0
        .size:           8
        .value_kind:     by_value
      - .offset:         8
        .size:           8
        .value_kind:     by_value
      - .actual_access:  read_only
        .address_space:  global
        .offset:         16
        .size:           8
        .value_kind:     global_buffer
      - .actual_access:  read_only
        .address_space:  global
        .offset:         24
        .size:           8
        .value_kind:     global_buffer
      - .actual_access:  read_only
        .address_space:  global
        .offset:         32
        .size:           8
        .value_kind:     global_buffer
      - .actual_access:  read_only
        .address_space:  global
        .offset:         40
        .size:           8
        .value_kind:     global_buffer
      - .actual_access:  write_only
        .address_space:  global
        .offset:         48
        .size:           8
        .value_kind:     global_buffer
      - .actual_access:  write_only
        .address_space:  global
        .offset:         56
        .size:           8
        .value_kind:     global_buffer
      - .offset:         64
        .size:           4
        .value_kind:     hidden_block_count_x
      - .offset:         68
        .size:           4
        .value_kind:     hidden_block_count_y
      - .offset:         72
        .size:           4
        .value_kind:     hidden_block_count_z
      - .offset:         76
        .size:           2
        .value_kind:     hidden_group_size_x
      - .offset:         78
        .size:           2
        .value_kind:     hidden_group_size_y
      - .offset:         80
        .size:           2
        .value_kind:     hidden_group_size_z
      - .offset:         82
        .size:           2
        .value_kind:     hidden_remainder_x
      - .offset:         84
        .size:           2
        .value_kind:     hidden_remainder_y
      - .offset:         86
        .size:           2
        .value_kind:     hidden_remainder_z
      - .offset:         104
        .size:           8
        .value_kind:     hidden_global_offset_x
      - .offset:         112
        .size:           8
        .value_kind:     hidden_global_offset_y
      - .offset:         120
        .size:           8
        .value_kind:     hidden_global_offset_z
      - .offset:         128
        .size:           2
        .value_kind:     hidden_grid_dims
      - .offset:         184
        .size:           4
        .value_kind:     hidden_dynamic_lds_size
    .group_segment_fixed_size: 0
    .kernarg_segment_align: 8
    .kernarg_segment_size: 320
    .language:       OpenCL C
    .language_version:
      - 2
      - 0
    .max_flat_workgroup_size: 1024
    .name:           _ZN2at6native12_GLOBAL__N_135GammaBetaBackwardCUDAKernelTemplateIN3c108BFloat16EfLj32ELj32ELj256ELb0ELb1ELb0EEEvllPKT_S7_PKT0_SA_PS5_SB_
    .private_segment_fixed_size: 0
    .sgpr_count:     30
    .sgpr_spill_count: 0
    .symbol:         _ZN2at6native12_GLOBAL__N_135GammaBetaBackwardCUDAKernelTemplateIN3c108BFloat16EfLj32ELj32ELj256ELb0ELb1ELb0EEEvllPKT_S7_PKT0_SA_PS5_SB_.kd
    .uniform_work_group_size: 1
    .uses_dynamic_stack: false
    .vgpr_count:     50
    .vgpr_spill_count: 0
    .wavefront_size: 32
    .workgroup_processor_mode: 1
  - .args:
      - .offset:         0
        .size:           8
        .value_kind:     by_value
      - .offset:         8
        .size:           8
        .value_kind:     by_value
      - .actual_access:  read_only
        .address_space:  global
        .offset:         16
        .size:           8
        .value_kind:     global_buffer
      - .actual_access:  read_only
        .address_space:  global
        .offset:         24
        .size:           8
        .value_kind:     global_buffer
      - .actual_access:  read_only
        .address_space:  global
        .offset:         32
        .size:           8
        .value_kind:     global_buffer
      - .actual_access:  read_only
        .address_space:  global
        .offset:         40
        .size:           8
        .value_kind:     global_buffer
      - .actual_access:  write_only
        .address_space:  global
        .offset:         48
        .size:           8
        .value_kind:     global_buffer
      - .actual_access:  write_only
        .address_space:  global
        .offset:         56
        .size:           8
        .value_kind:     global_buffer
      - .offset:         64
        .size:           4
        .value_kind:     hidden_block_count_x
      - .offset:         68
        .size:           4
        .value_kind:     hidden_block_count_y
      - .offset:         72
        .size:           4
        .value_kind:     hidden_block_count_z
      - .offset:         76
        .size:           2
        .value_kind:     hidden_group_size_x
      - .offset:         78
        .size:           2
        .value_kind:     hidden_group_size_y
      - .offset:         80
        .size:           2
        .value_kind:     hidden_group_size_z
      - .offset:         82
        .size:           2
        .value_kind:     hidden_remainder_x
      - .offset:         84
        .size:           2
        .value_kind:     hidden_remainder_y
      - .offset:         86
        .size:           2
        .value_kind:     hidden_remainder_z
      - .offset:         104
        .size:           8
        .value_kind:     hidden_global_offset_x
      - .offset:         112
        .size:           8
        .value_kind:     hidden_global_offset_y
      - .offset:         120
        .size:           8
        .value_kind:     hidden_global_offset_z
      - .offset:         128
        .size:           2
        .value_kind:     hidden_grid_dims
      - .offset:         184
        .size:           4
        .value_kind:     hidden_dynamic_lds_size
    .group_segment_fixed_size: 0
    .kernarg_segment_align: 8
    .kernarg_segment_size: 320
    .language:       OpenCL C
    .language_version:
      - 2
      - 0
    .max_flat_workgroup_size: 1024
    .name:           _ZN2at6native12_GLOBAL__N_135GammaBetaBackwardCUDAKernelTemplateIN3c108BFloat16EfLj32ELj32ELj256ELb0ELb0ELb0EEEvllPKT_S7_PKT0_SA_PS5_SB_
    .private_segment_fixed_size: 0
    .sgpr_count:     34
    .sgpr_spill_count: 0
    .symbol:         _ZN2at6native12_GLOBAL__N_135GammaBetaBackwardCUDAKernelTemplateIN3c108BFloat16EfLj32ELj32ELj256ELb0ELb0ELb0EEEvllPKT_S7_PKT0_SA_PS5_SB_.kd
    .uniform_work_group_size: 1
    .uses_dynamic_stack: false
    .vgpr_count:     93
    .vgpr_spill_count: 0
    .wavefront_size: 32
    .workgroup_processor_mode: 1
  - .args:
      - .actual_access:  read_only
        .address_space:  global
        .offset:         0
        .size:           8
        .value_kind:     global_buffer
      - .actual_access:  read_only
        .address_space:  global
        .offset:         8
        .size:           8
        .value_kind:     global_buffer
      - .offset:         16
        .size:           8
        .value_kind:     by_value
      - .offset:         24
        .size:           8
        .value_kind:     by_value
      - .actual_access:  read_only
        .address_space:  global
        .offset:         32
        .size:           8
        .value_kind:     global_buffer
      - .actual_access:  read_only
        .address_space:  global
        .offset:         40
        .size:           8
        .value_kind:     global_buffer
      - .address_space:  global
        .offset:         48
        .size:           8
        .value_kind:     global_buffer
      - .address_space:  global
        .offset:         56
        .size:           8
        .value_kind:     global_buffer
      - .offset:         64
        .size:           4
        .value_kind:     hidden_block_count_x
      - .offset:         68
        .size:           4
        .value_kind:     hidden_block_count_y
      - .offset:         72
        .size:           4
        .value_kind:     hidden_block_count_z
      - .offset:         76
        .size:           2
        .value_kind:     hidden_group_size_x
      - .offset:         78
        .size:           2
        .value_kind:     hidden_group_size_y
      - .offset:         80
        .size:           2
        .value_kind:     hidden_group_size_z
      - .offset:         82
        .size:           2
        .value_kind:     hidden_remainder_x
      - .offset:         84
        .size:           2
        .value_kind:     hidden_remainder_y
      - .offset:         86
        .size:           2
        .value_kind:     hidden_remainder_z
      - .offset:         104
        .size:           8
        .value_kind:     hidden_global_offset_x
      - .offset:         112
        .size:           8
        .value_kind:     hidden_global_offset_y
      - .offset:         120
        .size:           8
        .value_kind:     hidden_global_offset_z
      - .offset:         128
        .size:           2
        .value_kind:     hidden_grid_dims
      - .offset:         184
        .size:           4
        .value_kind:     hidden_dynamic_lds_size
    .group_segment_fixed_size: 0
    .kernarg_segment_align: 8
    .kernarg_segment_size: 320
    .language:       OpenCL C
    .language_version:
      - 2
      - 0
    .max_flat_workgroup_size: 1024
    .name:           _ZN2at6native12_GLOBAL__N_118cuComputeGradInputIddLb1EEEvPKT_S5_llPKT0_S8_S5_PS3_
    .private_segment_fixed_size: 0
    .sgpr_count:     42
    .sgpr_spill_count: 0
    .symbol:         _ZN2at6native12_GLOBAL__N_118cuComputeGradInputIddLb1EEEvPKT_S5_llPKT0_S8_S5_PS3_.kd
    .uniform_work_group_size: 1
    .uses_dynamic_stack: false
    .vgpr_count:     28
    .vgpr_spill_count: 0
    .wavefront_size: 32
    .workgroup_processor_mode: 1
  - .args:
      - .actual_access:  read_only
        .address_space:  global
        .offset:         0
        .size:           8
        .value_kind:     global_buffer
      - .actual_access:  read_only
        .address_space:  global
        .offset:         8
        .size:           8
        .value_kind:     global_buffer
      - .actual_access:  read_only
        .address_space:  global
        .offset:         16
        .size:           8
        .value_kind:     global_buffer
      - .actual_access:  read_only
        .address_space:  global
        .offset:         24
        .size:           8
        .value_kind:     global_buffer
      - .actual_access:  read_only
        .address_space:  global
        .offset:         32
        .size:           8
        .value_kind:     global_buffer
      - .address_space:  global
        .offset:         40
        .size:           8
        .value_kind:     global_buffer
      - .offset:         48
        .size:           4
        .value_kind:     by_value
      - .offset:         56
        .size:           4
        .value_kind:     hidden_block_count_x
      - .offset:         60
        .size:           4
        .value_kind:     hidden_block_count_y
      - .offset:         64
        .size:           4
        .value_kind:     hidden_block_count_z
      - .offset:         68
        .size:           2
        .value_kind:     hidden_group_size_x
      - .offset:         70
        .size:           2
        .value_kind:     hidden_group_size_y
      - .offset:         72
        .size:           2
        .value_kind:     hidden_group_size_z
      - .offset:         74
        .size:           2
        .value_kind:     hidden_remainder_x
      - .offset:         76
        .size:           2
        .value_kind:     hidden_remainder_y
      - .offset:         78
        .size:           2
        .value_kind:     hidden_remainder_z
      - .offset:         96
        .size:           8
        .value_kind:     hidden_global_offset_x
      - .offset:         104
        .size:           8
        .value_kind:     hidden_global_offset_y
      - .offset:         112
        .size:           8
        .value_kind:     hidden_global_offset_z
      - .offset:         120
        .size:           2
        .value_kind:     hidden_grid_dims
      - .offset:         176
        .size:           4
        .value_kind:     hidden_dynamic_lds_size
    .group_segment_fixed_size: 0
    .kernarg_segment_align: 8
    .kernarg_segment_size: 312
    .language:       OpenCL C
    .language_version:
      - 2
      - 0
    .max_flat_workgroup_size: 1024
    .name:           _ZN2at6native12_GLOBAL__N_128layer_norm_grad_input_kernelIddLb1EEEvPKT_S5_PKT0_S8_S5_PS3_i
    .private_segment_fixed_size: 0
    .sgpr_count:     23
    .sgpr_spill_count: 0
    .symbol:         _ZN2at6native12_GLOBAL__N_128layer_norm_grad_input_kernelIddLb1EEEvPKT_S5_PKT0_S8_S5_PS3_i.kd
    .uniform_work_group_size: 1
    .uses_dynamic_stack: false
    .vgpr_count:     31
    .vgpr_spill_count: 0
    .wavefront_size: 32
    .workgroup_processor_mode: 1
  - .args:
      - .offset:         0
        .size:           8
        .value_kind:     by_value
      - .offset:         8
        .size:           8
        .value_kind:     by_value
      - .address_space:  global
        .offset:         16
        .size:           8
        .value_kind:     global_buffer
      - .address_space:  global
        .offset:         24
        .size:           8
        .value_kind:     global_buffer
      - .address_space:  global
        .offset:         32
        .size:           8
        .value_kind:     global_buffer
      - .address_space:  global
        .offset:         40
        .size:           8
        .value_kind:     global_buffer
      - .address_space:  global
        .offset:         48
        .size:           8
        .value_kind:     global_buffer
      - .address_space:  global
        .offset:         56
        .size:           8
        .value_kind:     global_buffer
      - .offset:         64
        .size:           4
        .value_kind:     hidden_block_count_x
      - .offset:         68
        .size:           4
        .value_kind:     hidden_block_count_y
      - .offset:         72
        .size:           4
        .value_kind:     hidden_block_count_z
      - .offset:         76
        .size:           2
        .value_kind:     hidden_group_size_x
      - .offset:         78
        .size:           2
        .value_kind:     hidden_group_size_y
      - .offset:         80
        .size:           2
        .value_kind:     hidden_group_size_z
      - .offset:         82
        .size:           2
        .value_kind:     hidden_remainder_x
      - .offset:         84
        .size:           2
        .value_kind:     hidden_remainder_y
      - .offset:         86
        .size:           2
        .value_kind:     hidden_remainder_z
      - .offset:         104
        .size:           8
        .value_kind:     hidden_global_offset_x
      - .offset:         112
        .size:           8
        .value_kind:     hidden_global_offset_y
      - .offset:         120
        .size:           8
        .value_kind:     hidden_global_offset_z
      - .offset:         128
        .size:           2
        .value_kind:     hidden_grid_dims
    .group_segment_fixed_size: 0
    .kernarg_segment_align: 8
    .kernarg_segment_size: 320
    .language:       OpenCL C
    .language_version:
      - 2
      - 0
    .max_flat_workgroup_size: 1024
    .name:           _ZN2at6native12_GLOBAL__N_133GammaBetaBackwardSimpleCUDAKernelIddLb1EEEvllPKT_S5_PKT0_S8_PS3_S9_
    .private_segment_fixed_size: 0
    .sgpr_count:     18
    .sgpr_spill_count: 0
    .symbol:         _ZN2at6native12_GLOBAL__N_133GammaBetaBackwardSimpleCUDAKernelIddLb1EEEvllPKT_S5_PKT0_S8_PS3_S9_.kd
    .uniform_work_group_size: 1
    .uses_dynamic_stack: false
    .vgpr_count:     10
    .vgpr_spill_count: 0
    .wavefront_size: 32
    .workgroup_processor_mode: 1
  - .args:
      - .offset:         0
        .size:           8
        .value_kind:     by_value
      - .offset:         8
        .size:           8
        .value_kind:     by_value
      - .actual_access:  read_only
        .address_space:  global
        .offset:         16
        .size:           8
        .value_kind:     global_buffer
      - .actual_access:  read_only
        .address_space:  global
        .offset:         24
        .size:           8
        .value_kind:     global_buffer
      - .actual_access:  read_only
        .address_space:  global
        .offset:         32
        .size:           8
        .value_kind:     global_buffer
      - .actual_access:  read_only
        .address_space:  global
        .offset:         40
        .size:           8
        .value_kind:     global_buffer
      - .actual_access:  write_only
        .address_space:  global
        .offset:         48
        .size:           8
        .value_kind:     global_buffer
      - .actual_access:  read_only
        .address_space:  global
        .offset:         56
        .size:           8
        .value_kind:     global_buffer
      - .offset:         64
        .size:           4
        .value_kind:     hidden_block_count_x
      - .offset:         68
        .size:           4
        .value_kind:     hidden_block_count_y
      - .offset:         72
        .size:           4
        .value_kind:     hidden_block_count_z
      - .offset:         76
        .size:           2
        .value_kind:     hidden_group_size_x
      - .offset:         78
        .size:           2
        .value_kind:     hidden_group_size_y
      - .offset:         80
        .size:           2
        .value_kind:     hidden_group_size_z
      - .offset:         82
        .size:           2
        .value_kind:     hidden_remainder_x
      - .offset:         84
        .size:           2
        .value_kind:     hidden_remainder_y
      - .offset:         86
        .size:           2
        .value_kind:     hidden_remainder_z
      - .offset:         104
        .size:           8
        .value_kind:     hidden_global_offset_x
      - .offset:         112
        .size:           8
        .value_kind:     hidden_global_offset_y
      - .offset:         120
        .size:           8
        .value_kind:     hidden_global_offset_z
      - .offset:         128
        .size:           2
        .value_kind:     hidden_grid_dims
    .group_segment_fixed_size: 0
    .kernarg_segment_align: 8
    .kernarg_segment_size: 320
    .language:       OpenCL C
    .language_version:
      - 2
      - 0
    .max_flat_workgroup_size: 64
    .name:           _ZN2at6native12_GLOBAL__N_135GammaBetaBackwardCUDAKernelTemplateIddLj64ELj1ELj32ELb1ELb1ELb1EEEvllPKT_S5_PKT0_S8_PS3_S9_
    .private_segment_fixed_size: 0
    .sgpr_count:     26
    .sgpr_spill_count: 0
    .symbol:         _ZN2at6native12_GLOBAL__N_135GammaBetaBackwardCUDAKernelTemplateIddLj64ELj1ELj32ELb1ELb1ELb1EEEvllPKT_S5_PKT0_S8_PS3_S9_.kd
    .uniform_work_group_size: 1
    .uses_dynamic_stack: false
    .vgpr_count:     60
    .vgpr_spill_count: 0
    .wavefront_size: 32
    .workgroup_processor_mode: 1
  - .args:
      - .offset:         0
        .size:           8
        .value_kind:     by_value
      - .offset:         8
        .size:           8
        .value_kind:     by_value
      - .actual_access:  read_only
        .address_space:  global
        .offset:         16
        .size:           8
        .value_kind:     global_buffer
      - .actual_access:  read_only
        .address_space:  global
        .offset:         24
        .size:           8
        .value_kind:     global_buffer
      - .actual_access:  read_only
        .address_space:  global
        .offset:         32
        .size:           8
        .value_kind:     global_buffer
      - .actual_access:  read_only
        .address_space:  global
        .offset:         40
        .size:           8
        .value_kind:     global_buffer
      - .actual_access:  write_only
        .address_space:  global
        .offset:         48
        .size:           8
        .value_kind:     global_buffer
      - .actual_access:  read_only
        .address_space:  global
        .offset:         56
        .size:           8
        .value_kind:     global_buffer
      - .offset:         64
        .size:           4
        .value_kind:     hidden_block_count_x
      - .offset:         68
        .size:           4
        .value_kind:     hidden_block_count_y
      - .offset:         72
        .size:           4
        .value_kind:     hidden_block_count_z
      - .offset:         76
        .size:           2
        .value_kind:     hidden_group_size_x
      - .offset:         78
        .size:           2
        .value_kind:     hidden_group_size_y
      - .offset:         80
        .size:           2
        .value_kind:     hidden_group_size_z
      - .offset:         82
        .size:           2
        .value_kind:     hidden_remainder_x
      - .offset:         84
        .size:           2
        .value_kind:     hidden_remainder_y
      - .offset:         86
        .size:           2
        .value_kind:     hidden_remainder_z
      - .offset:         104
        .size:           8
        .value_kind:     hidden_global_offset_x
      - .offset:         112
        .size:           8
        .value_kind:     hidden_global_offset_y
      - .offset:         120
        .size:           8
        .value_kind:     hidden_global_offset_z
      - .offset:         128
        .size:           2
        .value_kind:     hidden_grid_dims
    .group_segment_fixed_size: 0
    .kernarg_segment_align: 8
    .kernarg_segment_size: 320
    .language:       OpenCL C
    .language_version:
      - 2
      - 0
    .max_flat_workgroup_size: 64
    .name:           _ZN2at6native12_GLOBAL__N_135GammaBetaBackwardCUDAKernelTemplateIddLj64ELj1ELj32ELb1ELb0ELb1EEEvllPKT_S5_PKT0_S8_PS3_S9_
    .private_segment_fixed_size: 592
    .sgpr_count:     42
    .sgpr_spill_count: 0
    .symbol:         _ZN2at6native12_GLOBAL__N_135GammaBetaBackwardCUDAKernelTemplateIddLj64ELj1ELj32ELb1ELb0ELb1EEEvllPKT_S5_PKT0_S8_PS3_S9_.kd
    .uniform_work_group_size: 1
    .uses_dynamic_stack: false
    .vgpr_count:     256
    .vgpr_spill_count: 325
    .wavefront_size: 32
    .workgroup_processor_mode: 1
  - .args:
      - .offset:         0
        .size:           8
        .value_kind:     by_value
      - .offset:         8
        .size:           8
        .value_kind:     by_value
      - .actual_access:  read_only
        .address_space:  global
        .offset:         16
        .size:           8
        .value_kind:     global_buffer
      - .actual_access:  read_only
        .address_space:  global
        .offset:         24
        .size:           8
        .value_kind:     global_buffer
      - .actual_access:  read_only
        .address_space:  global
        .offset:         32
        .size:           8
        .value_kind:     global_buffer
      - .actual_access:  read_only
        .address_space:  global
        .offset:         40
        .size:           8
        .value_kind:     global_buffer
      - .actual_access:  write_only
        .address_space:  global
        .offset:         48
        .size:           8
        .value_kind:     global_buffer
      - .actual_access:  read_only
        .address_space:  global
        .offset:         56
        .size:           8
        .value_kind:     global_buffer
      - .offset:         64
        .size:           4
        .value_kind:     hidden_block_count_x
      - .offset:         68
        .size:           4
        .value_kind:     hidden_block_count_y
      - .offset:         72
        .size:           4
        .value_kind:     hidden_block_count_z
      - .offset:         76
        .size:           2
        .value_kind:     hidden_group_size_x
      - .offset:         78
        .size:           2
        .value_kind:     hidden_group_size_y
      - .offset:         80
        .size:           2
        .value_kind:     hidden_group_size_z
      - .offset:         82
        .size:           2
        .value_kind:     hidden_remainder_x
      - .offset:         84
        .size:           2
        .value_kind:     hidden_remainder_y
      - .offset:         86
        .size:           2
        .value_kind:     hidden_remainder_z
      - .offset:         104
        .size:           8
        .value_kind:     hidden_global_offset_x
      - .offset:         112
        .size:           8
        .value_kind:     hidden_global_offset_y
      - .offset:         120
        .size:           8
        .value_kind:     hidden_global_offset_z
      - .offset:         128
        .size:           2
        .value_kind:     hidden_grid_dims
    .group_segment_fixed_size: 0
    .kernarg_segment_align: 8
    .kernarg_segment_size: 320
    .language:       OpenCL C
    .language_version:
      - 2
      - 0
    .max_flat_workgroup_size: 64
    .name:           _ZN2at6native12_GLOBAL__N_135GammaBetaBackwardCUDAKernelTemplateIddLj64ELj1ELj8ELb1ELb1ELb1EEEvllPKT_S5_PKT0_S8_PS3_S9_
    .private_segment_fixed_size: 0
    .sgpr_count:     28
    .sgpr_spill_count: 0
    .symbol:         _ZN2at6native12_GLOBAL__N_135GammaBetaBackwardCUDAKernelTemplateIddLj64ELj1ELj8ELb1ELb1ELb1EEEvllPKT_S5_PKT0_S8_PS3_S9_.kd
    .uniform_work_group_size: 1
    .uses_dynamic_stack: false
    .vgpr_count:     52
    .vgpr_spill_count: 0
    .wavefront_size: 32
    .workgroup_processor_mode: 1
  - .args:
      - .offset:         0
        .size:           8
        .value_kind:     by_value
      - .offset:         8
        .size:           8
        .value_kind:     by_value
      - .actual_access:  read_only
        .address_space:  global
        .offset:         16
        .size:           8
        .value_kind:     global_buffer
      - .actual_access:  read_only
        .address_space:  global
        .offset:         24
        .size:           8
        .value_kind:     global_buffer
      - .actual_access:  read_only
        .address_space:  global
        .offset:         32
        .size:           8
        .value_kind:     global_buffer
      - .actual_access:  read_only
        .address_space:  global
        .offset:         40
        .size:           8
        .value_kind:     global_buffer
      - .actual_access:  write_only
        .address_space:  global
        .offset:         48
        .size:           8
        .value_kind:     global_buffer
      - .actual_access:  read_only
        .address_space:  global
        .offset:         56
        .size:           8
        .value_kind:     global_buffer
      - .offset:         64
        .size:           4
        .value_kind:     hidden_block_count_x
      - .offset:         68
        .size:           4
        .value_kind:     hidden_block_count_y
      - .offset:         72
        .size:           4
        .value_kind:     hidden_block_count_z
      - .offset:         76
        .size:           2
        .value_kind:     hidden_group_size_x
      - .offset:         78
        .size:           2
        .value_kind:     hidden_group_size_y
      - .offset:         80
        .size:           2
        .value_kind:     hidden_group_size_z
      - .offset:         82
        .size:           2
        .value_kind:     hidden_remainder_x
      - .offset:         84
        .size:           2
        .value_kind:     hidden_remainder_y
      - .offset:         86
        .size:           2
        .value_kind:     hidden_remainder_z
      - .offset:         104
        .size:           8
        .value_kind:     hidden_global_offset_x
      - .offset:         112
        .size:           8
        .value_kind:     hidden_global_offset_y
      - .offset:         120
        .size:           8
        .value_kind:     hidden_global_offset_z
      - .offset:         128
        .size:           2
        .value_kind:     hidden_grid_dims
    .group_segment_fixed_size: 0
    .kernarg_segment_align: 8
    .kernarg_segment_size: 320
    .language:       OpenCL C
    .language_version:
      - 2
      - 0
    .max_flat_workgroup_size: 64
    .name:           _ZN2at6native12_GLOBAL__N_135GammaBetaBackwardCUDAKernelTemplateIddLj64ELj1ELj8ELb1ELb0ELb1EEEvllPKT_S5_PKT0_S8_PS3_S9_
    .private_segment_fixed_size: 0
    .sgpr_count:     32
    .sgpr_spill_count: 0
    .symbol:         _ZN2at6native12_GLOBAL__N_135GammaBetaBackwardCUDAKernelTemplateIddLj64ELj1ELj8ELb1ELb0ELb1EEEvllPKT_S5_PKT0_S8_PS3_S9_.kd
    .uniform_work_group_size: 1
    .uses_dynamic_stack: false
    .vgpr_count:     107
    .vgpr_spill_count: 0
    .wavefront_size: 32
    .workgroup_processor_mode: 1
  - .args:
      - .offset:         0
        .size:           8
        .value_kind:     by_value
      - .offset:         8
        .size:           8
        .value_kind:     by_value
      - .actual_access:  read_only
        .address_space:  global
        .offset:         16
        .size:           8
        .value_kind:     global_buffer
      - .actual_access:  read_only
        .address_space:  global
        .offset:         24
        .size:           8
        .value_kind:     global_buffer
      - .actual_access:  read_only
        .address_space:  global
        .offset:         32
        .size:           8
        .value_kind:     global_buffer
      - .actual_access:  read_only
        .address_space:  global
        .offset:         40
        .size:           8
        .value_kind:     global_buffer
      - .actual_access:  write_only
        .address_space:  global
        .offset:         48
        .size:           8
        .value_kind:     global_buffer
      - .actual_access:  read_only
        .address_space:  global
        .offset:         56
        .size:           8
        .value_kind:     global_buffer
      - .offset:         64
        .size:           4
        .value_kind:     hidden_block_count_x
      - .offset:         68
        .size:           4
        .value_kind:     hidden_block_count_y
      - .offset:         72
        .size:           4
        .value_kind:     hidden_block_count_z
      - .offset:         76
        .size:           2
        .value_kind:     hidden_group_size_x
      - .offset:         78
        .size:           2
        .value_kind:     hidden_group_size_y
      - .offset:         80
        .size:           2
        .value_kind:     hidden_group_size_z
      - .offset:         82
        .size:           2
        .value_kind:     hidden_remainder_x
      - .offset:         84
        .size:           2
        .value_kind:     hidden_remainder_y
      - .offset:         86
        .size:           2
        .value_kind:     hidden_remainder_z
      - .offset:         104
        .size:           8
        .value_kind:     hidden_global_offset_x
      - .offset:         112
        .size:           8
        .value_kind:     hidden_global_offset_y
      - .offset:         120
        .size:           8
        .value_kind:     hidden_global_offset_z
      - .offset:         128
        .size:           2
        .value_kind:     hidden_grid_dims
      - .offset:         184
        .size:           4
        .value_kind:     hidden_dynamic_lds_size
    .group_segment_fixed_size: 0
    .kernarg_segment_align: 8
    .kernarg_segment_size: 320
    .language:       OpenCL C
    .language_version:
      - 2
      - 0
    .max_flat_workgroup_size: 512
    .name:           _ZN2at6native12_GLOBAL__N_135GammaBetaBackwardCUDAKernelTemplateIddLj64ELj8ELj64ELb0ELb1ELb1EEEvllPKT_S5_PKT0_S8_PS3_S9_
    .private_segment_fixed_size: 0
    .sgpr_count:     24
    .sgpr_spill_count: 0
    .symbol:         _ZN2at6native12_GLOBAL__N_135GammaBetaBackwardCUDAKernelTemplateIddLj64ELj8ELj64ELb0ELb1ELb1EEEvllPKT_S5_PKT0_S8_PS3_S9_.kd
    .uniform_work_group_size: 1
    .uses_dynamic_stack: false
    .vgpr_count:     52
    .vgpr_spill_count: 0
    .wavefront_size: 32
    .workgroup_processor_mode: 1
  - .args:
      - .offset:         0
        .size:           8
        .value_kind:     by_value
      - .offset:         8
        .size:           8
        .value_kind:     by_value
      - .actual_access:  read_only
        .address_space:  global
        .offset:         16
        .size:           8
        .value_kind:     global_buffer
      - .actual_access:  read_only
        .address_space:  global
        .offset:         24
        .size:           8
        .value_kind:     global_buffer
      - .actual_access:  read_only
        .address_space:  global
        .offset:         32
        .size:           8
        .value_kind:     global_buffer
      - .actual_access:  read_only
        .address_space:  global
        .offset:         40
        .size:           8
        .value_kind:     global_buffer
      - .actual_access:  write_only
        .address_space:  global
        .offset:         48
        .size:           8
        .value_kind:     global_buffer
      - .actual_access:  read_only
        .address_space:  global
        .offset:         56
        .size:           8
        .value_kind:     global_buffer
      - .offset:         64
        .size:           4
        .value_kind:     hidden_block_count_x
      - .offset:         68
        .size:           4
        .value_kind:     hidden_block_count_y
      - .offset:         72
        .size:           4
        .value_kind:     hidden_block_count_z
      - .offset:         76
        .size:           2
        .value_kind:     hidden_group_size_x
      - .offset:         78
        .size:           2
        .value_kind:     hidden_group_size_y
      - .offset:         80
        .size:           2
        .value_kind:     hidden_group_size_z
      - .offset:         82
        .size:           2
        .value_kind:     hidden_remainder_x
      - .offset:         84
        .size:           2
        .value_kind:     hidden_remainder_y
      - .offset:         86
        .size:           2
        .value_kind:     hidden_remainder_z
      - .offset:         104
        .size:           8
        .value_kind:     hidden_global_offset_x
      - .offset:         112
        .size:           8
        .value_kind:     hidden_global_offset_y
      - .offset:         120
        .size:           8
        .value_kind:     hidden_global_offset_z
      - .offset:         128
        .size:           2
        .value_kind:     hidden_grid_dims
      - .offset:         184
        .size:           4
        .value_kind:     hidden_dynamic_lds_size
    .group_segment_fixed_size: 0
    .kernarg_segment_align: 8
    .kernarg_segment_size: 320
    .language:       OpenCL C
    .language_version:
      - 2
      - 0
    .max_flat_workgroup_size: 512
    .name:           _ZN2at6native12_GLOBAL__N_135GammaBetaBackwardCUDAKernelTemplateIddLj64ELj8ELj64ELb0ELb0ELb1EEEvllPKT_S5_PKT0_S8_PS3_S9_
    .private_segment_fixed_size: 0
    .sgpr_count:     32
    .sgpr_spill_count: 0
    .symbol:         _ZN2at6native12_GLOBAL__N_135GammaBetaBackwardCUDAKernelTemplateIddLj64ELj8ELj64ELb0ELb0ELb1EEEvllPKT_S5_PKT0_S8_PS3_S9_.kd
    .uniform_work_group_size: 1
    .uses_dynamic_stack: false
    .vgpr_count:     106
    .vgpr_spill_count: 0
    .wavefront_size: 32
    .workgroup_processor_mode: 1
  - .args:
      - .offset:         0
        .size:           8
        .value_kind:     by_value
      - .offset:         8
        .size:           8
        .value_kind:     by_value
      - .actual_access:  read_only
        .address_space:  global
        .offset:         16
        .size:           8
        .value_kind:     global_buffer
      - .actual_access:  read_only
        .address_space:  global
        .offset:         24
        .size:           8
        .value_kind:     global_buffer
      - .actual_access:  read_only
        .address_space:  global
        .offset:         32
        .size:           8
        .value_kind:     global_buffer
      - .actual_access:  read_only
        .address_space:  global
        .offset:         40
        .size:           8
        .value_kind:     global_buffer
      - .actual_access:  write_only
        .address_space:  global
        .offset:         48
        .size:           8
        .value_kind:     global_buffer
      - .actual_access:  read_only
        .address_space:  global
        .offset:         56
        .size:           8
        .value_kind:     global_buffer
      - .offset:         64
        .size:           4
        .value_kind:     hidden_block_count_x
      - .offset:         68
        .size:           4
        .value_kind:     hidden_block_count_y
      - .offset:         72
        .size:           4
        .value_kind:     hidden_block_count_z
      - .offset:         76
        .size:           2
        .value_kind:     hidden_group_size_x
      - .offset:         78
        .size:           2
        .value_kind:     hidden_group_size_y
      - .offset:         80
        .size:           2
        .value_kind:     hidden_group_size_z
      - .offset:         82
        .size:           2
        .value_kind:     hidden_remainder_x
      - .offset:         84
        .size:           2
        .value_kind:     hidden_remainder_y
      - .offset:         86
        .size:           2
        .value_kind:     hidden_remainder_z
      - .offset:         104
        .size:           8
        .value_kind:     hidden_global_offset_x
      - .offset:         112
        .size:           8
        .value_kind:     hidden_global_offset_y
      - .offset:         120
        .size:           8
        .value_kind:     hidden_global_offset_z
      - .offset:         128
        .size:           2
        .value_kind:     hidden_grid_dims
      - .offset:         184
        .size:           4
        .value_kind:     hidden_dynamic_lds_size
    .group_segment_fixed_size: 0
    .kernarg_segment_align: 8
    .kernarg_segment_size: 320
    .language:       OpenCL C
    .language_version:
      - 2
      - 0
    .max_flat_workgroup_size: 1024
    .name:           _ZN2at6native12_GLOBAL__N_135GammaBetaBackwardCUDAKernelTemplateIddLj64ELj16ELj128ELb0ELb1ELb1EEEvllPKT_S5_PKT0_S8_PS3_S9_
    .private_segment_fixed_size: 0
    .sgpr_count:     24
    .sgpr_spill_count: 0
    .symbol:         _ZN2at6native12_GLOBAL__N_135GammaBetaBackwardCUDAKernelTemplateIddLj64ELj16ELj128ELb0ELb1ELb1EEEvllPKT_S5_PKT0_S8_PS3_S9_.kd
    .uniform_work_group_size: 1
    .uses_dynamic_stack: false
    .vgpr_count:     52
    .vgpr_spill_count: 0
    .wavefront_size: 32
    .workgroup_processor_mode: 1
  - .args:
      - .offset:         0
        .size:           8
        .value_kind:     by_value
      - .offset:         8
        .size:           8
        .value_kind:     by_value
      - .actual_access:  read_only
        .address_space:  global
        .offset:         16
        .size:           8
        .value_kind:     global_buffer
      - .actual_access:  read_only
        .address_space:  global
        .offset:         24
        .size:           8
        .value_kind:     global_buffer
      - .actual_access:  read_only
        .address_space:  global
        .offset:         32
        .size:           8
        .value_kind:     global_buffer
      - .actual_access:  read_only
        .address_space:  global
        .offset:         40
        .size:           8
        .value_kind:     global_buffer
      - .actual_access:  write_only
        .address_space:  global
        .offset:         48
        .size:           8
        .value_kind:     global_buffer
      - .actual_access:  read_only
        .address_space:  global
        .offset:         56
        .size:           8
        .value_kind:     global_buffer
      - .offset:         64
        .size:           4
        .value_kind:     hidden_block_count_x
      - .offset:         68
        .size:           4
        .value_kind:     hidden_block_count_y
      - .offset:         72
        .size:           4
        .value_kind:     hidden_block_count_z
      - .offset:         76
        .size:           2
        .value_kind:     hidden_group_size_x
      - .offset:         78
        .size:           2
        .value_kind:     hidden_group_size_y
      - .offset:         80
        .size:           2
        .value_kind:     hidden_group_size_z
      - .offset:         82
        .size:           2
        .value_kind:     hidden_remainder_x
      - .offset:         84
        .size:           2
        .value_kind:     hidden_remainder_y
      - .offset:         86
        .size:           2
        .value_kind:     hidden_remainder_z
      - .offset:         104
        .size:           8
        .value_kind:     hidden_global_offset_x
      - .offset:         112
        .size:           8
        .value_kind:     hidden_global_offset_y
      - .offset:         120
        .size:           8
        .value_kind:     hidden_global_offset_z
      - .offset:         128
        .size:           2
        .value_kind:     hidden_grid_dims
      - .offset:         184
        .size:           4
        .value_kind:     hidden_dynamic_lds_size
    .group_segment_fixed_size: 0
    .kernarg_segment_align: 8
    .kernarg_segment_size: 320
    .language:       OpenCL C
    .language_version:
      - 2
      - 0
    .max_flat_workgroup_size: 1024
    .name:           _ZN2at6native12_GLOBAL__N_135GammaBetaBackwardCUDAKernelTemplateIddLj64ELj16ELj128ELb0ELb0ELb1EEEvllPKT_S5_PKT0_S8_PS3_S9_
    .private_segment_fixed_size: 0
    .sgpr_count:     32
    .sgpr_spill_count: 0
    .symbol:         _ZN2at6native12_GLOBAL__N_135GammaBetaBackwardCUDAKernelTemplateIddLj64ELj16ELj128ELb0ELb0ELb1EEEvllPKT_S5_PKT0_S8_PS3_S9_.kd
    .uniform_work_group_size: 1
    .uses_dynamic_stack: false
    .vgpr_count:     106
    .vgpr_spill_count: 0
    .wavefront_size: 32
    .workgroup_processor_mode: 1
  - .args:
      - .offset:         0
        .size:           8
        .value_kind:     by_value
      - .offset:         8
        .size:           8
        .value_kind:     by_value
      - .actual_access:  read_only
        .address_space:  global
        .offset:         16
        .size:           8
        .value_kind:     global_buffer
      - .actual_access:  read_only
        .address_space:  global
        .offset:         24
        .size:           8
        .value_kind:     global_buffer
      - .actual_access:  read_only
        .address_space:  global
        .offset:         32
        .size:           8
        .value_kind:     global_buffer
      - .actual_access:  read_only
        .address_space:  global
        .offset:         40
        .size:           8
        .value_kind:     global_buffer
      - .actual_access:  write_only
        .address_space:  global
        .offset:         48
        .size:           8
        .value_kind:     global_buffer
      - .actual_access:  read_only
        .address_space:  global
        .offset:         56
        .size:           8
        .value_kind:     global_buffer
      - .offset:         64
        .size:           4
        .value_kind:     hidden_block_count_x
      - .offset:         68
        .size:           4
        .value_kind:     hidden_block_count_y
      - .offset:         72
        .size:           4
        .value_kind:     hidden_block_count_z
      - .offset:         76
        .size:           2
        .value_kind:     hidden_group_size_x
      - .offset:         78
        .size:           2
        .value_kind:     hidden_group_size_y
      - .offset:         80
        .size:           2
        .value_kind:     hidden_group_size_z
      - .offset:         82
        .size:           2
        .value_kind:     hidden_remainder_x
      - .offset:         84
        .size:           2
        .value_kind:     hidden_remainder_y
      - .offset:         86
        .size:           2
        .value_kind:     hidden_remainder_z
      - .offset:         104
        .size:           8
        .value_kind:     hidden_global_offset_x
      - .offset:         112
        .size:           8
        .value_kind:     hidden_global_offset_y
      - .offset:         120
        .size:           8
        .value_kind:     hidden_global_offset_z
      - .offset:         128
        .size:           2
        .value_kind:     hidden_grid_dims
      - .offset:         184
        .size:           4
        .value_kind:     hidden_dynamic_lds_size
    .group_segment_fixed_size: 0
    .kernarg_segment_align: 8
    .kernarg_segment_size: 320
    .language:       OpenCL C
    .language_version:
      - 2
      - 0
    .max_flat_workgroup_size: 1024
    .name:           _ZN2at6native12_GLOBAL__N_135GammaBetaBackwardCUDAKernelTemplateIddLj64ELj16ELj256ELb0ELb1ELb1EEEvllPKT_S5_PKT0_S8_PS3_S9_
    .private_segment_fixed_size: 0
    .sgpr_count:     24
    .sgpr_spill_count: 0
    .symbol:         _ZN2at6native12_GLOBAL__N_135GammaBetaBackwardCUDAKernelTemplateIddLj64ELj16ELj256ELb0ELb1ELb1EEEvllPKT_S5_PKT0_S8_PS3_S9_.kd
    .uniform_work_group_size: 1
    .uses_dynamic_stack: false
    .vgpr_count:     60
    .vgpr_spill_count: 0
    .wavefront_size: 32
    .workgroup_processor_mode: 1
  - .args:
      - .offset:         0
        .size:           8
        .value_kind:     by_value
      - .offset:         8
        .size:           8
        .value_kind:     by_value
      - .actual_access:  read_only
        .address_space:  global
        .offset:         16
        .size:           8
        .value_kind:     global_buffer
      - .actual_access:  read_only
        .address_space:  global
        .offset:         24
        .size:           8
        .value_kind:     global_buffer
      - .actual_access:  read_only
        .address_space:  global
        .offset:         32
        .size:           8
        .value_kind:     global_buffer
      - .actual_access:  read_only
        .address_space:  global
        .offset:         40
        .size:           8
        .value_kind:     global_buffer
      - .actual_access:  write_only
        .address_space:  global
        .offset:         48
        .size:           8
        .value_kind:     global_buffer
      - .actual_access:  read_only
        .address_space:  global
        .offset:         56
        .size:           8
        .value_kind:     global_buffer
      - .offset:         64
        .size:           4
        .value_kind:     hidden_block_count_x
      - .offset:         68
        .size:           4
        .value_kind:     hidden_block_count_y
      - .offset:         72
        .size:           4
        .value_kind:     hidden_block_count_z
      - .offset:         76
        .size:           2
        .value_kind:     hidden_group_size_x
      - .offset:         78
        .size:           2
        .value_kind:     hidden_group_size_y
      - .offset:         80
        .size:           2
        .value_kind:     hidden_group_size_z
      - .offset:         82
        .size:           2
        .value_kind:     hidden_remainder_x
      - .offset:         84
        .size:           2
        .value_kind:     hidden_remainder_y
      - .offset:         86
        .size:           2
        .value_kind:     hidden_remainder_z
      - .offset:         104
        .size:           8
        .value_kind:     hidden_global_offset_x
      - .offset:         112
        .size:           8
        .value_kind:     hidden_global_offset_y
      - .offset:         120
        .size:           8
        .value_kind:     hidden_global_offset_z
      - .offset:         128
        .size:           2
        .value_kind:     hidden_grid_dims
      - .offset:         184
        .size:           4
        .value_kind:     hidden_dynamic_lds_size
    .group_segment_fixed_size: 0
    .kernarg_segment_align: 8
    .kernarg_segment_size: 320
    .language:       OpenCL C
    .language_version:
      - 2
      - 0
    .max_flat_workgroup_size: 1024
    .name:           _ZN2at6native12_GLOBAL__N_135GammaBetaBackwardCUDAKernelTemplateIddLj64ELj16ELj256ELb0ELb0ELb1EEEvllPKT_S5_PKT0_S8_PS3_S9_
    .private_segment_fixed_size: 316
    .sgpr_count:     42
    .sgpr_spill_count: 0
    .symbol:         _ZN2at6native12_GLOBAL__N_135GammaBetaBackwardCUDAKernelTemplateIddLj64ELj16ELj256ELb0ELb0ELb1EEEvllPKT_S5_PKT0_S8_PS3_S9_.kd
    .uniform_work_group_size: 1
    .uses_dynamic_stack: false
    .vgpr_count:     128
    .vgpr_spill_count: 181
    .wavefront_size: 32
    .workgroup_processor_mode: 1
  - .args:
      - .offset:         0
        .size:           8
        .value_kind:     by_value
      - .offset:         8
        .size:           8
        .value_kind:     by_value
      - .actual_access:  read_only
        .address_space:  global
        .offset:         16
        .size:           8
        .value_kind:     global_buffer
      - .actual_access:  read_only
        .address_space:  global
        .offset:         24
        .size:           8
        .value_kind:     global_buffer
      - .actual_access:  read_only
        .address_space:  global
        .offset:         32
        .size:           8
        .value_kind:     global_buffer
      - .actual_access:  read_only
        .address_space:  global
        .offset:         40
        .size:           8
        .value_kind:     global_buffer
      - .actual_access:  write_only
        .address_space:  global
        .offset:         48
        .size:           8
        .value_kind:     global_buffer
      - .actual_access:  read_only
        .address_space:  global
        .offset:         56
        .size:           8
        .value_kind:     global_buffer
      - .offset:         64
        .size:           4
        .value_kind:     hidden_block_count_x
      - .offset:         68
        .size:           4
        .value_kind:     hidden_block_count_y
      - .offset:         72
        .size:           4
        .value_kind:     hidden_block_count_z
      - .offset:         76
        .size:           2
        .value_kind:     hidden_group_size_x
      - .offset:         78
        .size:           2
        .value_kind:     hidden_group_size_y
      - .offset:         80
        .size:           2
        .value_kind:     hidden_group_size_z
      - .offset:         82
        .size:           2
        .value_kind:     hidden_remainder_x
      - .offset:         84
        .size:           2
        .value_kind:     hidden_remainder_y
      - .offset:         86
        .size:           2
        .value_kind:     hidden_remainder_z
      - .offset:         104
        .size:           8
        .value_kind:     hidden_global_offset_x
      - .offset:         112
        .size:           8
        .value_kind:     hidden_global_offset_y
      - .offset:         120
        .size:           8
        .value_kind:     hidden_global_offset_z
      - .offset:         128
        .size:           2
        .value_kind:     hidden_grid_dims
    .group_segment_fixed_size: 0
    .kernarg_segment_align: 8
    .kernarg_segment_size: 320
    .language:       OpenCL C
    .language_version:
      - 2
      - 0
    .max_flat_workgroup_size: 32
    .name:           _ZN2at6native12_GLOBAL__N_135GammaBetaBackwardCUDAKernelTemplateIddLj32ELj1ELj32ELb1ELb1ELb1EEEvllPKT_S5_PKT0_S8_PS3_S9_
    .private_segment_fixed_size: 0
    .sgpr_count:     26
    .sgpr_spill_count: 0
    .symbol:         _ZN2at6native12_GLOBAL__N_135GammaBetaBackwardCUDAKernelTemplateIddLj32ELj1ELj32ELb1ELb1ELb1EEEvllPKT_S5_PKT0_S8_PS3_S9_.kd
    .uniform_work_group_size: 1
    .uses_dynamic_stack: false
    .vgpr_count:     60
    .vgpr_spill_count: 0
    .wavefront_size: 32
    .workgroup_processor_mode: 1
  - .args:
      - .offset:         0
        .size:           8
        .value_kind:     by_value
      - .offset:         8
        .size:           8
        .value_kind:     by_value
      - .actual_access:  read_only
        .address_space:  global
        .offset:         16
        .size:           8
        .value_kind:     global_buffer
      - .actual_access:  read_only
        .address_space:  global
        .offset:         24
        .size:           8
        .value_kind:     global_buffer
      - .actual_access:  read_only
        .address_space:  global
        .offset:         32
        .size:           8
        .value_kind:     global_buffer
      - .actual_access:  read_only
        .address_space:  global
        .offset:         40
        .size:           8
        .value_kind:     global_buffer
      - .actual_access:  write_only
        .address_space:  global
        .offset:         48
        .size:           8
        .value_kind:     global_buffer
      - .actual_access:  read_only
        .address_space:  global
        .offset:         56
        .size:           8
        .value_kind:     global_buffer
      - .offset:         64
        .size:           4
        .value_kind:     hidden_block_count_x
      - .offset:         68
        .size:           4
        .value_kind:     hidden_block_count_y
      - .offset:         72
        .size:           4
        .value_kind:     hidden_block_count_z
      - .offset:         76
        .size:           2
        .value_kind:     hidden_group_size_x
      - .offset:         78
        .size:           2
        .value_kind:     hidden_group_size_y
      - .offset:         80
        .size:           2
        .value_kind:     hidden_group_size_z
      - .offset:         82
        .size:           2
        .value_kind:     hidden_remainder_x
      - .offset:         84
        .size:           2
        .value_kind:     hidden_remainder_y
      - .offset:         86
        .size:           2
        .value_kind:     hidden_remainder_z
      - .offset:         104
        .size:           8
        .value_kind:     hidden_global_offset_x
      - .offset:         112
        .size:           8
        .value_kind:     hidden_global_offset_y
      - .offset:         120
        .size:           8
        .value_kind:     hidden_global_offset_z
      - .offset:         128
        .size:           2
        .value_kind:     hidden_grid_dims
    .group_segment_fixed_size: 0
    .kernarg_segment_align: 8
    .kernarg_segment_size: 320
    .language:       OpenCL C
    .language_version:
      - 2
      - 0
    .max_flat_workgroup_size: 32
    .name:           _ZN2at6native12_GLOBAL__N_135GammaBetaBackwardCUDAKernelTemplateIddLj32ELj1ELj32ELb1ELb0ELb1EEEvllPKT_S5_PKT0_S8_PS3_S9_
    .private_segment_fixed_size: 592
    .sgpr_count:     42
    .sgpr_spill_count: 0
    .symbol:         _ZN2at6native12_GLOBAL__N_135GammaBetaBackwardCUDAKernelTemplateIddLj32ELj1ELj32ELb1ELb0ELb1EEEvllPKT_S5_PKT0_S8_PS3_S9_.kd
    .uniform_work_group_size: 1
    .uses_dynamic_stack: false
    .vgpr_count:     256
    .vgpr_spill_count: 325
    .wavefront_size: 32
    .workgroup_processor_mode: 1
  - .args:
      - .offset:         0
        .size:           8
        .value_kind:     by_value
      - .offset:         8
        .size:           8
        .value_kind:     by_value
      - .actual_access:  read_only
        .address_space:  global
        .offset:         16
        .size:           8
        .value_kind:     global_buffer
      - .actual_access:  read_only
        .address_space:  global
        .offset:         24
        .size:           8
        .value_kind:     global_buffer
      - .actual_access:  read_only
        .address_space:  global
        .offset:         32
        .size:           8
        .value_kind:     global_buffer
      - .actual_access:  read_only
        .address_space:  global
        .offset:         40
        .size:           8
        .value_kind:     global_buffer
      - .actual_access:  write_only
        .address_space:  global
        .offset:         48
        .size:           8
        .value_kind:     global_buffer
      - .actual_access:  read_only
        .address_space:  global
        .offset:         56
        .size:           8
        .value_kind:     global_buffer
      - .offset:         64
        .size:           4
        .value_kind:     hidden_block_count_x
      - .offset:         68
        .size:           4
        .value_kind:     hidden_block_count_y
      - .offset:         72
        .size:           4
        .value_kind:     hidden_block_count_z
      - .offset:         76
        .size:           2
        .value_kind:     hidden_group_size_x
      - .offset:         78
        .size:           2
        .value_kind:     hidden_group_size_y
      - .offset:         80
        .size:           2
        .value_kind:     hidden_group_size_z
      - .offset:         82
        .size:           2
        .value_kind:     hidden_remainder_x
      - .offset:         84
        .size:           2
        .value_kind:     hidden_remainder_y
      - .offset:         86
        .size:           2
        .value_kind:     hidden_remainder_z
      - .offset:         104
        .size:           8
        .value_kind:     hidden_global_offset_x
      - .offset:         112
        .size:           8
        .value_kind:     hidden_global_offset_y
      - .offset:         120
        .size:           8
        .value_kind:     hidden_global_offset_z
      - .offset:         128
        .size:           2
        .value_kind:     hidden_grid_dims
    .group_segment_fixed_size: 0
    .kernarg_segment_align: 8
    .kernarg_segment_size: 320
    .language:       OpenCL C
    .language_version:
      - 2
      - 0
    .max_flat_workgroup_size: 32
    .name:           _ZN2at6native12_GLOBAL__N_135GammaBetaBackwardCUDAKernelTemplateIddLj32ELj1ELj8ELb1ELb1ELb1EEEvllPKT_S5_PKT0_S8_PS3_S9_
    .private_segment_fixed_size: 0
    .sgpr_count:     28
    .sgpr_spill_count: 0
    .symbol:         _ZN2at6native12_GLOBAL__N_135GammaBetaBackwardCUDAKernelTemplateIddLj32ELj1ELj8ELb1ELb1ELb1EEEvllPKT_S5_PKT0_S8_PS3_S9_.kd
    .uniform_work_group_size: 1
    .uses_dynamic_stack: false
    .vgpr_count:     52
    .vgpr_spill_count: 0
    .wavefront_size: 32
    .workgroup_processor_mode: 1
  - .args:
      - .offset:         0
        .size:           8
        .value_kind:     by_value
      - .offset:         8
        .size:           8
        .value_kind:     by_value
      - .actual_access:  read_only
        .address_space:  global
        .offset:         16
        .size:           8
        .value_kind:     global_buffer
      - .actual_access:  read_only
        .address_space:  global
        .offset:         24
        .size:           8
        .value_kind:     global_buffer
      - .actual_access:  read_only
        .address_space:  global
        .offset:         32
        .size:           8
        .value_kind:     global_buffer
      - .actual_access:  read_only
        .address_space:  global
        .offset:         40
        .size:           8
        .value_kind:     global_buffer
      - .actual_access:  write_only
        .address_space:  global
        .offset:         48
        .size:           8
        .value_kind:     global_buffer
      - .actual_access:  read_only
        .address_space:  global
        .offset:         56
        .size:           8
        .value_kind:     global_buffer
      - .offset:         64
        .size:           4
        .value_kind:     hidden_block_count_x
      - .offset:         68
        .size:           4
        .value_kind:     hidden_block_count_y
      - .offset:         72
        .size:           4
        .value_kind:     hidden_block_count_z
      - .offset:         76
        .size:           2
        .value_kind:     hidden_group_size_x
      - .offset:         78
        .size:           2
        .value_kind:     hidden_group_size_y
      - .offset:         80
        .size:           2
        .value_kind:     hidden_group_size_z
      - .offset:         82
        .size:           2
        .value_kind:     hidden_remainder_x
      - .offset:         84
        .size:           2
        .value_kind:     hidden_remainder_y
      - .offset:         86
        .size:           2
        .value_kind:     hidden_remainder_z
      - .offset:         104
        .size:           8
        .value_kind:     hidden_global_offset_x
      - .offset:         112
        .size:           8
        .value_kind:     hidden_global_offset_y
      - .offset:         120
        .size:           8
        .value_kind:     hidden_global_offset_z
      - .offset:         128
        .size:           2
        .value_kind:     hidden_grid_dims
    .group_segment_fixed_size: 0
    .kernarg_segment_align: 8
    .kernarg_segment_size: 320
    .language:       OpenCL C
    .language_version:
      - 2
      - 0
    .max_flat_workgroup_size: 32
    .name:           _ZN2at6native12_GLOBAL__N_135GammaBetaBackwardCUDAKernelTemplateIddLj32ELj1ELj8ELb1ELb0ELb1EEEvllPKT_S5_PKT0_S8_PS3_S9_
    .private_segment_fixed_size: 0
    .sgpr_count:     32
    .sgpr_spill_count: 0
    .symbol:         _ZN2at6native12_GLOBAL__N_135GammaBetaBackwardCUDAKernelTemplateIddLj32ELj1ELj8ELb1ELb0ELb1EEEvllPKT_S5_PKT0_S8_PS3_S9_.kd
    .uniform_work_group_size: 1
    .uses_dynamic_stack: false
    .vgpr_count:     107
    .vgpr_spill_count: 0
    .wavefront_size: 32
    .workgroup_processor_mode: 1
  - .args:
      - .offset:         0
        .size:           8
        .value_kind:     by_value
      - .offset:         8
        .size:           8
        .value_kind:     by_value
      - .actual_access:  read_only
        .address_space:  global
        .offset:         16
        .size:           8
        .value_kind:     global_buffer
      - .actual_access:  read_only
        .address_space:  global
        .offset:         24
        .size:           8
        .value_kind:     global_buffer
      - .actual_access:  read_only
        .address_space:  global
        .offset:         32
        .size:           8
        .value_kind:     global_buffer
      - .actual_access:  read_only
        .address_space:  global
        .offset:         40
        .size:           8
        .value_kind:     global_buffer
      - .actual_access:  write_only
        .address_space:  global
        .offset:         48
        .size:           8
        .value_kind:     global_buffer
      - .actual_access:  read_only
        .address_space:  global
        .offset:         56
        .size:           8
        .value_kind:     global_buffer
      - .offset:         64
        .size:           4
        .value_kind:     hidden_block_count_x
      - .offset:         68
        .size:           4
        .value_kind:     hidden_block_count_y
      - .offset:         72
        .size:           4
        .value_kind:     hidden_block_count_z
      - .offset:         76
        .size:           2
        .value_kind:     hidden_group_size_x
      - .offset:         78
        .size:           2
        .value_kind:     hidden_group_size_y
      - .offset:         80
        .size:           2
        .value_kind:     hidden_group_size_z
      - .offset:         82
        .size:           2
        .value_kind:     hidden_remainder_x
      - .offset:         84
        .size:           2
        .value_kind:     hidden_remainder_y
      - .offset:         86
        .size:           2
        .value_kind:     hidden_remainder_z
      - .offset:         104
        .size:           8
        .value_kind:     hidden_global_offset_x
      - .offset:         112
        .size:           8
        .value_kind:     hidden_global_offset_y
      - .offset:         120
        .size:           8
        .value_kind:     hidden_global_offset_z
      - .offset:         128
        .size:           2
        .value_kind:     hidden_grid_dims
      - .offset:         184
        .size:           4
        .value_kind:     hidden_dynamic_lds_size
    .group_segment_fixed_size: 0
    .kernarg_segment_align: 8
    .kernarg_segment_size: 320
    .language:       OpenCL C
    .language_version:
      - 2
      - 0
    .max_flat_workgroup_size: 256
    .name:           _ZN2at6native12_GLOBAL__N_135GammaBetaBackwardCUDAKernelTemplateIddLj32ELj8ELj64ELb0ELb1ELb1EEEvllPKT_S5_PKT0_S8_PS3_S9_
    .private_segment_fixed_size: 0
    .sgpr_count:     24
    .sgpr_spill_count: 0
    .symbol:         _ZN2at6native12_GLOBAL__N_135GammaBetaBackwardCUDAKernelTemplateIddLj32ELj8ELj64ELb0ELb1ELb1EEEvllPKT_S5_PKT0_S8_PS3_S9_.kd
    .uniform_work_group_size: 1
    .uses_dynamic_stack: false
    .vgpr_count:     52
    .vgpr_spill_count: 0
    .wavefront_size: 32
    .workgroup_processor_mode: 1
  - .args:
      - .offset:         0
        .size:           8
        .value_kind:     by_value
      - .offset:         8
        .size:           8
        .value_kind:     by_value
      - .actual_access:  read_only
        .address_space:  global
        .offset:         16
        .size:           8
        .value_kind:     global_buffer
      - .actual_access:  read_only
        .address_space:  global
        .offset:         24
        .size:           8
        .value_kind:     global_buffer
      - .actual_access:  read_only
        .address_space:  global
        .offset:         32
        .size:           8
        .value_kind:     global_buffer
      - .actual_access:  read_only
        .address_space:  global
        .offset:         40
        .size:           8
        .value_kind:     global_buffer
      - .actual_access:  write_only
        .address_space:  global
        .offset:         48
        .size:           8
        .value_kind:     global_buffer
      - .actual_access:  read_only
        .address_space:  global
        .offset:         56
        .size:           8
        .value_kind:     global_buffer
      - .offset:         64
        .size:           4
        .value_kind:     hidden_block_count_x
      - .offset:         68
        .size:           4
        .value_kind:     hidden_block_count_y
      - .offset:         72
        .size:           4
        .value_kind:     hidden_block_count_z
      - .offset:         76
        .size:           2
        .value_kind:     hidden_group_size_x
      - .offset:         78
        .size:           2
        .value_kind:     hidden_group_size_y
      - .offset:         80
        .size:           2
        .value_kind:     hidden_group_size_z
      - .offset:         82
        .size:           2
        .value_kind:     hidden_remainder_x
      - .offset:         84
        .size:           2
        .value_kind:     hidden_remainder_y
      - .offset:         86
        .size:           2
        .value_kind:     hidden_remainder_z
      - .offset:         104
        .size:           8
        .value_kind:     hidden_global_offset_x
      - .offset:         112
        .size:           8
        .value_kind:     hidden_global_offset_y
      - .offset:         120
        .size:           8
        .value_kind:     hidden_global_offset_z
      - .offset:         128
        .size:           2
        .value_kind:     hidden_grid_dims
      - .offset:         184
        .size:           4
        .value_kind:     hidden_dynamic_lds_size
    .group_segment_fixed_size: 0
    .kernarg_segment_align: 8
    .kernarg_segment_size: 320
    .language:       OpenCL C
    .language_version:
      - 2
      - 0
    .max_flat_workgroup_size: 256
    .name:           _ZN2at6native12_GLOBAL__N_135GammaBetaBackwardCUDAKernelTemplateIddLj32ELj8ELj64ELb0ELb0ELb1EEEvllPKT_S5_PKT0_S8_PS3_S9_
    .private_segment_fixed_size: 0
    .sgpr_count:     32
    .sgpr_spill_count: 0
    .symbol:         _ZN2at6native12_GLOBAL__N_135GammaBetaBackwardCUDAKernelTemplateIddLj32ELj8ELj64ELb0ELb0ELb1EEEvllPKT_S5_PKT0_S8_PS3_S9_.kd
    .uniform_work_group_size: 1
    .uses_dynamic_stack: false
    .vgpr_count:     106
    .vgpr_spill_count: 0
    .wavefront_size: 32
    .workgroup_processor_mode: 1
  - .args:
      - .offset:         0
        .size:           8
        .value_kind:     by_value
      - .offset:         8
        .size:           8
        .value_kind:     by_value
      - .actual_access:  read_only
        .address_space:  global
        .offset:         16
        .size:           8
        .value_kind:     global_buffer
      - .actual_access:  read_only
        .address_space:  global
        .offset:         24
        .size:           8
        .value_kind:     global_buffer
      - .actual_access:  read_only
        .address_space:  global
        .offset:         32
        .size:           8
        .value_kind:     global_buffer
      - .actual_access:  read_only
        .address_space:  global
        .offset:         40
        .size:           8
        .value_kind:     global_buffer
      - .actual_access:  write_only
        .address_space:  global
        .offset:         48
        .size:           8
        .value_kind:     global_buffer
      - .actual_access:  read_only
        .address_space:  global
        .offset:         56
        .size:           8
        .value_kind:     global_buffer
      - .offset:         64
        .size:           4
        .value_kind:     hidden_block_count_x
      - .offset:         68
        .size:           4
        .value_kind:     hidden_block_count_y
      - .offset:         72
        .size:           4
        .value_kind:     hidden_block_count_z
      - .offset:         76
        .size:           2
        .value_kind:     hidden_group_size_x
      - .offset:         78
        .size:           2
        .value_kind:     hidden_group_size_y
      - .offset:         80
        .size:           2
        .value_kind:     hidden_group_size_z
      - .offset:         82
        .size:           2
        .value_kind:     hidden_remainder_x
      - .offset:         84
        .size:           2
        .value_kind:     hidden_remainder_y
      - .offset:         86
        .size:           2
        .value_kind:     hidden_remainder_z
      - .offset:         104
        .size:           8
        .value_kind:     hidden_global_offset_x
      - .offset:         112
        .size:           8
        .value_kind:     hidden_global_offset_y
      - .offset:         120
        .size:           8
        .value_kind:     hidden_global_offset_z
      - .offset:         128
        .size:           2
        .value_kind:     hidden_grid_dims
      - .offset:         184
        .size:           4
        .value_kind:     hidden_dynamic_lds_size
    .group_segment_fixed_size: 0
    .kernarg_segment_align: 8
    .kernarg_segment_size: 320
    .language:       OpenCL C
    .language_version:
      - 2
      - 0
    .max_flat_workgroup_size: 512
    .name:           _ZN2at6native12_GLOBAL__N_135GammaBetaBackwardCUDAKernelTemplateIddLj32ELj16ELj128ELb0ELb1ELb1EEEvllPKT_S5_PKT0_S8_PS3_S9_
    .private_segment_fixed_size: 0
    .sgpr_count:     24
    .sgpr_spill_count: 0
    .symbol:         _ZN2at6native12_GLOBAL__N_135GammaBetaBackwardCUDAKernelTemplateIddLj32ELj16ELj128ELb0ELb1ELb1EEEvllPKT_S5_PKT0_S8_PS3_S9_.kd
    .uniform_work_group_size: 1
    .uses_dynamic_stack: false
    .vgpr_count:     52
    .vgpr_spill_count: 0
    .wavefront_size: 32
    .workgroup_processor_mode: 1
  - .args:
      - .offset:         0
        .size:           8
        .value_kind:     by_value
      - .offset:         8
        .size:           8
        .value_kind:     by_value
      - .actual_access:  read_only
        .address_space:  global
        .offset:         16
        .size:           8
        .value_kind:     global_buffer
      - .actual_access:  read_only
        .address_space:  global
        .offset:         24
        .size:           8
        .value_kind:     global_buffer
      - .actual_access:  read_only
        .address_space:  global
        .offset:         32
        .size:           8
        .value_kind:     global_buffer
      - .actual_access:  read_only
        .address_space:  global
        .offset:         40
        .size:           8
        .value_kind:     global_buffer
      - .actual_access:  write_only
        .address_space:  global
        .offset:         48
        .size:           8
        .value_kind:     global_buffer
      - .actual_access:  read_only
        .address_space:  global
        .offset:         56
        .size:           8
        .value_kind:     global_buffer
      - .offset:         64
        .size:           4
        .value_kind:     hidden_block_count_x
      - .offset:         68
        .size:           4
        .value_kind:     hidden_block_count_y
      - .offset:         72
        .size:           4
        .value_kind:     hidden_block_count_z
      - .offset:         76
        .size:           2
        .value_kind:     hidden_group_size_x
      - .offset:         78
        .size:           2
        .value_kind:     hidden_group_size_y
      - .offset:         80
        .size:           2
        .value_kind:     hidden_group_size_z
      - .offset:         82
        .size:           2
        .value_kind:     hidden_remainder_x
      - .offset:         84
        .size:           2
        .value_kind:     hidden_remainder_y
      - .offset:         86
        .size:           2
        .value_kind:     hidden_remainder_z
      - .offset:         104
        .size:           8
        .value_kind:     hidden_global_offset_x
      - .offset:         112
        .size:           8
        .value_kind:     hidden_global_offset_y
      - .offset:         120
        .size:           8
        .value_kind:     hidden_global_offset_z
      - .offset:         128
        .size:           2
        .value_kind:     hidden_grid_dims
      - .offset:         184
        .size:           4
        .value_kind:     hidden_dynamic_lds_size
    .group_segment_fixed_size: 0
    .kernarg_segment_align: 8
    .kernarg_segment_size: 320
    .language:       OpenCL C
    .language_version:
      - 2
      - 0
    .max_flat_workgroup_size: 512
    .name:           _ZN2at6native12_GLOBAL__N_135GammaBetaBackwardCUDAKernelTemplateIddLj32ELj16ELj128ELb0ELb0ELb1EEEvllPKT_S5_PKT0_S8_PS3_S9_
    .private_segment_fixed_size: 0
    .sgpr_count:     32
    .sgpr_spill_count: 0
    .symbol:         _ZN2at6native12_GLOBAL__N_135GammaBetaBackwardCUDAKernelTemplateIddLj32ELj16ELj128ELb0ELb0ELb1EEEvllPKT_S5_PKT0_S8_PS3_S9_.kd
    .uniform_work_group_size: 1
    .uses_dynamic_stack: false
    .vgpr_count:     106
    .vgpr_spill_count: 0
    .wavefront_size: 32
    .workgroup_processor_mode: 1
  - .args:
      - .offset:         0
        .size:           8
        .value_kind:     by_value
      - .offset:         8
        .size:           8
        .value_kind:     by_value
      - .actual_access:  read_only
        .address_space:  global
        .offset:         16
        .size:           8
        .value_kind:     global_buffer
      - .actual_access:  read_only
        .address_space:  global
        .offset:         24
        .size:           8
        .value_kind:     global_buffer
      - .actual_access:  read_only
        .address_space:  global
        .offset:         32
        .size:           8
        .value_kind:     global_buffer
      - .actual_access:  read_only
        .address_space:  global
        .offset:         40
        .size:           8
        .value_kind:     global_buffer
      - .actual_access:  write_only
        .address_space:  global
        .offset:         48
        .size:           8
        .value_kind:     global_buffer
      - .actual_access:  read_only
        .address_space:  global
        .offset:         56
        .size:           8
        .value_kind:     global_buffer
      - .offset:         64
        .size:           4
        .value_kind:     hidden_block_count_x
      - .offset:         68
        .size:           4
        .value_kind:     hidden_block_count_y
      - .offset:         72
        .size:           4
        .value_kind:     hidden_block_count_z
      - .offset:         76
        .size:           2
        .value_kind:     hidden_group_size_x
      - .offset:         78
        .size:           2
        .value_kind:     hidden_group_size_y
      - .offset:         80
        .size:           2
        .value_kind:     hidden_group_size_z
      - .offset:         82
        .size:           2
        .value_kind:     hidden_remainder_x
      - .offset:         84
        .size:           2
        .value_kind:     hidden_remainder_y
      - .offset:         86
        .size:           2
        .value_kind:     hidden_remainder_z
      - .offset:         104
        .size:           8
        .value_kind:     hidden_global_offset_x
      - .offset:         112
        .size:           8
        .value_kind:     hidden_global_offset_y
      - .offset:         120
        .size:           8
        .value_kind:     hidden_global_offset_z
      - .offset:         128
        .size:           2
        .value_kind:     hidden_grid_dims
      - .offset:         184
        .size:           4
        .value_kind:     hidden_dynamic_lds_size
    .group_segment_fixed_size: 0
    .kernarg_segment_align: 8
    .kernarg_segment_size: 320
    .language:       OpenCL C
    .language_version:
      - 2
      - 0
    .max_flat_workgroup_size: 1024
    .name:           _ZN2at6native12_GLOBAL__N_135GammaBetaBackwardCUDAKernelTemplateIddLj32ELj32ELj256ELb0ELb1ELb1EEEvllPKT_S5_PKT0_S8_PS3_S9_
    .private_segment_fixed_size: 0
    .sgpr_count:     24
    .sgpr_spill_count: 0
    .symbol:         _ZN2at6native12_GLOBAL__N_135GammaBetaBackwardCUDAKernelTemplateIddLj32ELj32ELj256ELb0ELb1ELb1EEEvllPKT_S5_PKT0_S8_PS3_S9_.kd
    .uniform_work_group_size: 1
    .uses_dynamic_stack: false
    .vgpr_count:     52
    .vgpr_spill_count: 0
    .wavefront_size: 32
    .workgroup_processor_mode: 1
  - .args:
      - .offset:         0
        .size:           8
        .value_kind:     by_value
      - .offset:         8
        .size:           8
        .value_kind:     by_value
      - .actual_access:  read_only
        .address_space:  global
        .offset:         16
        .size:           8
        .value_kind:     global_buffer
      - .actual_access:  read_only
        .address_space:  global
        .offset:         24
        .size:           8
        .value_kind:     global_buffer
      - .actual_access:  read_only
        .address_space:  global
        .offset:         32
        .size:           8
        .value_kind:     global_buffer
      - .actual_access:  read_only
        .address_space:  global
        .offset:         40
        .size:           8
        .value_kind:     global_buffer
      - .actual_access:  write_only
        .address_space:  global
        .offset:         48
        .size:           8
        .value_kind:     global_buffer
      - .actual_access:  read_only
        .address_space:  global
        .offset:         56
        .size:           8
        .value_kind:     global_buffer
      - .offset:         64
        .size:           4
        .value_kind:     hidden_block_count_x
      - .offset:         68
        .size:           4
        .value_kind:     hidden_block_count_y
      - .offset:         72
        .size:           4
        .value_kind:     hidden_block_count_z
      - .offset:         76
        .size:           2
        .value_kind:     hidden_group_size_x
      - .offset:         78
        .size:           2
        .value_kind:     hidden_group_size_y
      - .offset:         80
        .size:           2
        .value_kind:     hidden_group_size_z
      - .offset:         82
        .size:           2
        .value_kind:     hidden_remainder_x
      - .offset:         84
        .size:           2
        .value_kind:     hidden_remainder_y
      - .offset:         86
        .size:           2
        .value_kind:     hidden_remainder_z
      - .offset:         104
        .size:           8
        .value_kind:     hidden_global_offset_x
      - .offset:         112
        .size:           8
        .value_kind:     hidden_global_offset_y
      - .offset:         120
        .size:           8
        .value_kind:     hidden_global_offset_z
      - .offset:         128
        .size:           2
        .value_kind:     hidden_grid_dims
      - .offset:         184
        .size:           4
        .value_kind:     hidden_dynamic_lds_size
    .group_segment_fixed_size: 0
    .kernarg_segment_align: 8
    .kernarg_segment_size: 320
    .language:       OpenCL C
    .language_version:
      - 2
      - 0
    .max_flat_workgroup_size: 1024
    .name:           _ZN2at6native12_GLOBAL__N_135GammaBetaBackwardCUDAKernelTemplateIddLj32ELj32ELj256ELb0ELb0ELb1EEEvllPKT_S5_PKT0_S8_PS3_S9_
    .private_segment_fixed_size: 0
    .sgpr_count:     32
    .sgpr_spill_count: 0
    .symbol:         _ZN2at6native12_GLOBAL__N_135GammaBetaBackwardCUDAKernelTemplateIddLj32ELj32ELj256ELb0ELb0ELb1EEEvllPKT_S5_PKT0_S8_PS3_S9_.kd
    .uniform_work_group_size: 1
    .uses_dynamic_stack: false
    .vgpr_count:     106
    .vgpr_spill_count: 0
    .wavefront_size: 32
    .workgroup_processor_mode: 1
  - .args:
      - .actual_access:  read_only
        .address_space:  global
        .offset:         0
        .size:           8
        .value_kind:     global_buffer
      - .actual_access:  read_only
        .address_space:  global
        .offset:         8
        .size:           8
        .value_kind:     global_buffer
      - .offset:         16
        .size:           8
        .value_kind:     by_value
      - .offset:         24
        .size:           8
        .value_kind:     by_value
      - .actual_access:  read_only
        .address_space:  global
        .offset:         32
        .size:           8
        .value_kind:     global_buffer
      - .actual_access:  read_only
        .address_space:  global
        .offset:         40
        .size:           8
        .value_kind:     global_buffer
      - .address_space:  global
        .offset:         48
        .size:           8
        .value_kind:     global_buffer
      - .address_space:  global
        .offset:         56
        .size:           8
        .value_kind:     global_buffer
      - .offset:         64
        .size:           4
        .value_kind:     hidden_block_count_x
      - .offset:         68
        .size:           4
        .value_kind:     hidden_block_count_y
      - .offset:         72
        .size:           4
        .value_kind:     hidden_block_count_z
      - .offset:         76
        .size:           2
        .value_kind:     hidden_group_size_x
      - .offset:         78
        .size:           2
        .value_kind:     hidden_group_size_y
      - .offset:         80
        .size:           2
        .value_kind:     hidden_group_size_z
      - .offset:         82
        .size:           2
        .value_kind:     hidden_remainder_x
      - .offset:         84
        .size:           2
        .value_kind:     hidden_remainder_y
      - .offset:         86
        .size:           2
        .value_kind:     hidden_remainder_z
      - .offset:         104
        .size:           8
        .value_kind:     hidden_global_offset_x
      - .offset:         112
        .size:           8
        .value_kind:     hidden_global_offset_y
      - .offset:         120
        .size:           8
        .value_kind:     hidden_global_offset_z
      - .offset:         128
        .size:           2
        .value_kind:     hidden_grid_dims
      - .offset:         184
        .size:           4
        .value_kind:     hidden_dynamic_lds_size
    .group_segment_fixed_size: 0
    .kernarg_segment_align: 8
    .kernarg_segment_size: 320
    .language:       OpenCL C
    .language_version:
      - 2
      - 0
    .max_flat_workgroup_size: 1024
    .name:           _ZN2at6native12_GLOBAL__N_118cuComputeGradInputIffLb1EEEvPKT_S5_llPKT0_S8_S5_PS3_
    .private_segment_fixed_size: 0
    .sgpr_count:     41
    .sgpr_spill_count: 0
    .symbol:         _ZN2at6native12_GLOBAL__N_118cuComputeGradInputIffLb1EEEvPKT_S5_llPKT0_S8_S5_PS3_.kd
    .uniform_work_group_size: 1
    .uses_dynamic_stack: false
    .vgpr_count:     24
    .vgpr_spill_count: 0
    .wavefront_size: 32
    .workgroup_processor_mode: 1
  - .args:
      - .actual_access:  read_only
        .address_space:  global
        .offset:         0
        .size:           8
        .value_kind:     global_buffer
      - .actual_access:  read_only
        .address_space:  global
        .offset:         8
        .size:           8
        .value_kind:     global_buffer
      - .actual_access:  read_only
        .address_space:  global
        .offset:         16
        .size:           8
        .value_kind:     global_buffer
      - .actual_access:  read_only
        .address_space:  global
        .offset:         24
        .size:           8
        .value_kind:     global_buffer
      - .actual_access:  read_only
        .address_space:  global
        .offset:         32
        .size:           8
        .value_kind:     global_buffer
      - .address_space:  global
        .offset:         40
        .size:           8
        .value_kind:     global_buffer
      - .offset:         48
        .size:           4
        .value_kind:     by_value
      - .offset:         56
        .size:           4
        .value_kind:     hidden_block_count_x
      - .offset:         60
        .size:           4
        .value_kind:     hidden_block_count_y
      - .offset:         64
        .size:           4
        .value_kind:     hidden_block_count_z
      - .offset:         68
        .size:           2
        .value_kind:     hidden_group_size_x
      - .offset:         70
        .size:           2
        .value_kind:     hidden_group_size_y
      - .offset:         72
        .size:           2
        .value_kind:     hidden_group_size_z
      - .offset:         74
        .size:           2
        .value_kind:     hidden_remainder_x
      - .offset:         76
        .size:           2
        .value_kind:     hidden_remainder_y
      - .offset:         78
        .size:           2
        .value_kind:     hidden_remainder_z
      - .offset:         96
        .size:           8
        .value_kind:     hidden_global_offset_x
      - .offset:         104
        .size:           8
        .value_kind:     hidden_global_offset_y
      - .offset:         112
        .size:           8
        .value_kind:     hidden_global_offset_z
      - .offset:         120
        .size:           2
        .value_kind:     hidden_grid_dims
      - .offset:         176
        .size:           4
        .value_kind:     hidden_dynamic_lds_size
    .group_segment_fixed_size: 0
    .kernarg_segment_align: 8
    .kernarg_segment_size: 312
    .language:       OpenCL C
    .language_version:
      - 2
      - 0
    .max_flat_workgroup_size: 1024
    .name:           _ZN2at6native12_GLOBAL__N_128layer_norm_grad_input_kernelIffLb1EEEvPKT_S5_PKT0_S8_S5_PS3_i
    .private_segment_fixed_size: 0
    .sgpr_count:     22
    .sgpr_spill_count: 0
    .symbol:         _ZN2at6native12_GLOBAL__N_128layer_norm_grad_input_kernelIffLb1EEEvPKT_S5_PKT0_S8_S5_PS3_i.kd
    .uniform_work_group_size: 1
    .uses_dynamic_stack: false
    .vgpr_count:     20
    .vgpr_spill_count: 0
    .wavefront_size: 32
    .workgroup_processor_mode: 1
  - .args:
      - .offset:         0
        .size:           8
        .value_kind:     by_value
      - .offset:         8
        .size:           8
        .value_kind:     by_value
      - .address_space:  global
        .offset:         16
        .size:           8
        .value_kind:     global_buffer
      - .address_space:  global
        .offset:         24
        .size:           8
        .value_kind:     global_buffer
      - .address_space:  global
        .offset:         32
        .size:           8
        .value_kind:     global_buffer
      - .address_space:  global
        .offset:         40
        .size:           8
        .value_kind:     global_buffer
      - .address_space:  global
        .offset:         48
        .size:           8
        .value_kind:     global_buffer
      - .address_space:  global
        .offset:         56
        .size:           8
        .value_kind:     global_buffer
      - .offset:         64
        .size:           4
        .value_kind:     hidden_block_count_x
      - .offset:         68
        .size:           4
        .value_kind:     hidden_block_count_y
      - .offset:         72
        .size:           4
        .value_kind:     hidden_block_count_z
      - .offset:         76
        .size:           2
        .value_kind:     hidden_group_size_x
      - .offset:         78
        .size:           2
        .value_kind:     hidden_group_size_y
      - .offset:         80
        .size:           2
        .value_kind:     hidden_group_size_z
      - .offset:         82
        .size:           2
        .value_kind:     hidden_remainder_x
      - .offset:         84
        .size:           2
        .value_kind:     hidden_remainder_y
      - .offset:         86
        .size:           2
        .value_kind:     hidden_remainder_z
      - .offset:         104
        .size:           8
        .value_kind:     hidden_global_offset_x
      - .offset:         112
        .size:           8
        .value_kind:     hidden_global_offset_y
      - .offset:         120
        .size:           8
        .value_kind:     hidden_global_offset_z
      - .offset:         128
        .size:           2
        .value_kind:     hidden_grid_dims
    .group_segment_fixed_size: 0
    .kernarg_segment_align: 8
    .kernarg_segment_size: 320
    .language:       OpenCL C
    .language_version:
      - 2
      - 0
    .max_flat_workgroup_size: 1024
    .name:           _ZN2at6native12_GLOBAL__N_133GammaBetaBackwardSimpleCUDAKernelIffLb1EEEvllPKT_S5_PKT0_S8_PS3_S9_
    .private_segment_fixed_size: 0
    .sgpr_count:     18
    .sgpr_spill_count: 0
    .symbol:         _ZN2at6native12_GLOBAL__N_133GammaBetaBackwardSimpleCUDAKernelIffLb1EEEvllPKT_S5_PKT0_S8_PS3_S9_.kd
    .uniform_work_group_size: 1
    .uses_dynamic_stack: false
    .vgpr_count:     10
    .vgpr_spill_count: 0
    .wavefront_size: 32
    .workgroup_processor_mode: 1
  - .args:
      - .offset:         0
        .size:           8
        .value_kind:     by_value
      - .offset:         8
        .size:           8
        .value_kind:     by_value
      - .actual_access:  read_only
        .address_space:  global
        .offset:         16
        .size:           8
        .value_kind:     global_buffer
      - .actual_access:  read_only
        .address_space:  global
        .offset:         24
        .size:           8
        .value_kind:     global_buffer
      - .actual_access:  read_only
        .address_space:  global
        .offset:         32
        .size:           8
        .value_kind:     global_buffer
      - .actual_access:  read_only
        .address_space:  global
        .offset:         40
        .size:           8
        .value_kind:     global_buffer
      - .actual_access:  write_only
        .address_space:  global
        .offset:         48
        .size:           8
        .value_kind:     global_buffer
      - .actual_access:  read_only
        .address_space:  global
        .offset:         56
        .size:           8
        .value_kind:     global_buffer
      - .offset:         64
        .size:           4
        .value_kind:     hidden_block_count_x
      - .offset:         68
        .size:           4
        .value_kind:     hidden_block_count_y
      - .offset:         72
        .size:           4
        .value_kind:     hidden_block_count_z
      - .offset:         76
        .size:           2
        .value_kind:     hidden_group_size_x
      - .offset:         78
        .size:           2
        .value_kind:     hidden_group_size_y
      - .offset:         80
        .size:           2
        .value_kind:     hidden_group_size_z
      - .offset:         82
        .size:           2
        .value_kind:     hidden_remainder_x
      - .offset:         84
        .size:           2
        .value_kind:     hidden_remainder_y
      - .offset:         86
        .size:           2
        .value_kind:     hidden_remainder_z
      - .offset:         104
        .size:           8
        .value_kind:     hidden_global_offset_x
      - .offset:         112
        .size:           8
        .value_kind:     hidden_global_offset_y
      - .offset:         120
        .size:           8
        .value_kind:     hidden_global_offset_z
      - .offset:         128
        .size:           2
        .value_kind:     hidden_grid_dims
    .group_segment_fixed_size: 0
    .kernarg_segment_align: 8
    .kernarg_segment_size: 320
    .language:       OpenCL C
    .language_version:
      - 2
      - 0
    .max_flat_workgroup_size: 64
    .name:           _ZN2at6native12_GLOBAL__N_135GammaBetaBackwardCUDAKernelTemplateIffLj64ELj1ELj32ELb1ELb1ELb1EEEvllPKT_S5_PKT0_S8_PS3_S9_
    .private_segment_fixed_size: 0
    .sgpr_count:     26
    .sgpr_spill_count: 0
    .symbol:         _ZN2at6native12_GLOBAL__N_135GammaBetaBackwardCUDAKernelTemplateIffLj64ELj1ELj32ELb1ELb1ELb1EEEvllPKT_S5_PKT0_S8_PS3_S9_.kd
    .uniform_work_group_size: 1
    .uses_dynamic_stack: false
    .vgpr_count:     63
    .vgpr_spill_count: 0
    .wavefront_size: 32
    .workgroup_processor_mode: 1
  - .args:
      - .offset:         0
        .size:           8
        .value_kind:     by_value
      - .offset:         8
        .size:           8
        .value_kind:     by_value
      - .actual_access:  read_only
        .address_space:  global
        .offset:         16
        .size:           8
        .value_kind:     global_buffer
      - .actual_access:  read_only
        .address_space:  global
        .offset:         24
        .size:           8
        .value_kind:     global_buffer
      - .actual_access:  read_only
        .address_space:  global
        .offset:         32
        .size:           8
        .value_kind:     global_buffer
      - .actual_access:  read_only
        .address_space:  global
        .offset:         40
        .size:           8
        .value_kind:     global_buffer
      - .actual_access:  write_only
        .address_space:  global
        .offset:         48
        .size:           8
        .value_kind:     global_buffer
      - .actual_access:  read_only
        .address_space:  global
        .offset:         56
        .size:           8
        .value_kind:     global_buffer
      - .offset:         64
        .size:           4
        .value_kind:     hidden_block_count_x
      - .offset:         68
        .size:           4
        .value_kind:     hidden_block_count_y
      - .offset:         72
        .size:           4
        .value_kind:     hidden_block_count_z
      - .offset:         76
        .size:           2
        .value_kind:     hidden_group_size_x
      - .offset:         78
        .size:           2
        .value_kind:     hidden_group_size_y
      - .offset:         80
        .size:           2
        .value_kind:     hidden_group_size_z
      - .offset:         82
        .size:           2
        .value_kind:     hidden_remainder_x
      - .offset:         84
        .size:           2
        .value_kind:     hidden_remainder_y
      - .offset:         86
        .size:           2
        .value_kind:     hidden_remainder_z
      - .offset:         104
        .size:           8
        .value_kind:     hidden_global_offset_x
      - .offset:         112
        .size:           8
        .value_kind:     hidden_global_offset_y
      - .offset:         120
        .size:           8
        .value_kind:     hidden_global_offset_z
      - .offset:         128
        .size:           2
        .value_kind:     hidden_grid_dims
    .group_segment_fixed_size: 0
    .kernarg_segment_align: 8
    .kernarg_segment_size: 320
    .language:       OpenCL C
    .language_version:
      - 2
      - 0
    .max_flat_workgroup_size: 64
    .name:           _ZN2at6native12_GLOBAL__N_135GammaBetaBackwardCUDAKernelTemplateIffLj64ELj1ELj32ELb1ELb0ELb1EEEvllPKT_S5_PKT0_S8_PS3_S9_
    .private_segment_fixed_size: 300
    .sgpr_count:     42
    .sgpr_spill_count: 0
    .symbol:         _ZN2at6native12_GLOBAL__N_135GammaBetaBackwardCUDAKernelTemplateIffLj64ELj1ELj32ELb1ELb0ELb1EEEvllPKT_S5_PKT0_S8_PS3_S9_.kd
    .uniform_work_group_size: 1
    .uses_dynamic_stack: false
    .vgpr_count:     256
    .vgpr_spill_count: 147
    .wavefront_size: 32
    .workgroup_processor_mode: 1
  - .args:
      - .offset:         0
        .size:           8
        .value_kind:     by_value
      - .offset:         8
        .size:           8
        .value_kind:     by_value
      - .actual_access:  read_only
        .address_space:  global
        .offset:         16
        .size:           8
        .value_kind:     global_buffer
      - .actual_access:  read_only
        .address_space:  global
        .offset:         24
        .size:           8
        .value_kind:     global_buffer
      - .actual_access:  read_only
        .address_space:  global
        .offset:         32
        .size:           8
        .value_kind:     global_buffer
      - .actual_access:  read_only
        .address_space:  global
        .offset:         40
        .size:           8
        .value_kind:     global_buffer
      - .actual_access:  write_only
        .address_space:  global
        .offset:         48
        .size:           8
        .value_kind:     global_buffer
      - .actual_access:  read_only
        .address_space:  global
        .offset:         56
        .size:           8
        .value_kind:     global_buffer
      - .offset:         64
        .size:           4
        .value_kind:     hidden_block_count_x
      - .offset:         68
        .size:           4
        .value_kind:     hidden_block_count_y
      - .offset:         72
        .size:           4
        .value_kind:     hidden_block_count_z
      - .offset:         76
        .size:           2
        .value_kind:     hidden_group_size_x
      - .offset:         78
        .size:           2
        .value_kind:     hidden_group_size_y
      - .offset:         80
        .size:           2
        .value_kind:     hidden_group_size_z
      - .offset:         82
        .size:           2
        .value_kind:     hidden_remainder_x
      - .offset:         84
        .size:           2
        .value_kind:     hidden_remainder_y
      - .offset:         86
        .size:           2
        .value_kind:     hidden_remainder_z
      - .offset:         104
        .size:           8
        .value_kind:     hidden_global_offset_x
      - .offset:         112
        .size:           8
        .value_kind:     hidden_global_offset_y
      - .offset:         120
        .size:           8
        .value_kind:     hidden_global_offset_z
      - .offset:         128
        .size:           2
        .value_kind:     hidden_grid_dims
    .group_segment_fixed_size: 0
    .kernarg_segment_align: 8
    .kernarg_segment_size: 320
    .language:       OpenCL C
    .language_version:
      - 2
      - 0
    .max_flat_workgroup_size: 64
    .name:           _ZN2at6native12_GLOBAL__N_135GammaBetaBackwardCUDAKernelTemplateIffLj64ELj1ELj8ELb1ELb1ELb1EEEvllPKT_S5_PKT0_S8_PS3_S9_
    .private_segment_fixed_size: 0
    .sgpr_count:     28
    .sgpr_spill_count: 0
    .symbol:         _ZN2at6native12_GLOBAL__N_135GammaBetaBackwardCUDAKernelTemplateIffLj64ELj1ELj8ELb1ELb1ELb1EEEvllPKT_S5_PKT0_S8_PS3_S9_.kd
    .uniform_work_group_size: 1
    .uses_dynamic_stack: false
    .vgpr_count:     40
    .vgpr_spill_count: 0
    .wavefront_size: 32
    .workgroup_processor_mode: 1
  - .args:
      - .offset:         0
        .size:           8
        .value_kind:     by_value
      - .offset:         8
        .size:           8
        .value_kind:     by_value
      - .actual_access:  read_only
        .address_space:  global
        .offset:         16
        .size:           8
        .value_kind:     global_buffer
      - .actual_access:  read_only
        .address_space:  global
        .offset:         24
        .size:           8
        .value_kind:     global_buffer
      - .actual_access:  read_only
        .address_space:  global
        .offset:         32
        .size:           8
        .value_kind:     global_buffer
      - .actual_access:  read_only
        .address_space:  global
        .offset:         40
        .size:           8
        .value_kind:     global_buffer
      - .actual_access:  write_only
        .address_space:  global
        .offset:         48
        .size:           8
        .value_kind:     global_buffer
      - .actual_access:  read_only
        .address_space:  global
        .offset:         56
        .size:           8
        .value_kind:     global_buffer
      - .offset:         64
        .size:           4
        .value_kind:     hidden_block_count_x
      - .offset:         68
        .size:           4
        .value_kind:     hidden_block_count_y
      - .offset:         72
        .size:           4
        .value_kind:     hidden_block_count_z
      - .offset:         76
        .size:           2
        .value_kind:     hidden_group_size_x
      - .offset:         78
        .size:           2
        .value_kind:     hidden_group_size_y
      - .offset:         80
        .size:           2
        .value_kind:     hidden_group_size_z
      - .offset:         82
        .size:           2
        .value_kind:     hidden_remainder_x
      - .offset:         84
        .size:           2
        .value_kind:     hidden_remainder_y
      - .offset:         86
        .size:           2
        .value_kind:     hidden_remainder_z
      - .offset:         104
        .size:           8
        .value_kind:     hidden_global_offset_x
      - .offset:         112
        .size:           8
        .value_kind:     hidden_global_offset_y
      - .offset:         120
        .size:           8
        .value_kind:     hidden_global_offset_z
      - .offset:         128
        .size:           2
        .value_kind:     hidden_grid_dims
    .group_segment_fixed_size: 0
    .kernarg_segment_align: 8
    .kernarg_segment_size: 320
    .language:       OpenCL C
    .language_version:
      - 2
      - 0
    .max_flat_workgroup_size: 64
    .name:           _ZN2at6native12_GLOBAL__N_135GammaBetaBackwardCUDAKernelTemplateIffLj64ELj1ELj8ELb1ELb0ELb1EEEvllPKT_S5_PKT0_S8_PS3_S9_
    .private_segment_fixed_size: 0
    .sgpr_count:     32
    .sgpr_spill_count: 0
    .symbol:         _ZN2at6native12_GLOBAL__N_135GammaBetaBackwardCUDAKernelTemplateIffLj64ELj1ELj8ELb1ELb0ELb1EEEvllPKT_S5_PKT0_S8_PS3_S9_.kd
    .uniform_work_group_size: 1
    .uses_dynamic_stack: false
    .vgpr_count:     92
    .vgpr_spill_count: 0
    .wavefront_size: 32
    .workgroup_processor_mode: 1
  - .args:
      - .offset:         0
        .size:           8
        .value_kind:     by_value
      - .offset:         8
        .size:           8
        .value_kind:     by_value
      - .actual_access:  read_only
        .address_space:  global
        .offset:         16
        .size:           8
        .value_kind:     global_buffer
      - .actual_access:  read_only
        .address_space:  global
        .offset:         24
        .size:           8
        .value_kind:     global_buffer
      - .actual_access:  read_only
        .address_space:  global
        .offset:         32
        .size:           8
        .value_kind:     global_buffer
      - .actual_access:  read_only
        .address_space:  global
        .offset:         40
        .size:           8
        .value_kind:     global_buffer
      - .actual_access:  write_only
        .address_space:  global
        .offset:         48
        .size:           8
        .value_kind:     global_buffer
      - .actual_access:  read_only
        .address_space:  global
        .offset:         56
        .size:           8
        .value_kind:     global_buffer
      - .offset:         64
        .size:           4
        .value_kind:     hidden_block_count_x
      - .offset:         68
        .size:           4
        .value_kind:     hidden_block_count_y
      - .offset:         72
        .size:           4
        .value_kind:     hidden_block_count_z
      - .offset:         76
        .size:           2
        .value_kind:     hidden_group_size_x
      - .offset:         78
        .size:           2
        .value_kind:     hidden_group_size_y
      - .offset:         80
        .size:           2
        .value_kind:     hidden_group_size_z
      - .offset:         82
        .size:           2
        .value_kind:     hidden_remainder_x
      - .offset:         84
        .size:           2
        .value_kind:     hidden_remainder_y
      - .offset:         86
        .size:           2
        .value_kind:     hidden_remainder_z
      - .offset:         104
        .size:           8
        .value_kind:     hidden_global_offset_x
      - .offset:         112
        .size:           8
        .value_kind:     hidden_global_offset_y
      - .offset:         120
        .size:           8
        .value_kind:     hidden_global_offset_z
      - .offset:         128
        .size:           2
        .value_kind:     hidden_grid_dims
      - .offset:         184
        .size:           4
        .value_kind:     hidden_dynamic_lds_size
    .group_segment_fixed_size: 0
    .kernarg_segment_align: 8
    .kernarg_segment_size: 320
    .language:       OpenCL C
    .language_version:
      - 2
      - 0
    .max_flat_workgroup_size: 512
    .name:           _ZN2at6native12_GLOBAL__N_135GammaBetaBackwardCUDAKernelTemplateIffLj64ELj8ELj64ELb0ELb1ELb1EEEvllPKT_S5_PKT0_S8_PS3_S9_
    .private_segment_fixed_size: 0
    .sgpr_count:     24
    .sgpr_spill_count: 0
    .symbol:         _ZN2at6native12_GLOBAL__N_135GammaBetaBackwardCUDAKernelTemplateIffLj64ELj8ELj64ELb0ELb1ELb1EEEvllPKT_S5_PKT0_S8_PS3_S9_.kd
    .uniform_work_group_size: 1
    .uses_dynamic_stack: false
    .vgpr_count:     40
    .vgpr_spill_count: 0
    .wavefront_size: 32
    .workgroup_processor_mode: 1
  - .args:
      - .offset:         0
        .size:           8
        .value_kind:     by_value
      - .offset:         8
        .size:           8
        .value_kind:     by_value
      - .actual_access:  read_only
        .address_space:  global
        .offset:         16
        .size:           8
        .value_kind:     global_buffer
      - .actual_access:  read_only
        .address_space:  global
        .offset:         24
        .size:           8
        .value_kind:     global_buffer
      - .actual_access:  read_only
        .address_space:  global
        .offset:         32
        .size:           8
        .value_kind:     global_buffer
      - .actual_access:  read_only
        .address_space:  global
        .offset:         40
        .size:           8
        .value_kind:     global_buffer
      - .actual_access:  write_only
        .address_space:  global
        .offset:         48
        .size:           8
        .value_kind:     global_buffer
      - .actual_access:  read_only
        .address_space:  global
        .offset:         56
        .size:           8
        .value_kind:     global_buffer
      - .offset:         64
        .size:           4
        .value_kind:     hidden_block_count_x
      - .offset:         68
        .size:           4
        .value_kind:     hidden_block_count_y
      - .offset:         72
        .size:           4
        .value_kind:     hidden_block_count_z
      - .offset:         76
        .size:           2
        .value_kind:     hidden_group_size_x
      - .offset:         78
        .size:           2
        .value_kind:     hidden_group_size_y
      - .offset:         80
        .size:           2
        .value_kind:     hidden_group_size_z
      - .offset:         82
        .size:           2
        .value_kind:     hidden_remainder_x
      - .offset:         84
        .size:           2
        .value_kind:     hidden_remainder_y
      - .offset:         86
        .size:           2
        .value_kind:     hidden_remainder_z
      - .offset:         104
        .size:           8
        .value_kind:     hidden_global_offset_x
      - .offset:         112
        .size:           8
        .value_kind:     hidden_global_offset_y
      - .offset:         120
        .size:           8
        .value_kind:     hidden_global_offset_z
      - .offset:         128
        .size:           2
        .value_kind:     hidden_grid_dims
      - .offset:         184
        .size:           4
        .value_kind:     hidden_dynamic_lds_size
    .group_segment_fixed_size: 0
    .kernarg_segment_align: 8
    .kernarg_segment_size: 320
    .language:       OpenCL C
    .language_version:
      - 2
      - 0
    .max_flat_workgroup_size: 512
    .name:           _ZN2at6native12_GLOBAL__N_135GammaBetaBackwardCUDAKernelTemplateIffLj64ELj8ELj64ELb0ELb0ELb1EEEvllPKT_S5_PKT0_S8_PS3_S9_
    .private_segment_fixed_size: 0
    .sgpr_count:     32
    .sgpr_spill_count: 0
    .symbol:         _ZN2at6native12_GLOBAL__N_135GammaBetaBackwardCUDAKernelTemplateIffLj64ELj8ELj64ELb0ELb0ELb1EEEvllPKT_S5_PKT0_S8_PS3_S9_.kd
    .uniform_work_group_size: 1
    .uses_dynamic_stack: false
    .vgpr_count:     91
    .vgpr_spill_count: 0
    .wavefront_size: 32
    .workgroup_processor_mode: 1
  - .args:
      - .offset:         0
        .size:           8
        .value_kind:     by_value
      - .offset:         8
        .size:           8
        .value_kind:     by_value
      - .actual_access:  read_only
        .address_space:  global
        .offset:         16
        .size:           8
        .value_kind:     global_buffer
      - .actual_access:  read_only
        .address_space:  global
        .offset:         24
        .size:           8
        .value_kind:     global_buffer
      - .actual_access:  read_only
        .address_space:  global
        .offset:         32
        .size:           8
        .value_kind:     global_buffer
      - .actual_access:  read_only
        .address_space:  global
        .offset:         40
        .size:           8
        .value_kind:     global_buffer
      - .actual_access:  write_only
        .address_space:  global
        .offset:         48
        .size:           8
        .value_kind:     global_buffer
      - .actual_access:  read_only
        .address_space:  global
        .offset:         56
        .size:           8
        .value_kind:     global_buffer
      - .offset:         64
        .size:           4
        .value_kind:     hidden_block_count_x
      - .offset:         68
        .size:           4
        .value_kind:     hidden_block_count_y
      - .offset:         72
        .size:           4
        .value_kind:     hidden_block_count_z
      - .offset:         76
        .size:           2
        .value_kind:     hidden_group_size_x
      - .offset:         78
        .size:           2
        .value_kind:     hidden_group_size_y
      - .offset:         80
        .size:           2
        .value_kind:     hidden_group_size_z
      - .offset:         82
        .size:           2
        .value_kind:     hidden_remainder_x
      - .offset:         84
        .size:           2
        .value_kind:     hidden_remainder_y
      - .offset:         86
        .size:           2
        .value_kind:     hidden_remainder_z
      - .offset:         104
        .size:           8
        .value_kind:     hidden_global_offset_x
      - .offset:         112
        .size:           8
        .value_kind:     hidden_global_offset_y
      - .offset:         120
        .size:           8
        .value_kind:     hidden_global_offset_z
      - .offset:         128
        .size:           2
        .value_kind:     hidden_grid_dims
      - .offset:         184
        .size:           4
        .value_kind:     hidden_dynamic_lds_size
    .group_segment_fixed_size: 0
    .kernarg_segment_align: 8
    .kernarg_segment_size: 320
    .language:       OpenCL C
    .language_version:
      - 2
      - 0
    .max_flat_workgroup_size: 1024
    .name:           _ZN2at6native12_GLOBAL__N_135GammaBetaBackwardCUDAKernelTemplateIffLj64ELj16ELj128ELb0ELb1ELb1EEEvllPKT_S5_PKT0_S8_PS3_S9_
    .private_segment_fixed_size: 0
    .sgpr_count:     24
    .sgpr_spill_count: 0
    .symbol:         _ZN2at6native12_GLOBAL__N_135GammaBetaBackwardCUDAKernelTemplateIffLj64ELj16ELj128ELb0ELb1ELb1EEEvllPKT_S5_PKT0_S8_PS3_S9_.kd
    .uniform_work_group_size: 1
    .uses_dynamic_stack: false
    .vgpr_count:     40
    .vgpr_spill_count: 0
    .wavefront_size: 32
    .workgroup_processor_mode: 1
  - .args:
      - .offset:         0
        .size:           8
        .value_kind:     by_value
      - .offset:         8
        .size:           8
        .value_kind:     by_value
      - .actual_access:  read_only
        .address_space:  global
        .offset:         16
        .size:           8
        .value_kind:     global_buffer
      - .actual_access:  read_only
        .address_space:  global
        .offset:         24
        .size:           8
        .value_kind:     global_buffer
      - .actual_access:  read_only
        .address_space:  global
        .offset:         32
        .size:           8
        .value_kind:     global_buffer
      - .actual_access:  read_only
        .address_space:  global
        .offset:         40
        .size:           8
        .value_kind:     global_buffer
      - .actual_access:  write_only
        .address_space:  global
        .offset:         48
        .size:           8
        .value_kind:     global_buffer
      - .actual_access:  read_only
        .address_space:  global
        .offset:         56
        .size:           8
        .value_kind:     global_buffer
      - .offset:         64
        .size:           4
        .value_kind:     hidden_block_count_x
      - .offset:         68
        .size:           4
        .value_kind:     hidden_block_count_y
      - .offset:         72
        .size:           4
        .value_kind:     hidden_block_count_z
      - .offset:         76
        .size:           2
        .value_kind:     hidden_group_size_x
      - .offset:         78
        .size:           2
        .value_kind:     hidden_group_size_y
      - .offset:         80
        .size:           2
        .value_kind:     hidden_group_size_z
      - .offset:         82
        .size:           2
        .value_kind:     hidden_remainder_x
      - .offset:         84
        .size:           2
        .value_kind:     hidden_remainder_y
      - .offset:         86
        .size:           2
        .value_kind:     hidden_remainder_z
      - .offset:         104
        .size:           8
        .value_kind:     hidden_global_offset_x
      - .offset:         112
        .size:           8
        .value_kind:     hidden_global_offset_y
      - .offset:         120
        .size:           8
        .value_kind:     hidden_global_offset_z
      - .offset:         128
        .size:           2
        .value_kind:     hidden_grid_dims
      - .offset:         184
        .size:           4
        .value_kind:     hidden_dynamic_lds_size
    .group_segment_fixed_size: 0
    .kernarg_segment_align: 8
    .kernarg_segment_size: 320
    .language:       OpenCL C
    .language_version:
      - 2
      - 0
    .max_flat_workgroup_size: 1024
    .name:           _ZN2at6native12_GLOBAL__N_135GammaBetaBackwardCUDAKernelTemplateIffLj64ELj16ELj128ELb0ELb0ELb1EEEvllPKT_S5_PKT0_S8_PS3_S9_
    .private_segment_fixed_size: 0
    .sgpr_count:     32
    .sgpr_spill_count: 0
    .symbol:         _ZN2at6native12_GLOBAL__N_135GammaBetaBackwardCUDAKernelTemplateIffLj64ELj16ELj128ELb0ELb0ELb1EEEvllPKT_S5_PKT0_S8_PS3_S9_.kd
    .uniform_work_group_size: 1
    .uses_dynamic_stack: false
    .vgpr_count:     91
    .vgpr_spill_count: 0
    .wavefront_size: 32
    .workgroup_processor_mode: 1
  - .args:
      - .offset:         0
        .size:           8
        .value_kind:     by_value
      - .offset:         8
        .size:           8
        .value_kind:     by_value
      - .actual_access:  read_only
        .address_space:  global
        .offset:         16
        .size:           8
        .value_kind:     global_buffer
      - .actual_access:  read_only
        .address_space:  global
        .offset:         24
        .size:           8
        .value_kind:     global_buffer
      - .actual_access:  read_only
        .address_space:  global
        .offset:         32
        .size:           8
        .value_kind:     global_buffer
      - .actual_access:  read_only
        .address_space:  global
        .offset:         40
        .size:           8
        .value_kind:     global_buffer
      - .actual_access:  write_only
        .address_space:  global
        .offset:         48
        .size:           8
        .value_kind:     global_buffer
      - .actual_access:  read_only
        .address_space:  global
        .offset:         56
        .size:           8
        .value_kind:     global_buffer
      - .offset:         64
        .size:           4
        .value_kind:     hidden_block_count_x
      - .offset:         68
        .size:           4
        .value_kind:     hidden_block_count_y
      - .offset:         72
        .size:           4
        .value_kind:     hidden_block_count_z
      - .offset:         76
        .size:           2
        .value_kind:     hidden_group_size_x
      - .offset:         78
        .size:           2
        .value_kind:     hidden_group_size_y
      - .offset:         80
        .size:           2
        .value_kind:     hidden_group_size_z
      - .offset:         82
        .size:           2
        .value_kind:     hidden_remainder_x
      - .offset:         84
        .size:           2
        .value_kind:     hidden_remainder_y
      - .offset:         86
        .size:           2
        .value_kind:     hidden_remainder_z
      - .offset:         104
        .size:           8
        .value_kind:     hidden_global_offset_x
      - .offset:         112
        .size:           8
        .value_kind:     hidden_global_offset_y
      - .offset:         120
        .size:           8
        .value_kind:     hidden_global_offset_z
      - .offset:         128
        .size:           2
        .value_kind:     hidden_grid_dims
      - .offset:         184
        .size:           4
        .value_kind:     hidden_dynamic_lds_size
    .group_segment_fixed_size: 0
    .kernarg_segment_align: 8
    .kernarg_segment_size: 320
    .language:       OpenCL C
    .language_version:
      - 2
      - 0
    .max_flat_workgroup_size: 1024
    .name:           _ZN2at6native12_GLOBAL__N_135GammaBetaBackwardCUDAKernelTemplateIffLj64ELj16ELj256ELb0ELb1ELb1EEEvllPKT_S5_PKT0_S8_PS3_S9_
    .private_segment_fixed_size: 0
    .sgpr_count:     24
    .sgpr_spill_count: 0
    .symbol:         _ZN2at6native12_GLOBAL__N_135GammaBetaBackwardCUDAKernelTemplateIffLj64ELj16ELj256ELb0ELb1ELb1EEEvllPKT_S5_PKT0_S8_PS3_S9_.kd
    .uniform_work_group_size: 1
    .uses_dynamic_stack: false
    .vgpr_count:     65
    .vgpr_spill_count: 0
    .wavefront_size: 32
    .workgroup_processor_mode: 1
  - .args:
      - .offset:         0
        .size:           8
        .value_kind:     by_value
      - .offset:         8
        .size:           8
        .value_kind:     by_value
      - .actual_access:  read_only
        .address_space:  global
        .offset:         16
        .size:           8
        .value_kind:     global_buffer
      - .actual_access:  read_only
        .address_space:  global
        .offset:         24
        .size:           8
        .value_kind:     global_buffer
      - .actual_access:  read_only
        .address_space:  global
        .offset:         32
        .size:           8
        .value_kind:     global_buffer
      - .actual_access:  read_only
        .address_space:  global
        .offset:         40
        .size:           8
        .value_kind:     global_buffer
      - .actual_access:  write_only
        .address_space:  global
        .offset:         48
        .size:           8
        .value_kind:     global_buffer
      - .actual_access:  read_only
        .address_space:  global
        .offset:         56
        .size:           8
        .value_kind:     global_buffer
      - .offset:         64
        .size:           4
        .value_kind:     hidden_block_count_x
      - .offset:         68
        .size:           4
        .value_kind:     hidden_block_count_y
      - .offset:         72
        .size:           4
        .value_kind:     hidden_block_count_z
      - .offset:         76
        .size:           2
        .value_kind:     hidden_group_size_x
      - .offset:         78
        .size:           2
        .value_kind:     hidden_group_size_y
      - .offset:         80
        .size:           2
        .value_kind:     hidden_group_size_z
      - .offset:         82
        .size:           2
        .value_kind:     hidden_remainder_x
      - .offset:         84
        .size:           2
        .value_kind:     hidden_remainder_y
      - .offset:         86
        .size:           2
        .value_kind:     hidden_remainder_z
      - .offset:         104
        .size:           8
        .value_kind:     hidden_global_offset_x
      - .offset:         112
        .size:           8
        .value_kind:     hidden_global_offset_y
      - .offset:         120
        .size:           8
        .value_kind:     hidden_global_offset_z
      - .offset:         128
        .size:           2
        .value_kind:     hidden_grid_dims
      - .offset:         184
        .size:           4
        .value_kind:     hidden_dynamic_lds_size
    .group_segment_fixed_size: 0
    .kernarg_segment_align: 8
    .kernarg_segment_size: 320
    .language:       OpenCL C
    .language_version:
      - 2
      - 0
    .max_flat_workgroup_size: 1024
    .name:           _ZN2at6native12_GLOBAL__N_135GammaBetaBackwardCUDAKernelTemplateIffLj64ELj16ELj256ELb0ELb0ELb1EEEvllPKT_S5_PKT0_S8_PS3_S9_
    .private_segment_fixed_size: 168
    .sgpr_count:     42
    .sgpr_spill_count: 0
    .symbol:         _ZN2at6native12_GLOBAL__N_135GammaBetaBackwardCUDAKernelTemplateIffLj64ELj16ELj256ELb0ELb0ELb1EEEvllPKT_S5_PKT0_S8_PS3_S9_.kd
    .uniform_work_group_size: 1
    .uses_dynamic_stack: false
    .vgpr_count:     128
    .vgpr_spill_count: 79
    .wavefront_size: 32
    .workgroup_processor_mode: 1
  - .args:
      - .offset:         0
        .size:           8
        .value_kind:     by_value
      - .offset:         8
        .size:           8
        .value_kind:     by_value
      - .actual_access:  read_only
        .address_space:  global
        .offset:         16
        .size:           8
        .value_kind:     global_buffer
      - .actual_access:  read_only
        .address_space:  global
        .offset:         24
        .size:           8
        .value_kind:     global_buffer
      - .actual_access:  read_only
        .address_space:  global
        .offset:         32
        .size:           8
        .value_kind:     global_buffer
      - .actual_access:  read_only
        .address_space:  global
        .offset:         40
        .size:           8
        .value_kind:     global_buffer
      - .actual_access:  write_only
        .address_space:  global
        .offset:         48
        .size:           8
        .value_kind:     global_buffer
      - .actual_access:  read_only
        .address_space:  global
        .offset:         56
        .size:           8
        .value_kind:     global_buffer
      - .offset:         64
        .size:           4
        .value_kind:     hidden_block_count_x
      - .offset:         68
        .size:           4
        .value_kind:     hidden_block_count_y
      - .offset:         72
        .size:           4
        .value_kind:     hidden_block_count_z
      - .offset:         76
        .size:           2
        .value_kind:     hidden_group_size_x
      - .offset:         78
        .size:           2
        .value_kind:     hidden_group_size_y
      - .offset:         80
        .size:           2
        .value_kind:     hidden_group_size_z
      - .offset:         82
        .size:           2
        .value_kind:     hidden_remainder_x
      - .offset:         84
        .size:           2
        .value_kind:     hidden_remainder_y
      - .offset:         86
        .size:           2
        .value_kind:     hidden_remainder_z
      - .offset:         104
        .size:           8
        .value_kind:     hidden_global_offset_x
      - .offset:         112
        .size:           8
        .value_kind:     hidden_global_offset_y
      - .offset:         120
        .size:           8
        .value_kind:     hidden_global_offset_z
      - .offset:         128
        .size:           2
        .value_kind:     hidden_grid_dims
    .group_segment_fixed_size: 0
    .kernarg_segment_align: 8
    .kernarg_segment_size: 320
    .language:       OpenCL C
    .language_version:
      - 2
      - 0
    .max_flat_workgroup_size: 32
    .name:           _ZN2at6native12_GLOBAL__N_135GammaBetaBackwardCUDAKernelTemplateIffLj32ELj1ELj32ELb1ELb1ELb1EEEvllPKT_S5_PKT0_S8_PS3_S9_
    .private_segment_fixed_size: 0
    .sgpr_count:     26
    .sgpr_spill_count: 0
    .symbol:         _ZN2at6native12_GLOBAL__N_135GammaBetaBackwardCUDAKernelTemplateIffLj32ELj1ELj32ELb1ELb1ELb1EEEvllPKT_S5_PKT0_S8_PS3_S9_.kd
    .uniform_work_group_size: 1
    .uses_dynamic_stack: false
    .vgpr_count:     63
    .vgpr_spill_count: 0
    .wavefront_size: 32
    .workgroup_processor_mode: 1
  - .args:
      - .offset:         0
        .size:           8
        .value_kind:     by_value
      - .offset:         8
        .size:           8
        .value_kind:     by_value
      - .actual_access:  read_only
        .address_space:  global
        .offset:         16
        .size:           8
        .value_kind:     global_buffer
      - .actual_access:  read_only
        .address_space:  global
        .offset:         24
        .size:           8
        .value_kind:     global_buffer
      - .actual_access:  read_only
        .address_space:  global
        .offset:         32
        .size:           8
        .value_kind:     global_buffer
      - .actual_access:  read_only
        .address_space:  global
        .offset:         40
        .size:           8
        .value_kind:     global_buffer
      - .actual_access:  write_only
        .address_space:  global
        .offset:         48
        .size:           8
        .value_kind:     global_buffer
      - .actual_access:  read_only
        .address_space:  global
        .offset:         56
        .size:           8
        .value_kind:     global_buffer
      - .offset:         64
        .size:           4
        .value_kind:     hidden_block_count_x
      - .offset:         68
        .size:           4
        .value_kind:     hidden_block_count_y
      - .offset:         72
        .size:           4
        .value_kind:     hidden_block_count_z
      - .offset:         76
        .size:           2
        .value_kind:     hidden_group_size_x
      - .offset:         78
        .size:           2
        .value_kind:     hidden_group_size_y
      - .offset:         80
        .size:           2
        .value_kind:     hidden_group_size_z
      - .offset:         82
        .size:           2
        .value_kind:     hidden_remainder_x
      - .offset:         84
        .size:           2
        .value_kind:     hidden_remainder_y
      - .offset:         86
        .size:           2
        .value_kind:     hidden_remainder_z
      - .offset:         104
        .size:           8
        .value_kind:     hidden_global_offset_x
      - .offset:         112
        .size:           8
        .value_kind:     hidden_global_offset_y
      - .offset:         120
        .size:           8
        .value_kind:     hidden_global_offset_z
      - .offset:         128
        .size:           2
        .value_kind:     hidden_grid_dims
    .group_segment_fixed_size: 0
    .kernarg_segment_align: 8
    .kernarg_segment_size: 320
    .language:       OpenCL C
    .language_version:
      - 2
      - 0
    .max_flat_workgroup_size: 32
    .name:           _ZN2at6native12_GLOBAL__N_135GammaBetaBackwardCUDAKernelTemplateIffLj32ELj1ELj32ELb1ELb0ELb1EEEvllPKT_S5_PKT0_S8_PS3_S9_
    .private_segment_fixed_size: 300
    .sgpr_count:     42
    .sgpr_spill_count: 0
    .symbol:         _ZN2at6native12_GLOBAL__N_135GammaBetaBackwardCUDAKernelTemplateIffLj32ELj1ELj32ELb1ELb0ELb1EEEvllPKT_S5_PKT0_S8_PS3_S9_.kd
    .uniform_work_group_size: 1
    .uses_dynamic_stack: false
    .vgpr_count:     256
    .vgpr_spill_count: 147
    .wavefront_size: 32
    .workgroup_processor_mode: 1
  - .args:
      - .offset:         0
        .size:           8
        .value_kind:     by_value
      - .offset:         8
        .size:           8
        .value_kind:     by_value
      - .actual_access:  read_only
        .address_space:  global
        .offset:         16
        .size:           8
        .value_kind:     global_buffer
      - .actual_access:  read_only
        .address_space:  global
        .offset:         24
        .size:           8
        .value_kind:     global_buffer
      - .actual_access:  read_only
        .address_space:  global
        .offset:         32
        .size:           8
        .value_kind:     global_buffer
      - .actual_access:  read_only
        .address_space:  global
        .offset:         40
        .size:           8
        .value_kind:     global_buffer
      - .actual_access:  write_only
        .address_space:  global
        .offset:         48
        .size:           8
        .value_kind:     global_buffer
      - .actual_access:  read_only
        .address_space:  global
        .offset:         56
        .size:           8
        .value_kind:     global_buffer
      - .offset:         64
        .size:           4
        .value_kind:     hidden_block_count_x
      - .offset:         68
        .size:           4
        .value_kind:     hidden_block_count_y
      - .offset:         72
        .size:           4
        .value_kind:     hidden_block_count_z
      - .offset:         76
        .size:           2
        .value_kind:     hidden_group_size_x
      - .offset:         78
        .size:           2
        .value_kind:     hidden_group_size_y
      - .offset:         80
        .size:           2
        .value_kind:     hidden_group_size_z
      - .offset:         82
        .size:           2
        .value_kind:     hidden_remainder_x
      - .offset:         84
        .size:           2
        .value_kind:     hidden_remainder_y
      - .offset:         86
        .size:           2
        .value_kind:     hidden_remainder_z
      - .offset:         104
        .size:           8
        .value_kind:     hidden_global_offset_x
      - .offset:         112
        .size:           8
        .value_kind:     hidden_global_offset_y
      - .offset:         120
        .size:           8
        .value_kind:     hidden_global_offset_z
      - .offset:         128
        .size:           2
        .value_kind:     hidden_grid_dims
    .group_segment_fixed_size: 0
    .kernarg_segment_align: 8
    .kernarg_segment_size: 320
    .language:       OpenCL C
    .language_version:
      - 2
      - 0
    .max_flat_workgroup_size: 32
    .name:           _ZN2at6native12_GLOBAL__N_135GammaBetaBackwardCUDAKernelTemplateIffLj32ELj1ELj8ELb1ELb1ELb1EEEvllPKT_S5_PKT0_S8_PS3_S9_
    .private_segment_fixed_size: 0
    .sgpr_count:     28
    .sgpr_spill_count: 0
    .symbol:         _ZN2at6native12_GLOBAL__N_135GammaBetaBackwardCUDAKernelTemplateIffLj32ELj1ELj8ELb1ELb1ELb1EEEvllPKT_S5_PKT0_S8_PS3_S9_.kd
    .uniform_work_group_size: 1
    .uses_dynamic_stack: false
    .vgpr_count:     40
    .vgpr_spill_count: 0
    .wavefront_size: 32
    .workgroup_processor_mode: 1
  - .args:
      - .offset:         0
        .size:           8
        .value_kind:     by_value
      - .offset:         8
        .size:           8
        .value_kind:     by_value
      - .actual_access:  read_only
        .address_space:  global
        .offset:         16
        .size:           8
        .value_kind:     global_buffer
      - .actual_access:  read_only
        .address_space:  global
        .offset:         24
        .size:           8
        .value_kind:     global_buffer
      - .actual_access:  read_only
        .address_space:  global
        .offset:         32
        .size:           8
        .value_kind:     global_buffer
      - .actual_access:  read_only
        .address_space:  global
        .offset:         40
        .size:           8
        .value_kind:     global_buffer
      - .actual_access:  write_only
        .address_space:  global
        .offset:         48
        .size:           8
        .value_kind:     global_buffer
      - .actual_access:  read_only
        .address_space:  global
        .offset:         56
        .size:           8
        .value_kind:     global_buffer
      - .offset:         64
        .size:           4
        .value_kind:     hidden_block_count_x
      - .offset:         68
        .size:           4
        .value_kind:     hidden_block_count_y
      - .offset:         72
        .size:           4
        .value_kind:     hidden_block_count_z
      - .offset:         76
        .size:           2
        .value_kind:     hidden_group_size_x
      - .offset:         78
        .size:           2
        .value_kind:     hidden_group_size_y
      - .offset:         80
        .size:           2
        .value_kind:     hidden_group_size_z
      - .offset:         82
        .size:           2
        .value_kind:     hidden_remainder_x
      - .offset:         84
        .size:           2
        .value_kind:     hidden_remainder_y
      - .offset:         86
        .size:           2
        .value_kind:     hidden_remainder_z
      - .offset:         104
        .size:           8
        .value_kind:     hidden_global_offset_x
      - .offset:         112
        .size:           8
        .value_kind:     hidden_global_offset_y
      - .offset:         120
        .size:           8
        .value_kind:     hidden_global_offset_z
      - .offset:         128
        .size:           2
        .value_kind:     hidden_grid_dims
    .group_segment_fixed_size: 0
    .kernarg_segment_align: 8
    .kernarg_segment_size: 320
    .language:       OpenCL C
    .language_version:
      - 2
      - 0
    .max_flat_workgroup_size: 32
    .name:           _ZN2at6native12_GLOBAL__N_135GammaBetaBackwardCUDAKernelTemplateIffLj32ELj1ELj8ELb1ELb0ELb1EEEvllPKT_S5_PKT0_S8_PS3_S9_
    .private_segment_fixed_size: 0
    .sgpr_count:     32
    .sgpr_spill_count: 0
    .symbol:         _ZN2at6native12_GLOBAL__N_135GammaBetaBackwardCUDAKernelTemplateIffLj32ELj1ELj8ELb1ELb0ELb1EEEvllPKT_S5_PKT0_S8_PS3_S9_.kd
    .uniform_work_group_size: 1
    .uses_dynamic_stack: false
    .vgpr_count:     92
    .vgpr_spill_count: 0
    .wavefront_size: 32
    .workgroup_processor_mode: 1
  - .args:
      - .offset:         0
        .size:           8
        .value_kind:     by_value
      - .offset:         8
        .size:           8
        .value_kind:     by_value
      - .actual_access:  read_only
        .address_space:  global
        .offset:         16
        .size:           8
        .value_kind:     global_buffer
      - .actual_access:  read_only
        .address_space:  global
        .offset:         24
        .size:           8
        .value_kind:     global_buffer
      - .actual_access:  read_only
        .address_space:  global
        .offset:         32
        .size:           8
        .value_kind:     global_buffer
      - .actual_access:  read_only
        .address_space:  global
        .offset:         40
        .size:           8
        .value_kind:     global_buffer
      - .actual_access:  write_only
        .address_space:  global
        .offset:         48
        .size:           8
        .value_kind:     global_buffer
      - .actual_access:  read_only
        .address_space:  global
        .offset:         56
        .size:           8
        .value_kind:     global_buffer
      - .offset:         64
        .size:           4
        .value_kind:     hidden_block_count_x
      - .offset:         68
        .size:           4
        .value_kind:     hidden_block_count_y
      - .offset:         72
        .size:           4
        .value_kind:     hidden_block_count_z
      - .offset:         76
        .size:           2
        .value_kind:     hidden_group_size_x
      - .offset:         78
        .size:           2
        .value_kind:     hidden_group_size_y
      - .offset:         80
        .size:           2
        .value_kind:     hidden_group_size_z
      - .offset:         82
        .size:           2
        .value_kind:     hidden_remainder_x
      - .offset:         84
        .size:           2
        .value_kind:     hidden_remainder_y
      - .offset:         86
        .size:           2
        .value_kind:     hidden_remainder_z
      - .offset:         104
        .size:           8
        .value_kind:     hidden_global_offset_x
      - .offset:         112
        .size:           8
        .value_kind:     hidden_global_offset_y
      - .offset:         120
        .size:           8
        .value_kind:     hidden_global_offset_z
      - .offset:         128
        .size:           2
        .value_kind:     hidden_grid_dims
      - .offset:         184
        .size:           4
        .value_kind:     hidden_dynamic_lds_size
    .group_segment_fixed_size: 0
    .kernarg_segment_align: 8
    .kernarg_segment_size: 320
    .language:       OpenCL C
    .language_version:
      - 2
      - 0
    .max_flat_workgroup_size: 256
    .name:           _ZN2at6native12_GLOBAL__N_135GammaBetaBackwardCUDAKernelTemplateIffLj32ELj8ELj64ELb0ELb1ELb1EEEvllPKT_S5_PKT0_S8_PS3_S9_
    .private_segment_fixed_size: 0
    .sgpr_count:     24
    .sgpr_spill_count: 0
    .symbol:         _ZN2at6native12_GLOBAL__N_135GammaBetaBackwardCUDAKernelTemplateIffLj32ELj8ELj64ELb0ELb1ELb1EEEvllPKT_S5_PKT0_S8_PS3_S9_.kd
    .uniform_work_group_size: 1
    .uses_dynamic_stack: false
    .vgpr_count:     40
    .vgpr_spill_count: 0
    .wavefront_size: 32
    .workgroup_processor_mode: 1
  - .args:
      - .offset:         0
        .size:           8
        .value_kind:     by_value
      - .offset:         8
        .size:           8
        .value_kind:     by_value
      - .actual_access:  read_only
        .address_space:  global
        .offset:         16
        .size:           8
        .value_kind:     global_buffer
      - .actual_access:  read_only
        .address_space:  global
        .offset:         24
        .size:           8
        .value_kind:     global_buffer
      - .actual_access:  read_only
        .address_space:  global
        .offset:         32
        .size:           8
        .value_kind:     global_buffer
      - .actual_access:  read_only
        .address_space:  global
        .offset:         40
        .size:           8
        .value_kind:     global_buffer
      - .actual_access:  write_only
        .address_space:  global
        .offset:         48
        .size:           8
        .value_kind:     global_buffer
      - .actual_access:  read_only
        .address_space:  global
        .offset:         56
        .size:           8
        .value_kind:     global_buffer
      - .offset:         64
        .size:           4
        .value_kind:     hidden_block_count_x
      - .offset:         68
        .size:           4
        .value_kind:     hidden_block_count_y
      - .offset:         72
        .size:           4
        .value_kind:     hidden_block_count_z
      - .offset:         76
        .size:           2
        .value_kind:     hidden_group_size_x
      - .offset:         78
        .size:           2
        .value_kind:     hidden_group_size_y
      - .offset:         80
        .size:           2
        .value_kind:     hidden_group_size_z
      - .offset:         82
        .size:           2
        .value_kind:     hidden_remainder_x
      - .offset:         84
        .size:           2
        .value_kind:     hidden_remainder_y
      - .offset:         86
        .size:           2
        .value_kind:     hidden_remainder_z
      - .offset:         104
        .size:           8
        .value_kind:     hidden_global_offset_x
      - .offset:         112
        .size:           8
        .value_kind:     hidden_global_offset_y
      - .offset:         120
        .size:           8
        .value_kind:     hidden_global_offset_z
      - .offset:         128
        .size:           2
        .value_kind:     hidden_grid_dims
      - .offset:         184
        .size:           4
        .value_kind:     hidden_dynamic_lds_size
    .group_segment_fixed_size: 0
    .kernarg_segment_align: 8
    .kernarg_segment_size: 320
    .language:       OpenCL C
    .language_version:
      - 2
      - 0
    .max_flat_workgroup_size: 256
    .name:           _ZN2at6native12_GLOBAL__N_135GammaBetaBackwardCUDAKernelTemplateIffLj32ELj8ELj64ELb0ELb0ELb1EEEvllPKT_S5_PKT0_S8_PS3_S9_
    .private_segment_fixed_size: 0
    .sgpr_count:     32
    .sgpr_spill_count: 0
    .symbol:         _ZN2at6native12_GLOBAL__N_135GammaBetaBackwardCUDAKernelTemplateIffLj32ELj8ELj64ELb0ELb0ELb1EEEvllPKT_S5_PKT0_S8_PS3_S9_.kd
    .uniform_work_group_size: 1
    .uses_dynamic_stack: false
    .vgpr_count:     91
    .vgpr_spill_count: 0
    .wavefront_size: 32
    .workgroup_processor_mode: 1
  - .args:
      - .offset:         0
        .size:           8
        .value_kind:     by_value
      - .offset:         8
        .size:           8
        .value_kind:     by_value
      - .actual_access:  read_only
        .address_space:  global
        .offset:         16
        .size:           8
        .value_kind:     global_buffer
      - .actual_access:  read_only
        .address_space:  global
        .offset:         24
        .size:           8
        .value_kind:     global_buffer
      - .actual_access:  read_only
        .address_space:  global
        .offset:         32
        .size:           8
        .value_kind:     global_buffer
      - .actual_access:  read_only
        .address_space:  global
        .offset:         40
        .size:           8
        .value_kind:     global_buffer
      - .actual_access:  write_only
        .address_space:  global
        .offset:         48
        .size:           8
        .value_kind:     global_buffer
      - .actual_access:  read_only
        .address_space:  global
        .offset:         56
        .size:           8
        .value_kind:     global_buffer
      - .offset:         64
        .size:           4
        .value_kind:     hidden_block_count_x
      - .offset:         68
        .size:           4
        .value_kind:     hidden_block_count_y
      - .offset:         72
        .size:           4
        .value_kind:     hidden_block_count_z
      - .offset:         76
        .size:           2
        .value_kind:     hidden_group_size_x
      - .offset:         78
        .size:           2
        .value_kind:     hidden_group_size_y
      - .offset:         80
        .size:           2
        .value_kind:     hidden_group_size_z
      - .offset:         82
        .size:           2
        .value_kind:     hidden_remainder_x
      - .offset:         84
        .size:           2
        .value_kind:     hidden_remainder_y
      - .offset:         86
        .size:           2
        .value_kind:     hidden_remainder_z
      - .offset:         104
        .size:           8
        .value_kind:     hidden_global_offset_x
      - .offset:         112
        .size:           8
        .value_kind:     hidden_global_offset_y
      - .offset:         120
        .size:           8
        .value_kind:     hidden_global_offset_z
      - .offset:         128
        .size:           2
        .value_kind:     hidden_grid_dims
      - .offset:         184
        .size:           4
        .value_kind:     hidden_dynamic_lds_size
    .group_segment_fixed_size: 0
    .kernarg_segment_align: 8
    .kernarg_segment_size: 320
    .language:       OpenCL C
    .language_version:
      - 2
      - 0
    .max_flat_workgroup_size: 512
    .name:           _ZN2at6native12_GLOBAL__N_135GammaBetaBackwardCUDAKernelTemplateIffLj32ELj16ELj128ELb0ELb1ELb1EEEvllPKT_S5_PKT0_S8_PS3_S9_
    .private_segment_fixed_size: 0
    .sgpr_count:     24
    .sgpr_spill_count: 0
    .symbol:         _ZN2at6native12_GLOBAL__N_135GammaBetaBackwardCUDAKernelTemplateIffLj32ELj16ELj128ELb0ELb1ELb1EEEvllPKT_S5_PKT0_S8_PS3_S9_.kd
    .uniform_work_group_size: 1
    .uses_dynamic_stack: false
    .vgpr_count:     40
    .vgpr_spill_count: 0
    .wavefront_size: 32
    .workgroup_processor_mode: 1
  - .args:
      - .offset:         0
        .size:           8
        .value_kind:     by_value
      - .offset:         8
        .size:           8
        .value_kind:     by_value
      - .actual_access:  read_only
        .address_space:  global
        .offset:         16
        .size:           8
        .value_kind:     global_buffer
      - .actual_access:  read_only
        .address_space:  global
        .offset:         24
        .size:           8
        .value_kind:     global_buffer
      - .actual_access:  read_only
        .address_space:  global
        .offset:         32
        .size:           8
        .value_kind:     global_buffer
      - .actual_access:  read_only
        .address_space:  global
        .offset:         40
        .size:           8
        .value_kind:     global_buffer
      - .actual_access:  write_only
        .address_space:  global
        .offset:         48
        .size:           8
        .value_kind:     global_buffer
      - .actual_access:  read_only
        .address_space:  global
        .offset:         56
        .size:           8
        .value_kind:     global_buffer
      - .offset:         64
        .size:           4
        .value_kind:     hidden_block_count_x
      - .offset:         68
        .size:           4
        .value_kind:     hidden_block_count_y
      - .offset:         72
        .size:           4
        .value_kind:     hidden_block_count_z
      - .offset:         76
        .size:           2
        .value_kind:     hidden_group_size_x
      - .offset:         78
        .size:           2
        .value_kind:     hidden_group_size_y
      - .offset:         80
        .size:           2
        .value_kind:     hidden_group_size_z
      - .offset:         82
        .size:           2
        .value_kind:     hidden_remainder_x
      - .offset:         84
        .size:           2
        .value_kind:     hidden_remainder_y
      - .offset:         86
        .size:           2
        .value_kind:     hidden_remainder_z
      - .offset:         104
        .size:           8
        .value_kind:     hidden_global_offset_x
      - .offset:         112
        .size:           8
        .value_kind:     hidden_global_offset_y
      - .offset:         120
        .size:           8
        .value_kind:     hidden_global_offset_z
      - .offset:         128
        .size:           2
        .value_kind:     hidden_grid_dims
      - .offset:         184
        .size:           4
        .value_kind:     hidden_dynamic_lds_size
    .group_segment_fixed_size: 0
    .kernarg_segment_align: 8
    .kernarg_segment_size: 320
    .language:       OpenCL C
    .language_version:
      - 2
      - 0
    .max_flat_workgroup_size: 512
    .name:           _ZN2at6native12_GLOBAL__N_135GammaBetaBackwardCUDAKernelTemplateIffLj32ELj16ELj128ELb0ELb0ELb1EEEvllPKT_S5_PKT0_S8_PS3_S9_
    .private_segment_fixed_size: 0
    .sgpr_count:     32
    .sgpr_spill_count: 0
    .symbol:         _ZN2at6native12_GLOBAL__N_135GammaBetaBackwardCUDAKernelTemplateIffLj32ELj16ELj128ELb0ELb0ELb1EEEvllPKT_S5_PKT0_S8_PS3_S9_.kd
    .uniform_work_group_size: 1
    .uses_dynamic_stack: false
    .vgpr_count:     91
    .vgpr_spill_count: 0
    .wavefront_size: 32
    .workgroup_processor_mode: 1
  - .args:
      - .offset:         0
        .size:           8
        .value_kind:     by_value
      - .offset:         8
        .size:           8
        .value_kind:     by_value
      - .actual_access:  read_only
        .address_space:  global
        .offset:         16
        .size:           8
        .value_kind:     global_buffer
      - .actual_access:  read_only
        .address_space:  global
        .offset:         24
        .size:           8
        .value_kind:     global_buffer
      - .actual_access:  read_only
        .address_space:  global
        .offset:         32
        .size:           8
        .value_kind:     global_buffer
      - .actual_access:  read_only
        .address_space:  global
        .offset:         40
        .size:           8
        .value_kind:     global_buffer
      - .actual_access:  write_only
        .address_space:  global
        .offset:         48
        .size:           8
        .value_kind:     global_buffer
      - .actual_access:  read_only
        .address_space:  global
        .offset:         56
        .size:           8
        .value_kind:     global_buffer
      - .offset:         64
        .size:           4
        .value_kind:     hidden_block_count_x
      - .offset:         68
        .size:           4
        .value_kind:     hidden_block_count_y
      - .offset:         72
        .size:           4
        .value_kind:     hidden_block_count_z
      - .offset:         76
        .size:           2
        .value_kind:     hidden_group_size_x
      - .offset:         78
        .size:           2
        .value_kind:     hidden_group_size_y
      - .offset:         80
        .size:           2
        .value_kind:     hidden_group_size_z
      - .offset:         82
        .size:           2
        .value_kind:     hidden_remainder_x
      - .offset:         84
        .size:           2
        .value_kind:     hidden_remainder_y
      - .offset:         86
        .size:           2
        .value_kind:     hidden_remainder_z
      - .offset:         104
        .size:           8
        .value_kind:     hidden_global_offset_x
      - .offset:         112
        .size:           8
        .value_kind:     hidden_global_offset_y
      - .offset:         120
        .size:           8
        .value_kind:     hidden_global_offset_z
      - .offset:         128
        .size:           2
        .value_kind:     hidden_grid_dims
      - .offset:         184
        .size:           4
        .value_kind:     hidden_dynamic_lds_size
    .group_segment_fixed_size: 0
    .kernarg_segment_align: 8
    .kernarg_segment_size: 320
    .language:       OpenCL C
    .language_version:
      - 2
      - 0
    .max_flat_workgroup_size: 1024
    .name:           _ZN2at6native12_GLOBAL__N_135GammaBetaBackwardCUDAKernelTemplateIffLj32ELj32ELj256ELb0ELb1ELb1EEEvllPKT_S5_PKT0_S8_PS3_S9_
    .private_segment_fixed_size: 0
    .sgpr_count:     24
    .sgpr_spill_count: 0
    .symbol:         _ZN2at6native12_GLOBAL__N_135GammaBetaBackwardCUDAKernelTemplateIffLj32ELj32ELj256ELb0ELb1ELb1EEEvllPKT_S5_PKT0_S8_PS3_S9_.kd
    .uniform_work_group_size: 1
    .uses_dynamic_stack: false
    .vgpr_count:     40
    .vgpr_spill_count: 0
    .wavefront_size: 32
    .workgroup_processor_mode: 1
  - .args:
      - .offset:         0
        .size:           8
        .value_kind:     by_value
      - .offset:         8
        .size:           8
        .value_kind:     by_value
      - .actual_access:  read_only
        .address_space:  global
        .offset:         16
        .size:           8
        .value_kind:     global_buffer
      - .actual_access:  read_only
        .address_space:  global
        .offset:         24
        .size:           8
        .value_kind:     global_buffer
      - .actual_access:  read_only
        .address_space:  global
        .offset:         32
        .size:           8
        .value_kind:     global_buffer
      - .actual_access:  read_only
        .address_space:  global
        .offset:         40
        .size:           8
        .value_kind:     global_buffer
      - .actual_access:  write_only
        .address_space:  global
        .offset:         48
        .size:           8
        .value_kind:     global_buffer
      - .actual_access:  read_only
        .address_space:  global
        .offset:         56
        .size:           8
        .value_kind:     global_buffer
      - .offset:         64
        .size:           4
        .value_kind:     hidden_block_count_x
      - .offset:         68
        .size:           4
        .value_kind:     hidden_block_count_y
      - .offset:         72
        .size:           4
        .value_kind:     hidden_block_count_z
      - .offset:         76
        .size:           2
        .value_kind:     hidden_group_size_x
      - .offset:         78
        .size:           2
        .value_kind:     hidden_group_size_y
      - .offset:         80
        .size:           2
        .value_kind:     hidden_group_size_z
      - .offset:         82
        .size:           2
        .value_kind:     hidden_remainder_x
      - .offset:         84
        .size:           2
        .value_kind:     hidden_remainder_y
      - .offset:         86
        .size:           2
        .value_kind:     hidden_remainder_z
      - .offset:         104
        .size:           8
        .value_kind:     hidden_global_offset_x
      - .offset:         112
        .size:           8
        .value_kind:     hidden_global_offset_y
      - .offset:         120
        .size:           8
        .value_kind:     hidden_global_offset_z
      - .offset:         128
        .size:           2
        .value_kind:     hidden_grid_dims
      - .offset:         184
        .size:           4
        .value_kind:     hidden_dynamic_lds_size
    .group_segment_fixed_size: 0
    .kernarg_segment_align: 8
    .kernarg_segment_size: 320
    .language:       OpenCL C
    .language_version:
      - 2
      - 0
    .max_flat_workgroup_size: 1024
    .name:           _ZN2at6native12_GLOBAL__N_135GammaBetaBackwardCUDAKernelTemplateIffLj32ELj32ELj256ELb0ELb0ELb1EEEvllPKT_S5_PKT0_S8_PS3_S9_
    .private_segment_fixed_size: 0
    .sgpr_count:     32
    .sgpr_spill_count: 0
    .symbol:         _ZN2at6native12_GLOBAL__N_135GammaBetaBackwardCUDAKernelTemplateIffLj32ELj32ELj256ELb0ELb0ELb1EEEvllPKT_S5_PKT0_S8_PS3_S9_.kd
    .uniform_work_group_size: 1
    .uses_dynamic_stack: false
    .vgpr_count:     91
    .vgpr_spill_count: 0
    .wavefront_size: 32
    .workgroup_processor_mode: 1
  - .args:
      - .actual_access:  read_only
        .address_space:  global
        .offset:         0
        .size:           8
        .value_kind:     global_buffer
      - .actual_access:  read_only
        .address_space:  global
        .offset:         8
        .size:           8
        .value_kind:     global_buffer
      - .offset:         16
        .size:           8
        .value_kind:     by_value
      - .offset:         24
        .size:           8
        .value_kind:     by_value
      - .actual_access:  read_only
        .address_space:  global
        .offset:         32
        .size:           8
        .value_kind:     global_buffer
      - .actual_access:  read_only
        .address_space:  global
        .offset:         40
        .size:           8
        .value_kind:     global_buffer
      - .address_space:  global
        .offset:         48
        .size:           8
        .value_kind:     global_buffer
      - .address_space:  global
        .offset:         56
        .size:           8
        .value_kind:     global_buffer
      - .offset:         64
        .size:           4
        .value_kind:     hidden_block_count_x
      - .offset:         68
        .size:           4
        .value_kind:     hidden_block_count_y
      - .offset:         72
        .size:           4
        .value_kind:     hidden_block_count_z
      - .offset:         76
        .size:           2
        .value_kind:     hidden_group_size_x
      - .offset:         78
        .size:           2
        .value_kind:     hidden_group_size_y
      - .offset:         80
        .size:           2
        .value_kind:     hidden_group_size_z
      - .offset:         82
        .size:           2
        .value_kind:     hidden_remainder_x
      - .offset:         84
        .size:           2
        .value_kind:     hidden_remainder_y
      - .offset:         86
        .size:           2
        .value_kind:     hidden_remainder_z
      - .offset:         104
        .size:           8
        .value_kind:     hidden_global_offset_x
      - .offset:         112
        .size:           8
        .value_kind:     hidden_global_offset_y
      - .offset:         120
        .size:           8
        .value_kind:     hidden_global_offset_z
      - .offset:         128
        .size:           2
        .value_kind:     hidden_grid_dims
      - .offset:         184
        .size:           4
        .value_kind:     hidden_dynamic_lds_size
    .group_segment_fixed_size: 0
    .kernarg_segment_align: 8
    .kernarg_segment_size: 320
    .language:       OpenCL C
    .language_version:
      - 2
      - 0
    .max_flat_workgroup_size: 1024
    .name:           _ZN2at6native12_GLOBAL__N_118cuComputeGradInputIN3c104HalfEfLb1EEEvPKT_S7_llPKT0_SA_S7_PS5_
    .private_segment_fixed_size: 0
    .sgpr_count:     41
    .sgpr_spill_count: 0
    .symbol:         _ZN2at6native12_GLOBAL__N_118cuComputeGradInputIN3c104HalfEfLb1EEEvPKT_S7_llPKT0_SA_S7_PS5_.kd
    .uniform_work_group_size: 1
    .uses_dynamic_stack: false
    .vgpr_count:     23
    .vgpr_spill_count: 0
    .wavefront_size: 32
    .workgroup_processor_mode: 1
  - .args:
      - .actual_access:  read_only
        .address_space:  global
        .offset:         0
        .size:           8
        .value_kind:     global_buffer
      - .actual_access:  read_only
        .address_space:  global
        .offset:         8
        .size:           8
        .value_kind:     global_buffer
      - .actual_access:  read_only
        .address_space:  global
        .offset:         16
        .size:           8
        .value_kind:     global_buffer
      - .actual_access:  read_only
        .address_space:  global
        .offset:         24
        .size:           8
        .value_kind:     global_buffer
      - .actual_access:  read_only
        .address_space:  global
        .offset:         32
        .size:           8
        .value_kind:     global_buffer
      - .address_space:  global
        .offset:         40
        .size:           8
        .value_kind:     global_buffer
      - .offset:         48
        .size:           4
        .value_kind:     by_value
      - .offset:         56
        .size:           4
        .value_kind:     hidden_block_count_x
      - .offset:         60
        .size:           4
        .value_kind:     hidden_block_count_y
      - .offset:         64
        .size:           4
        .value_kind:     hidden_block_count_z
      - .offset:         68
        .size:           2
        .value_kind:     hidden_group_size_x
      - .offset:         70
        .size:           2
        .value_kind:     hidden_group_size_y
      - .offset:         72
        .size:           2
        .value_kind:     hidden_group_size_z
      - .offset:         74
        .size:           2
        .value_kind:     hidden_remainder_x
      - .offset:         76
        .size:           2
        .value_kind:     hidden_remainder_y
      - .offset:         78
        .size:           2
        .value_kind:     hidden_remainder_z
      - .offset:         96
        .size:           8
        .value_kind:     hidden_global_offset_x
      - .offset:         104
        .size:           8
        .value_kind:     hidden_global_offset_y
      - .offset:         112
        .size:           8
        .value_kind:     hidden_global_offset_z
      - .offset:         120
        .size:           2
        .value_kind:     hidden_grid_dims
      - .offset:         176
        .size:           4
        .value_kind:     hidden_dynamic_lds_size
    .group_segment_fixed_size: 0
    .kernarg_segment_align: 8
    .kernarg_segment_size: 312
    .language:       OpenCL C
    .language_version:
      - 2
      - 0
    .max_flat_workgroup_size: 1024
    .name:           _ZN2at6native12_GLOBAL__N_128layer_norm_grad_input_kernelIN3c104HalfEfLb1EEEvPKT_S7_PKT0_SA_S7_PS5_i
    .private_segment_fixed_size: 0
    .sgpr_count:     22
    .sgpr_spill_count: 0
    .symbol:         _ZN2at6native12_GLOBAL__N_128layer_norm_grad_input_kernelIN3c104HalfEfLb1EEEvPKT_S7_PKT0_SA_S7_PS5_i.kd
    .uniform_work_group_size: 1
    .uses_dynamic_stack: false
    .vgpr_count:     20
    .vgpr_spill_count: 0
    .wavefront_size: 32
    .workgroup_processor_mode: 1
  - .args:
      - .offset:         0
        .size:           8
        .value_kind:     by_value
      - .offset:         8
        .size:           8
        .value_kind:     by_value
      - .address_space:  global
        .offset:         16
        .size:           8
        .value_kind:     global_buffer
      - .address_space:  global
        .offset:         24
        .size:           8
        .value_kind:     global_buffer
      - .address_space:  global
        .offset:         32
        .size:           8
        .value_kind:     global_buffer
      - .address_space:  global
        .offset:         40
        .size:           8
        .value_kind:     global_buffer
      - .address_space:  global
        .offset:         48
        .size:           8
        .value_kind:     global_buffer
      - .address_space:  global
        .offset:         56
        .size:           8
        .value_kind:     global_buffer
      - .offset:         64
        .size:           4
        .value_kind:     hidden_block_count_x
      - .offset:         68
        .size:           4
        .value_kind:     hidden_block_count_y
      - .offset:         72
        .size:           4
        .value_kind:     hidden_block_count_z
      - .offset:         76
        .size:           2
        .value_kind:     hidden_group_size_x
      - .offset:         78
        .size:           2
        .value_kind:     hidden_group_size_y
      - .offset:         80
        .size:           2
        .value_kind:     hidden_group_size_z
      - .offset:         82
        .size:           2
        .value_kind:     hidden_remainder_x
      - .offset:         84
        .size:           2
        .value_kind:     hidden_remainder_y
      - .offset:         86
        .size:           2
        .value_kind:     hidden_remainder_z
      - .offset:         104
        .size:           8
        .value_kind:     hidden_global_offset_x
      - .offset:         112
        .size:           8
        .value_kind:     hidden_global_offset_y
      - .offset:         120
        .size:           8
        .value_kind:     hidden_global_offset_z
      - .offset:         128
        .size:           2
        .value_kind:     hidden_grid_dims
    .group_segment_fixed_size: 0
    .kernarg_segment_align: 8
    .kernarg_segment_size: 320
    .language:       OpenCL C
    .language_version:
      - 2
      - 0
    .max_flat_workgroup_size: 1024
    .name:           _ZN2at6native12_GLOBAL__N_133GammaBetaBackwardSimpleCUDAKernelIN3c104HalfEfLb1EEEvllPKT_S7_PKT0_SA_PS5_SB_
    .private_segment_fixed_size: 0
    .sgpr_count:     18
    .sgpr_spill_count: 0
    .symbol:         _ZN2at6native12_GLOBAL__N_133GammaBetaBackwardSimpleCUDAKernelIN3c104HalfEfLb1EEEvllPKT_S7_PKT0_SA_PS5_SB_.kd
    .uniform_work_group_size: 1
    .uses_dynamic_stack: false
    .vgpr_count:     9
    .vgpr_spill_count: 0
    .wavefront_size: 32
    .workgroup_processor_mode: 1
  - .args:
      - .offset:         0
        .size:           8
        .value_kind:     by_value
      - .offset:         8
        .size:           8
        .value_kind:     by_value
      - .actual_access:  read_only
        .address_space:  global
        .offset:         16
        .size:           8
        .value_kind:     global_buffer
      - .actual_access:  read_only
        .address_space:  global
        .offset:         24
        .size:           8
        .value_kind:     global_buffer
      - .actual_access:  read_only
        .address_space:  global
        .offset:         32
        .size:           8
        .value_kind:     global_buffer
      - .actual_access:  read_only
        .address_space:  global
        .offset:         40
        .size:           8
        .value_kind:     global_buffer
      - .actual_access:  write_only
        .address_space:  global
        .offset:         48
        .size:           8
        .value_kind:     global_buffer
      - .actual_access:  read_only
        .address_space:  global
        .offset:         56
        .size:           8
        .value_kind:     global_buffer
      - .offset:         64
        .size:           4
        .value_kind:     hidden_block_count_x
      - .offset:         68
        .size:           4
        .value_kind:     hidden_block_count_y
      - .offset:         72
        .size:           4
        .value_kind:     hidden_block_count_z
      - .offset:         76
        .size:           2
        .value_kind:     hidden_group_size_x
      - .offset:         78
        .size:           2
        .value_kind:     hidden_group_size_y
      - .offset:         80
        .size:           2
        .value_kind:     hidden_group_size_z
      - .offset:         82
        .size:           2
        .value_kind:     hidden_remainder_x
      - .offset:         84
        .size:           2
        .value_kind:     hidden_remainder_y
      - .offset:         86
        .size:           2
        .value_kind:     hidden_remainder_z
      - .offset:         104
        .size:           8
        .value_kind:     hidden_global_offset_x
      - .offset:         112
        .size:           8
        .value_kind:     hidden_global_offset_y
      - .offset:         120
        .size:           8
        .value_kind:     hidden_global_offset_z
      - .offset:         128
        .size:           2
        .value_kind:     hidden_grid_dims
    .group_segment_fixed_size: 0
    .kernarg_segment_align: 8
    .kernarg_segment_size: 320
    .language:       OpenCL C
    .language_version:
      - 2
      - 0
    .max_flat_workgroup_size: 64
    .name:           _ZN2at6native12_GLOBAL__N_135GammaBetaBackwardCUDAKernelTemplateIN3c104HalfEfLj64ELj1ELj32ELb1ELb1ELb1EEEvllPKT_S7_PKT0_SA_PS5_SB_
    .private_segment_fixed_size: 0
    .sgpr_count:     26
    .sgpr_spill_count: 0
    .symbol:         _ZN2at6native12_GLOBAL__N_135GammaBetaBackwardCUDAKernelTemplateIN3c104HalfEfLj64ELj1ELj32ELb1ELb1ELb1EEEvllPKT_S7_PKT0_SA_PS5_SB_.kd
    .uniform_work_group_size: 1
    .uses_dynamic_stack: false
    .vgpr_count:     63
    .vgpr_spill_count: 0
    .wavefront_size: 32
    .workgroup_processor_mode: 1
  - .args:
      - .offset:         0
        .size:           8
        .value_kind:     by_value
      - .offset:         8
        .size:           8
        .value_kind:     by_value
      - .actual_access:  read_only
        .address_space:  global
        .offset:         16
        .size:           8
        .value_kind:     global_buffer
      - .actual_access:  read_only
        .address_space:  global
        .offset:         24
        .size:           8
        .value_kind:     global_buffer
      - .actual_access:  read_only
        .address_space:  global
        .offset:         32
        .size:           8
        .value_kind:     global_buffer
      - .actual_access:  read_only
        .address_space:  global
        .offset:         40
        .size:           8
        .value_kind:     global_buffer
      - .actual_access:  write_only
        .address_space:  global
        .offset:         48
        .size:           8
        .value_kind:     global_buffer
      - .actual_access:  read_only
        .address_space:  global
        .offset:         56
        .size:           8
        .value_kind:     global_buffer
      - .offset:         64
        .size:           4
        .value_kind:     hidden_block_count_x
      - .offset:         68
        .size:           4
        .value_kind:     hidden_block_count_y
      - .offset:         72
        .size:           4
        .value_kind:     hidden_block_count_z
      - .offset:         76
        .size:           2
        .value_kind:     hidden_group_size_x
      - .offset:         78
        .size:           2
        .value_kind:     hidden_group_size_y
      - .offset:         80
        .size:           2
        .value_kind:     hidden_group_size_z
      - .offset:         82
        .size:           2
        .value_kind:     hidden_remainder_x
      - .offset:         84
        .size:           2
        .value_kind:     hidden_remainder_y
      - .offset:         86
        .size:           2
        .value_kind:     hidden_remainder_z
      - .offset:         104
        .size:           8
        .value_kind:     hidden_global_offset_x
      - .offset:         112
        .size:           8
        .value_kind:     hidden_global_offset_y
      - .offset:         120
        .size:           8
        .value_kind:     hidden_global_offset_z
      - .offset:         128
        .size:           2
        .value_kind:     hidden_grid_dims
    .group_segment_fixed_size: 0
    .kernarg_segment_align: 8
    .kernarg_segment_size: 320
    .language:       OpenCL C
    .language_version:
      - 2
      - 0
    .max_flat_workgroup_size: 64
    .name:           _ZN2at6native12_GLOBAL__N_135GammaBetaBackwardCUDAKernelTemplateIN3c104HalfEfLj64ELj1ELj32ELb1ELb0ELb1EEEvllPKT_S7_PKT0_SA_PS5_SB_
    .private_segment_fixed_size: 300
    .sgpr_count:     42
    .sgpr_spill_count: 0
    .symbol:         _ZN2at6native12_GLOBAL__N_135GammaBetaBackwardCUDAKernelTemplateIN3c104HalfEfLj64ELj1ELj32ELb1ELb0ELb1EEEvllPKT_S7_PKT0_SA_PS5_SB_.kd
    .uniform_work_group_size: 1
    .uses_dynamic_stack: false
    .vgpr_count:     256
    .vgpr_spill_count: 147
    .wavefront_size: 32
    .workgroup_processor_mode: 1
  - .args:
      - .offset:         0
        .size:           8
        .value_kind:     by_value
      - .offset:         8
        .size:           8
        .value_kind:     by_value
      - .actual_access:  read_only
        .address_space:  global
        .offset:         16
        .size:           8
        .value_kind:     global_buffer
      - .actual_access:  read_only
        .address_space:  global
        .offset:         24
        .size:           8
        .value_kind:     global_buffer
      - .actual_access:  read_only
        .address_space:  global
        .offset:         32
        .size:           8
        .value_kind:     global_buffer
      - .actual_access:  read_only
        .address_space:  global
        .offset:         40
        .size:           8
        .value_kind:     global_buffer
      - .actual_access:  write_only
        .address_space:  global
        .offset:         48
        .size:           8
        .value_kind:     global_buffer
      - .actual_access:  read_only
        .address_space:  global
        .offset:         56
        .size:           8
        .value_kind:     global_buffer
      - .offset:         64
        .size:           4
        .value_kind:     hidden_block_count_x
      - .offset:         68
        .size:           4
        .value_kind:     hidden_block_count_y
      - .offset:         72
        .size:           4
        .value_kind:     hidden_block_count_z
      - .offset:         76
        .size:           2
        .value_kind:     hidden_group_size_x
      - .offset:         78
        .size:           2
        .value_kind:     hidden_group_size_y
      - .offset:         80
        .size:           2
        .value_kind:     hidden_group_size_z
      - .offset:         82
        .size:           2
        .value_kind:     hidden_remainder_x
      - .offset:         84
        .size:           2
        .value_kind:     hidden_remainder_y
      - .offset:         86
        .size:           2
        .value_kind:     hidden_remainder_z
      - .offset:         104
        .size:           8
        .value_kind:     hidden_global_offset_x
      - .offset:         112
        .size:           8
        .value_kind:     hidden_global_offset_y
      - .offset:         120
        .size:           8
        .value_kind:     hidden_global_offset_z
      - .offset:         128
        .size:           2
        .value_kind:     hidden_grid_dims
    .group_segment_fixed_size: 0
    .kernarg_segment_align: 8
    .kernarg_segment_size: 320
    .language:       OpenCL C
    .language_version:
      - 2
      - 0
    .max_flat_workgroup_size: 64
    .name:           _ZN2at6native12_GLOBAL__N_135GammaBetaBackwardCUDAKernelTemplateIN3c104HalfEfLj64ELj1ELj8ELb1ELb1ELb1EEEvllPKT_S7_PKT0_SA_PS5_SB_
    .private_segment_fixed_size: 0
    .sgpr_count:     28
    .sgpr_spill_count: 0
    .symbol:         _ZN2at6native12_GLOBAL__N_135GammaBetaBackwardCUDAKernelTemplateIN3c104HalfEfLj64ELj1ELj8ELb1ELb1ELb1EEEvllPKT_S7_PKT0_SA_PS5_SB_.kd
    .uniform_work_group_size: 1
    .uses_dynamic_stack: false
    .vgpr_count:     41
    .vgpr_spill_count: 0
    .wavefront_size: 32
    .workgroup_processor_mode: 1
  - .args:
      - .offset:         0
        .size:           8
        .value_kind:     by_value
      - .offset:         8
        .size:           8
        .value_kind:     by_value
      - .actual_access:  read_only
        .address_space:  global
        .offset:         16
        .size:           8
        .value_kind:     global_buffer
      - .actual_access:  read_only
        .address_space:  global
        .offset:         24
        .size:           8
        .value_kind:     global_buffer
      - .actual_access:  read_only
        .address_space:  global
        .offset:         32
        .size:           8
        .value_kind:     global_buffer
      - .actual_access:  read_only
        .address_space:  global
        .offset:         40
        .size:           8
        .value_kind:     global_buffer
      - .actual_access:  write_only
        .address_space:  global
        .offset:         48
        .size:           8
        .value_kind:     global_buffer
      - .actual_access:  read_only
        .address_space:  global
        .offset:         56
        .size:           8
        .value_kind:     global_buffer
      - .offset:         64
        .size:           4
        .value_kind:     hidden_block_count_x
      - .offset:         68
        .size:           4
        .value_kind:     hidden_block_count_y
      - .offset:         72
        .size:           4
        .value_kind:     hidden_block_count_z
      - .offset:         76
        .size:           2
        .value_kind:     hidden_group_size_x
      - .offset:         78
        .size:           2
        .value_kind:     hidden_group_size_y
      - .offset:         80
        .size:           2
        .value_kind:     hidden_group_size_z
      - .offset:         82
        .size:           2
        .value_kind:     hidden_remainder_x
      - .offset:         84
        .size:           2
        .value_kind:     hidden_remainder_y
      - .offset:         86
        .size:           2
        .value_kind:     hidden_remainder_z
      - .offset:         104
        .size:           8
        .value_kind:     hidden_global_offset_x
      - .offset:         112
        .size:           8
        .value_kind:     hidden_global_offset_y
      - .offset:         120
        .size:           8
        .value_kind:     hidden_global_offset_z
      - .offset:         128
        .size:           2
        .value_kind:     hidden_grid_dims
    .group_segment_fixed_size: 0
    .kernarg_segment_align: 8
    .kernarg_segment_size: 320
    .language:       OpenCL C
    .language_version:
      - 2
      - 0
    .max_flat_workgroup_size: 64
    .name:           _ZN2at6native12_GLOBAL__N_135GammaBetaBackwardCUDAKernelTemplateIN3c104HalfEfLj64ELj1ELj8ELb1ELb0ELb1EEEvllPKT_S7_PKT0_SA_PS5_SB_
    .private_segment_fixed_size: 0
    .sgpr_count:     32
    .sgpr_spill_count: 0
    .symbol:         _ZN2at6native12_GLOBAL__N_135GammaBetaBackwardCUDAKernelTemplateIN3c104HalfEfLj64ELj1ELj8ELb1ELb0ELb1EEEvllPKT_S7_PKT0_SA_PS5_SB_.kd
    .uniform_work_group_size: 1
    .uses_dynamic_stack: false
    .vgpr_count:     92
    .vgpr_spill_count: 0
    .wavefront_size: 32
    .workgroup_processor_mode: 1
  - .args:
      - .offset:         0
        .size:           8
        .value_kind:     by_value
      - .offset:         8
        .size:           8
        .value_kind:     by_value
      - .actual_access:  read_only
        .address_space:  global
        .offset:         16
        .size:           8
        .value_kind:     global_buffer
      - .actual_access:  read_only
        .address_space:  global
        .offset:         24
        .size:           8
        .value_kind:     global_buffer
      - .actual_access:  read_only
        .address_space:  global
        .offset:         32
        .size:           8
        .value_kind:     global_buffer
      - .actual_access:  read_only
        .address_space:  global
        .offset:         40
        .size:           8
        .value_kind:     global_buffer
      - .actual_access:  write_only
        .address_space:  global
        .offset:         48
        .size:           8
        .value_kind:     global_buffer
      - .actual_access:  read_only
        .address_space:  global
        .offset:         56
        .size:           8
        .value_kind:     global_buffer
      - .offset:         64
        .size:           4
        .value_kind:     hidden_block_count_x
      - .offset:         68
        .size:           4
        .value_kind:     hidden_block_count_y
      - .offset:         72
        .size:           4
        .value_kind:     hidden_block_count_z
      - .offset:         76
        .size:           2
        .value_kind:     hidden_group_size_x
      - .offset:         78
        .size:           2
        .value_kind:     hidden_group_size_y
      - .offset:         80
        .size:           2
        .value_kind:     hidden_group_size_z
      - .offset:         82
        .size:           2
        .value_kind:     hidden_remainder_x
      - .offset:         84
        .size:           2
        .value_kind:     hidden_remainder_y
      - .offset:         86
        .size:           2
        .value_kind:     hidden_remainder_z
      - .offset:         104
        .size:           8
        .value_kind:     hidden_global_offset_x
      - .offset:         112
        .size:           8
        .value_kind:     hidden_global_offset_y
      - .offset:         120
        .size:           8
        .value_kind:     hidden_global_offset_z
      - .offset:         128
        .size:           2
        .value_kind:     hidden_grid_dims
      - .offset:         184
        .size:           4
        .value_kind:     hidden_dynamic_lds_size
    .group_segment_fixed_size: 0
    .kernarg_segment_align: 8
    .kernarg_segment_size: 320
    .language:       OpenCL C
    .language_version:
      - 2
      - 0
    .max_flat_workgroup_size: 512
    .name:           _ZN2at6native12_GLOBAL__N_135GammaBetaBackwardCUDAKernelTemplateIN3c104HalfEfLj64ELj8ELj64ELb0ELb1ELb1EEEvllPKT_S7_PKT0_SA_PS5_SB_
    .private_segment_fixed_size: 0
    .sgpr_count:     24
    .sgpr_spill_count: 0
    .symbol:         _ZN2at6native12_GLOBAL__N_135GammaBetaBackwardCUDAKernelTemplateIN3c104HalfEfLj64ELj8ELj64ELb0ELb1ELb1EEEvllPKT_S7_PKT0_SA_PS5_SB_.kd
    .uniform_work_group_size: 1
    .uses_dynamic_stack: false
    .vgpr_count:     41
    .vgpr_spill_count: 0
    .wavefront_size: 32
    .workgroup_processor_mode: 1
  - .args:
      - .offset:         0
        .size:           8
        .value_kind:     by_value
      - .offset:         8
        .size:           8
        .value_kind:     by_value
      - .actual_access:  read_only
        .address_space:  global
        .offset:         16
        .size:           8
        .value_kind:     global_buffer
      - .actual_access:  read_only
        .address_space:  global
        .offset:         24
        .size:           8
        .value_kind:     global_buffer
      - .actual_access:  read_only
        .address_space:  global
        .offset:         32
        .size:           8
        .value_kind:     global_buffer
      - .actual_access:  read_only
        .address_space:  global
        .offset:         40
        .size:           8
        .value_kind:     global_buffer
      - .actual_access:  write_only
        .address_space:  global
        .offset:         48
        .size:           8
        .value_kind:     global_buffer
      - .actual_access:  read_only
        .address_space:  global
        .offset:         56
        .size:           8
        .value_kind:     global_buffer
      - .offset:         64
        .size:           4
        .value_kind:     hidden_block_count_x
      - .offset:         68
        .size:           4
        .value_kind:     hidden_block_count_y
      - .offset:         72
        .size:           4
        .value_kind:     hidden_block_count_z
      - .offset:         76
        .size:           2
        .value_kind:     hidden_group_size_x
      - .offset:         78
        .size:           2
        .value_kind:     hidden_group_size_y
      - .offset:         80
        .size:           2
        .value_kind:     hidden_group_size_z
      - .offset:         82
        .size:           2
        .value_kind:     hidden_remainder_x
      - .offset:         84
        .size:           2
        .value_kind:     hidden_remainder_y
      - .offset:         86
        .size:           2
        .value_kind:     hidden_remainder_z
      - .offset:         104
        .size:           8
        .value_kind:     hidden_global_offset_x
      - .offset:         112
        .size:           8
        .value_kind:     hidden_global_offset_y
      - .offset:         120
        .size:           8
        .value_kind:     hidden_global_offset_z
      - .offset:         128
        .size:           2
        .value_kind:     hidden_grid_dims
      - .offset:         184
        .size:           4
        .value_kind:     hidden_dynamic_lds_size
    .group_segment_fixed_size: 0
    .kernarg_segment_align: 8
    .kernarg_segment_size: 320
    .language:       OpenCL C
    .language_version:
      - 2
      - 0
    .max_flat_workgroup_size: 512
    .name:           _ZN2at6native12_GLOBAL__N_135GammaBetaBackwardCUDAKernelTemplateIN3c104HalfEfLj64ELj8ELj64ELb0ELb0ELb1EEEvllPKT_S7_PKT0_SA_PS5_SB_
    .private_segment_fixed_size: 0
    .sgpr_count:     32
    .sgpr_spill_count: 0
    .symbol:         _ZN2at6native12_GLOBAL__N_135GammaBetaBackwardCUDAKernelTemplateIN3c104HalfEfLj64ELj8ELj64ELb0ELb0ELb1EEEvllPKT_S7_PKT0_SA_PS5_SB_.kd
    .uniform_work_group_size: 1
    .uses_dynamic_stack: false
    .vgpr_count:     91
    .vgpr_spill_count: 0
    .wavefront_size: 32
    .workgroup_processor_mode: 1
  - .args:
      - .offset:         0
        .size:           8
        .value_kind:     by_value
      - .offset:         8
        .size:           8
        .value_kind:     by_value
      - .actual_access:  read_only
        .address_space:  global
        .offset:         16
        .size:           8
        .value_kind:     global_buffer
      - .actual_access:  read_only
        .address_space:  global
        .offset:         24
        .size:           8
        .value_kind:     global_buffer
      - .actual_access:  read_only
        .address_space:  global
        .offset:         32
        .size:           8
        .value_kind:     global_buffer
      - .actual_access:  read_only
        .address_space:  global
        .offset:         40
        .size:           8
        .value_kind:     global_buffer
      - .actual_access:  write_only
        .address_space:  global
        .offset:         48
        .size:           8
        .value_kind:     global_buffer
      - .actual_access:  read_only
        .address_space:  global
        .offset:         56
        .size:           8
        .value_kind:     global_buffer
      - .offset:         64
        .size:           4
        .value_kind:     hidden_block_count_x
      - .offset:         68
        .size:           4
        .value_kind:     hidden_block_count_y
      - .offset:         72
        .size:           4
        .value_kind:     hidden_block_count_z
      - .offset:         76
        .size:           2
        .value_kind:     hidden_group_size_x
      - .offset:         78
        .size:           2
        .value_kind:     hidden_group_size_y
      - .offset:         80
        .size:           2
        .value_kind:     hidden_group_size_z
      - .offset:         82
        .size:           2
        .value_kind:     hidden_remainder_x
      - .offset:         84
        .size:           2
        .value_kind:     hidden_remainder_y
      - .offset:         86
        .size:           2
        .value_kind:     hidden_remainder_z
      - .offset:         104
        .size:           8
        .value_kind:     hidden_global_offset_x
      - .offset:         112
        .size:           8
        .value_kind:     hidden_global_offset_y
      - .offset:         120
        .size:           8
        .value_kind:     hidden_global_offset_z
      - .offset:         128
        .size:           2
        .value_kind:     hidden_grid_dims
      - .offset:         184
        .size:           4
        .value_kind:     hidden_dynamic_lds_size
    .group_segment_fixed_size: 0
    .kernarg_segment_align: 8
    .kernarg_segment_size: 320
    .language:       OpenCL C
    .language_version:
      - 2
      - 0
    .max_flat_workgroup_size: 1024
    .name:           _ZN2at6native12_GLOBAL__N_135GammaBetaBackwardCUDAKernelTemplateIN3c104HalfEfLj64ELj16ELj128ELb0ELb1ELb1EEEvllPKT_S7_PKT0_SA_PS5_SB_
    .private_segment_fixed_size: 0
    .sgpr_count:     24
    .sgpr_spill_count: 0
    .symbol:         _ZN2at6native12_GLOBAL__N_135GammaBetaBackwardCUDAKernelTemplateIN3c104HalfEfLj64ELj16ELj128ELb0ELb1ELb1EEEvllPKT_S7_PKT0_SA_PS5_SB_.kd
    .uniform_work_group_size: 1
    .uses_dynamic_stack: false
    .vgpr_count:     41
    .vgpr_spill_count: 0
    .wavefront_size: 32
    .workgroup_processor_mode: 1
  - .args:
      - .offset:         0
        .size:           8
        .value_kind:     by_value
      - .offset:         8
        .size:           8
        .value_kind:     by_value
      - .actual_access:  read_only
        .address_space:  global
        .offset:         16
        .size:           8
        .value_kind:     global_buffer
      - .actual_access:  read_only
        .address_space:  global
        .offset:         24
        .size:           8
        .value_kind:     global_buffer
      - .actual_access:  read_only
        .address_space:  global
        .offset:         32
        .size:           8
        .value_kind:     global_buffer
      - .actual_access:  read_only
        .address_space:  global
        .offset:         40
        .size:           8
        .value_kind:     global_buffer
      - .actual_access:  write_only
        .address_space:  global
        .offset:         48
        .size:           8
        .value_kind:     global_buffer
      - .actual_access:  read_only
        .address_space:  global
        .offset:         56
        .size:           8
        .value_kind:     global_buffer
      - .offset:         64
        .size:           4
        .value_kind:     hidden_block_count_x
      - .offset:         68
        .size:           4
        .value_kind:     hidden_block_count_y
      - .offset:         72
        .size:           4
        .value_kind:     hidden_block_count_z
      - .offset:         76
        .size:           2
        .value_kind:     hidden_group_size_x
      - .offset:         78
        .size:           2
        .value_kind:     hidden_group_size_y
      - .offset:         80
        .size:           2
        .value_kind:     hidden_group_size_z
      - .offset:         82
        .size:           2
        .value_kind:     hidden_remainder_x
      - .offset:         84
        .size:           2
        .value_kind:     hidden_remainder_y
      - .offset:         86
        .size:           2
        .value_kind:     hidden_remainder_z
      - .offset:         104
        .size:           8
        .value_kind:     hidden_global_offset_x
      - .offset:         112
        .size:           8
        .value_kind:     hidden_global_offset_y
      - .offset:         120
        .size:           8
        .value_kind:     hidden_global_offset_z
      - .offset:         128
        .size:           2
        .value_kind:     hidden_grid_dims
      - .offset:         184
        .size:           4
        .value_kind:     hidden_dynamic_lds_size
    .group_segment_fixed_size: 0
    .kernarg_segment_align: 8
    .kernarg_segment_size: 320
    .language:       OpenCL C
    .language_version:
      - 2
      - 0
    .max_flat_workgroup_size: 1024
    .name:           _ZN2at6native12_GLOBAL__N_135GammaBetaBackwardCUDAKernelTemplateIN3c104HalfEfLj64ELj16ELj128ELb0ELb0ELb1EEEvllPKT_S7_PKT0_SA_PS5_SB_
    .private_segment_fixed_size: 0
    .sgpr_count:     32
    .sgpr_spill_count: 0
    .symbol:         _ZN2at6native12_GLOBAL__N_135GammaBetaBackwardCUDAKernelTemplateIN3c104HalfEfLj64ELj16ELj128ELb0ELb0ELb1EEEvllPKT_S7_PKT0_SA_PS5_SB_.kd
    .uniform_work_group_size: 1
    .uses_dynamic_stack: false
    .vgpr_count:     91
    .vgpr_spill_count: 0
    .wavefront_size: 32
    .workgroup_processor_mode: 1
  - .args:
      - .offset:         0
        .size:           8
        .value_kind:     by_value
      - .offset:         8
        .size:           8
        .value_kind:     by_value
      - .actual_access:  read_only
        .address_space:  global
        .offset:         16
        .size:           8
        .value_kind:     global_buffer
      - .actual_access:  read_only
        .address_space:  global
        .offset:         24
        .size:           8
        .value_kind:     global_buffer
      - .actual_access:  read_only
        .address_space:  global
        .offset:         32
        .size:           8
        .value_kind:     global_buffer
      - .actual_access:  read_only
        .address_space:  global
        .offset:         40
        .size:           8
        .value_kind:     global_buffer
      - .actual_access:  write_only
        .address_space:  global
        .offset:         48
        .size:           8
        .value_kind:     global_buffer
      - .actual_access:  read_only
        .address_space:  global
        .offset:         56
        .size:           8
        .value_kind:     global_buffer
      - .offset:         64
        .size:           4
        .value_kind:     hidden_block_count_x
      - .offset:         68
        .size:           4
        .value_kind:     hidden_block_count_y
      - .offset:         72
        .size:           4
        .value_kind:     hidden_block_count_z
      - .offset:         76
        .size:           2
        .value_kind:     hidden_group_size_x
      - .offset:         78
        .size:           2
        .value_kind:     hidden_group_size_y
      - .offset:         80
        .size:           2
        .value_kind:     hidden_group_size_z
      - .offset:         82
        .size:           2
        .value_kind:     hidden_remainder_x
      - .offset:         84
        .size:           2
        .value_kind:     hidden_remainder_y
      - .offset:         86
        .size:           2
        .value_kind:     hidden_remainder_z
      - .offset:         104
        .size:           8
        .value_kind:     hidden_global_offset_x
      - .offset:         112
        .size:           8
        .value_kind:     hidden_global_offset_y
      - .offset:         120
        .size:           8
        .value_kind:     hidden_global_offset_z
      - .offset:         128
        .size:           2
        .value_kind:     hidden_grid_dims
      - .offset:         184
        .size:           4
        .value_kind:     hidden_dynamic_lds_size
    .group_segment_fixed_size: 0
    .kernarg_segment_align: 8
    .kernarg_segment_size: 320
    .language:       OpenCL C
    .language_version:
      - 2
      - 0
    .max_flat_workgroup_size: 1024
    .name:           _ZN2at6native12_GLOBAL__N_135GammaBetaBackwardCUDAKernelTemplateIN3c104HalfEfLj64ELj16ELj256ELb0ELb1ELb1EEEvllPKT_S7_PKT0_SA_PS5_SB_
    .private_segment_fixed_size: 0
    .sgpr_count:     24
    .sgpr_spill_count: 0
    .symbol:         _ZN2at6native12_GLOBAL__N_135GammaBetaBackwardCUDAKernelTemplateIN3c104HalfEfLj64ELj16ELj256ELb0ELb1ELb1EEEvllPKT_S7_PKT0_SA_PS5_SB_.kd
    .uniform_work_group_size: 1
    .uses_dynamic_stack: false
    .vgpr_count:     65
    .vgpr_spill_count: 0
    .wavefront_size: 32
    .workgroup_processor_mode: 1
  - .args:
      - .offset:         0
        .size:           8
        .value_kind:     by_value
      - .offset:         8
        .size:           8
        .value_kind:     by_value
      - .actual_access:  read_only
        .address_space:  global
        .offset:         16
        .size:           8
        .value_kind:     global_buffer
      - .actual_access:  read_only
        .address_space:  global
        .offset:         24
        .size:           8
        .value_kind:     global_buffer
      - .actual_access:  read_only
        .address_space:  global
        .offset:         32
        .size:           8
        .value_kind:     global_buffer
      - .actual_access:  read_only
        .address_space:  global
        .offset:         40
        .size:           8
        .value_kind:     global_buffer
      - .actual_access:  write_only
        .address_space:  global
        .offset:         48
        .size:           8
        .value_kind:     global_buffer
      - .actual_access:  read_only
        .address_space:  global
        .offset:         56
        .size:           8
        .value_kind:     global_buffer
      - .offset:         64
        .size:           4
        .value_kind:     hidden_block_count_x
      - .offset:         68
        .size:           4
        .value_kind:     hidden_block_count_y
      - .offset:         72
        .size:           4
        .value_kind:     hidden_block_count_z
      - .offset:         76
        .size:           2
        .value_kind:     hidden_group_size_x
      - .offset:         78
        .size:           2
        .value_kind:     hidden_group_size_y
      - .offset:         80
        .size:           2
        .value_kind:     hidden_group_size_z
      - .offset:         82
        .size:           2
        .value_kind:     hidden_remainder_x
      - .offset:         84
        .size:           2
        .value_kind:     hidden_remainder_y
      - .offset:         86
        .size:           2
        .value_kind:     hidden_remainder_z
      - .offset:         104
        .size:           8
        .value_kind:     hidden_global_offset_x
      - .offset:         112
        .size:           8
        .value_kind:     hidden_global_offset_y
      - .offset:         120
        .size:           8
        .value_kind:     hidden_global_offset_z
      - .offset:         128
        .size:           2
        .value_kind:     hidden_grid_dims
      - .offset:         184
        .size:           4
        .value_kind:     hidden_dynamic_lds_size
    .group_segment_fixed_size: 0
    .kernarg_segment_align: 8
    .kernarg_segment_size: 320
    .language:       OpenCL C
    .language_version:
      - 2
      - 0
    .max_flat_workgroup_size: 1024
    .name:           _ZN2at6native12_GLOBAL__N_135GammaBetaBackwardCUDAKernelTemplateIN3c104HalfEfLj64ELj16ELj256ELb0ELb0ELb1EEEvllPKT_S7_PKT0_SA_PS5_SB_
    .private_segment_fixed_size: 168
    .sgpr_count:     42
    .sgpr_spill_count: 0
    .symbol:         _ZN2at6native12_GLOBAL__N_135GammaBetaBackwardCUDAKernelTemplateIN3c104HalfEfLj64ELj16ELj256ELb0ELb0ELb1EEEvllPKT_S7_PKT0_SA_PS5_SB_.kd
    .uniform_work_group_size: 1
    .uses_dynamic_stack: false
    .vgpr_count:     128
    .vgpr_spill_count: 79
    .wavefront_size: 32
    .workgroup_processor_mode: 1
  - .args:
      - .offset:         0
        .size:           8
        .value_kind:     by_value
      - .offset:         8
        .size:           8
        .value_kind:     by_value
      - .actual_access:  read_only
        .address_space:  global
        .offset:         16
        .size:           8
        .value_kind:     global_buffer
      - .actual_access:  read_only
        .address_space:  global
        .offset:         24
        .size:           8
        .value_kind:     global_buffer
      - .actual_access:  read_only
        .address_space:  global
        .offset:         32
        .size:           8
        .value_kind:     global_buffer
      - .actual_access:  read_only
        .address_space:  global
        .offset:         40
        .size:           8
        .value_kind:     global_buffer
      - .actual_access:  write_only
        .address_space:  global
        .offset:         48
        .size:           8
        .value_kind:     global_buffer
      - .actual_access:  read_only
        .address_space:  global
        .offset:         56
        .size:           8
        .value_kind:     global_buffer
      - .offset:         64
        .size:           4
        .value_kind:     hidden_block_count_x
      - .offset:         68
        .size:           4
        .value_kind:     hidden_block_count_y
      - .offset:         72
        .size:           4
        .value_kind:     hidden_block_count_z
      - .offset:         76
        .size:           2
        .value_kind:     hidden_group_size_x
      - .offset:         78
        .size:           2
        .value_kind:     hidden_group_size_y
      - .offset:         80
        .size:           2
        .value_kind:     hidden_group_size_z
      - .offset:         82
        .size:           2
        .value_kind:     hidden_remainder_x
      - .offset:         84
        .size:           2
        .value_kind:     hidden_remainder_y
      - .offset:         86
        .size:           2
        .value_kind:     hidden_remainder_z
      - .offset:         104
        .size:           8
        .value_kind:     hidden_global_offset_x
      - .offset:         112
        .size:           8
        .value_kind:     hidden_global_offset_y
      - .offset:         120
        .size:           8
        .value_kind:     hidden_global_offset_z
      - .offset:         128
        .size:           2
        .value_kind:     hidden_grid_dims
    .group_segment_fixed_size: 0
    .kernarg_segment_align: 8
    .kernarg_segment_size: 320
    .language:       OpenCL C
    .language_version:
      - 2
      - 0
    .max_flat_workgroup_size: 32
    .name:           _ZN2at6native12_GLOBAL__N_135GammaBetaBackwardCUDAKernelTemplateIN3c104HalfEfLj32ELj1ELj32ELb1ELb1ELb1EEEvllPKT_S7_PKT0_SA_PS5_SB_
    .private_segment_fixed_size: 0
    .sgpr_count:     26
    .sgpr_spill_count: 0
    .symbol:         _ZN2at6native12_GLOBAL__N_135GammaBetaBackwardCUDAKernelTemplateIN3c104HalfEfLj32ELj1ELj32ELb1ELb1ELb1EEEvllPKT_S7_PKT0_SA_PS5_SB_.kd
    .uniform_work_group_size: 1
    .uses_dynamic_stack: false
    .vgpr_count:     63
    .vgpr_spill_count: 0
    .wavefront_size: 32
    .workgroup_processor_mode: 1
  - .args:
      - .offset:         0
        .size:           8
        .value_kind:     by_value
      - .offset:         8
        .size:           8
        .value_kind:     by_value
      - .actual_access:  read_only
        .address_space:  global
        .offset:         16
        .size:           8
        .value_kind:     global_buffer
      - .actual_access:  read_only
        .address_space:  global
        .offset:         24
        .size:           8
        .value_kind:     global_buffer
      - .actual_access:  read_only
        .address_space:  global
        .offset:         32
        .size:           8
        .value_kind:     global_buffer
      - .actual_access:  read_only
        .address_space:  global
        .offset:         40
        .size:           8
        .value_kind:     global_buffer
      - .actual_access:  write_only
        .address_space:  global
        .offset:         48
        .size:           8
        .value_kind:     global_buffer
      - .actual_access:  read_only
        .address_space:  global
        .offset:         56
        .size:           8
        .value_kind:     global_buffer
      - .offset:         64
        .size:           4
        .value_kind:     hidden_block_count_x
      - .offset:         68
        .size:           4
        .value_kind:     hidden_block_count_y
      - .offset:         72
        .size:           4
        .value_kind:     hidden_block_count_z
      - .offset:         76
        .size:           2
        .value_kind:     hidden_group_size_x
      - .offset:         78
        .size:           2
        .value_kind:     hidden_group_size_y
      - .offset:         80
        .size:           2
        .value_kind:     hidden_group_size_z
      - .offset:         82
        .size:           2
        .value_kind:     hidden_remainder_x
      - .offset:         84
        .size:           2
        .value_kind:     hidden_remainder_y
      - .offset:         86
        .size:           2
        .value_kind:     hidden_remainder_z
      - .offset:         104
        .size:           8
        .value_kind:     hidden_global_offset_x
      - .offset:         112
        .size:           8
        .value_kind:     hidden_global_offset_y
      - .offset:         120
        .size:           8
        .value_kind:     hidden_global_offset_z
      - .offset:         128
        .size:           2
        .value_kind:     hidden_grid_dims
    .group_segment_fixed_size: 0
    .kernarg_segment_align: 8
    .kernarg_segment_size: 320
    .language:       OpenCL C
    .language_version:
      - 2
      - 0
    .max_flat_workgroup_size: 32
    .name:           _ZN2at6native12_GLOBAL__N_135GammaBetaBackwardCUDAKernelTemplateIN3c104HalfEfLj32ELj1ELj32ELb1ELb0ELb1EEEvllPKT_S7_PKT0_SA_PS5_SB_
    .private_segment_fixed_size: 300
    .sgpr_count:     42
    .sgpr_spill_count: 0
    .symbol:         _ZN2at6native12_GLOBAL__N_135GammaBetaBackwardCUDAKernelTemplateIN3c104HalfEfLj32ELj1ELj32ELb1ELb0ELb1EEEvllPKT_S7_PKT0_SA_PS5_SB_.kd
    .uniform_work_group_size: 1
    .uses_dynamic_stack: false
    .vgpr_count:     256
    .vgpr_spill_count: 147
    .wavefront_size: 32
    .workgroup_processor_mode: 1
  - .args:
      - .offset:         0
        .size:           8
        .value_kind:     by_value
      - .offset:         8
        .size:           8
        .value_kind:     by_value
      - .actual_access:  read_only
        .address_space:  global
        .offset:         16
        .size:           8
        .value_kind:     global_buffer
      - .actual_access:  read_only
        .address_space:  global
        .offset:         24
        .size:           8
        .value_kind:     global_buffer
      - .actual_access:  read_only
        .address_space:  global
        .offset:         32
        .size:           8
        .value_kind:     global_buffer
      - .actual_access:  read_only
        .address_space:  global
        .offset:         40
        .size:           8
        .value_kind:     global_buffer
      - .actual_access:  write_only
        .address_space:  global
        .offset:         48
        .size:           8
        .value_kind:     global_buffer
      - .actual_access:  read_only
        .address_space:  global
        .offset:         56
        .size:           8
        .value_kind:     global_buffer
      - .offset:         64
        .size:           4
        .value_kind:     hidden_block_count_x
      - .offset:         68
        .size:           4
        .value_kind:     hidden_block_count_y
      - .offset:         72
        .size:           4
        .value_kind:     hidden_block_count_z
      - .offset:         76
        .size:           2
        .value_kind:     hidden_group_size_x
      - .offset:         78
        .size:           2
        .value_kind:     hidden_group_size_y
      - .offset:         80
        .size:           2
        .value_kind:     hidden_group_size_z
      - .offset:         82
        .size:           2
        .value_kind:     hidden_remainder_x
      - .offset:         84
        .size:           2
        .value_kind:     hidden_remainder_y
      - .offset:         86
        .size:           2
        .value_kind:     hidden_remainder_z
      - .offset:         104
        .size:           8
        .value_kind:     hidden_global_offset_x
      - .offset:         112
        .size:           8
        .value_kind:     hidden_global_offset_y
      - .offset:         120
        .size:           8
        .value_kind:     hidden_global_offset_z
      - .offset:         128
        .size:           2
        .value_kind:     hidden_grid_dims
    .group_segment_fixed_size: 0
    .kernarg_segment_align: 8
    .kernarg_segment_size: 320
    .language:       OpenCL C
    .language_version:
      - 2
      - 0
    .max_flat_workgroup_size: 32
    .name:           _ZN2at6native12_GLOBAL__N_135GammaBetaBackwardCUDAKernelTemplateIN3c104HalfEfLj32ELj1ELj8ELb1ELb1ELb1EEEvllPKT_S7_PKT0_SA_PS5_SB_
    .private_segment_fixed_size: 0
    .sgpr_count:     28
    .sgpr_spill_count: 0
    .symbol:         _ZN2at6native12_GLOBAL__N_135GammaBetaBackwardCUDAKernelTemplateIN3c104HalfEfLj32ELj1ELj8ELb1ELb1ELb1EEEvllPKT_S7_PKT0_SA_PS5_SB_.kd
    .uniform_work_group_size: 1
    .uses_dynamic_stack: false
    .vgpr_count:     41
    .vgpr_spill_count: 0
    .wavefront_size: 32
    .workgroup_processor_mode: 1
  - .args:
      - .offset:         0
        .size:           8
        .value_kind:     by_value
      - .offset:         8
        .size:           8
        .value_kind:     by_value
      - .actual_access:  read_only
        .address_space:  global
        .offset:         16
        .size:           8
        .value_kind:     global_buffer
      - .actual_access:  read_only
        .address_space:  global
        .offset:         24
        .size:           8
        .value_kind:     global_buffer
      - .actual_access:  read_only
        .address_space:  global
        .offset:         32
        .size:           8
        .value_kind:     global_buffer
      - .actual_access:  read_only
        .address_space:  global
        .offset:         40
        .size:           8
        .value_kind:     global_buffer
      - .actual_access:  write_only
        .address_space:  global
        .offset:         48
        .size:           8
        .value_kind:     global_buffer
      - .actual_access:  read_only
        .address_space:  global
        .offset:         56
        .size:           8
        .value_kind:     global_buffer
      - .offset:         64
        .size:           4
        .value_kind:     hidden_block_count_x
      - .offset:         68
        .size:           4
        .value_kind:     hidden_block_count_y
      - .offset:         72
        .size:           4
        .value_kind:     hidden_block_count_z
      - .offset:         76
        .size:           2
        .value_kind:     hidden_group_size_x
      - .offset:         78
        .size:           2
        .value_kind:     hidden_group_size_y
      - .offset:         80
        .size:           2
        .value_kind:     hidden_group_size_z
      - .offset:         82
        .size:           2
        .value_kind:     hidden_remainder_x
      - .offset:         84
        .size:           2
        .value_kind:     hidden_remainder_y
      - .offset:         86
        .size:           2
        .value_kind:     hidden_remainder_z
      - .offset:         104
        .size:           8
        .value_kind:     hidden_global_offset_x
      - .offset:         112
        .size:           8
        .value_kind:     hidden_global_offset_y
      - .offset:         120
        .size:           8
        .value_kind:     hidden_global_offset_z
      - .offset:         128
        .size:           2
        .value_kind:     hidden_grid_dims
    .group_segment_fixed_size: 0
    .kernarg_segment_align: 8
    .kernarg_segment_size: 320
    .language:       OpenCL C
    .language_version:
      - 2
      - 0
    .max_flat_workgroup_size: 32
    .name:           _ZN2at6native12_GLOBAL__N_135GammaBetaBackwardCUDAKernelTemplateIN3c104HalfEfLj32ELj1ELj8ELb1ELb0ELb1EEEvllPKT_S7_PKT0_SA_PS5_SB_
    .private_segment_fixed_size: 0
    .sgpr_count:     32
    .sgpr_spill_count: 0
    .symbol:         _ZN2at6native12_GLOBAL__N_135GammaBetaBackwardCUDAKernelTemplateIN3c104HalfEfLj32ELj1ELj8ELb1ELb0ELb1EEEvllPKT_S7_PKT0_SA_PS5_SB_.kd
    .uniform_work_group_size: 1
    .uses_dynamic_stack: false
    .vgpr_count:     92
    .vgpr_spill_count: 0
    .wavefront_size: 32
    .workgroup_processor_mode: 1
  - .args:
      - .offset:         0
        .size:           8
        .value_kind:     by_value
      - .offset:         8
        .size:           8
        .value_kind:     by_value
      - .actual_access:  read_only
        .address_space:  global
        .offset:         16
        .size:           8
        .value_kind:     global_buffer
      - .actual_access:  read_only
        .address_space:  global
        .offset:         24
        .size:           8
        .value_kind:     global_buffer
      - .actual_access:  read_only
        .address_space:  global
        .offset:         32
        .size:           8
        .value_kind:     global_buffer
      - .actual_access:  read_only
        .address_space:  global
        .offset:         40
        .size:           8
        .value_kind:     global_buffer
      - .actual_access:  write_only
        .address_space:  global
        .offset:         48
        .size:           8
        .value_kind:     global_buffer
      - .actual_access:  read_only
        .address_space:  global
        .offset:         56
        .size:           8
        .value_kind:     global_buffer
      - .offset:         64
        .size:           4
        .value_kind:     hidden_block_count_x
      - .offset:         68
        .size:           4
        .value_kind:     hidden_block_count_y
      - .offset:         72
        .size:           4
        .value_kind:     hidden_block_count_z
      - .offset:         76
        .size:           2
        .value_kind:     hidden_group_size_x
      - .offset:         78
        .size:           2
        .value_kind:     hidden_group_size_y
      - .offset:         80
        .size:           2
        .value_kind:     hidden_group_size_z
      - .offset:         82
        .size:           2
        .value_kind:     hidden_remainder_x
      - .offset:         84
        .size:           2
        .value_kind:     hidden_remainder_y
      - .offset:         86
        .size:           2
        .value_kind:     hidden_remainder_z
      - .offset:         104
        .size:           8
        .value_kind:     hidden_global_offset_x
      - .offset:         112
        .size:           8
        .value_kind:     hidden_global_offset_y
      - .offset:         120
        .size:           8
        .value_kind:     hidden_global_offset_z
      - .offset:         128
        .size:           2
        .value_kind:     hidden_grid_dims
      - .offset:         184
        .size:           4
        .value_kind:     hidden_dynamic_lds_size
    .group_segment_fixed_size: 0
    .kernarg_segment_align: 8
    .kernarg_segment_size: 320
    .language:       OpenCL C
    .language_version:
      - 2
      - 0
    .max_flat_workgroup_size: 256
    .name:           _ZN2at6native12_GLOBAL__N_135GammaBetaBackwardCUDAKernelTemplateIN3c104HalfEfLj32ELj8ELj64ELb0ELb1ELb1EEEvllPKT_S7_PKT0_SA_PS5_SB_
    .private_segment_fixed_size: 0
    .sgpr_count:     24
    .sgpr_spill_count: 0
    .symbol:         _ZN2at6native12_GLOBAL__N_135GammaBetaBackwardCUDAKernelTemplateIN3c104HalfEfLj32ELj8ELj64ELb0ELb1ELb1EEEvllPKT_S7_PKT0_SA_PS5_SB_.kd
    .uniform_work_group_size: 1
    .uses_dynamic_stack: false
    .vgpr_count:     41
    .vgpr_spill_count: 0
    .wavefront_size: 32
    .workgroup_processor_mode: 1
  - .args:
      - .offset:         0
        .size:           8
        .value_kind:     by_value
      - .offset:         8
        .size:           8
        .value_kind:     by_value
      - .actual_access:  read_only
        .address_space:  global
        .offset:         16
        .size:           8
        .value_kind:     global_buffer
      - .actual_access:  read_only
        .address_space:  global
        .offset:         24
        .size:           8
        .value_kind:     global_buffer
      - .actual_access:  read_only
        .address_space:  global
        .offset:         32
        .size:           8
        .value_kind:     global_buffer
      - .actual_access:  read_only
        .address_space:  global
        .offset:         40
        .size:           8
        .value_kind:     global_buffer
      - .actual_access:  write_only
        .address_space:  global
        .offset:         48
        .size:           8
        .value_kind:     global_buffer
      - .actual_access:  read_only
        .address_space:  global
        .offset:         56
        .size:           8
        .value_kind:     global_buffer
      - .offset:         64
        .size:           4
        .value_kind:     hidden_block_count_x
      - .offset:         68
        .size:           4
        .value_kind:     hidden_block_count_y
      - .offset:         72
        .size:           4
        .value_kind:     hidden_block_count_z
      - .offset:         76
        .size:           2
        .value_kind:     hidden_group_size_x
      - .offset:         78
        .size:           2
        .value_kind:     hidden_group_size_y
      - .offset:         80
        .size:           2
        .value_kind:     hidden_group_size_z
      - .offset:         82
        .size:           2
        .value_kind:     hidden_remainder_x
      - .offset:         84
        .size:           2
        .value_kind:     hidden_remainder_y
      - .offset:         86
        .size:           2
        .value_kind:     hidden_remainder_z
      - .offset:         104
        .size:           8
        .value_kind:     hidden_global_offset_x
      - .offset:         112
        .size:           8
        .value_kind:     hidden_global_offset_y
      - .offset:         120
        .size:           8
        .value_kind:     hidden_global_offset_z
      - .offset:         128
        .size:           2
        .value_kind:     hidden_grid_dims
      - .offset:         184
        .size:           4
        .value_kind:     hidden_dynamic_lds_size
    .group_segment_fixed_size: 0
    .kernarg_segment_align: 8
    .kernarg_segment_size: 320
    .language:       OpenCL C
    .language_version:
      - 2
      - 0
    .max_flat_workgroup_size: 256
    .name:           _ZN2at6native12_GLOBAL__N_135GammaBetaBackwardCUDAKernelTemplateIN3c104HalfEfLj32ELj8ELj64ELb0ELb0ELb1EEEvllPKT_S7_PKT0_SA_PS5_SB_
    .private_segment_fixed_size: 0
    .sgpr_count:     32
    .sgpr_spill_count: 0
    .symbol:         _ZN2at6native12_GLOBAL__N_135GammaBetaBackwardCUDAKernelTemplateIN3c104HalfEfLj32ELj8ELj64ELb0ELb0ELb1EEEvllPKT_S7_PKT0_SA_PS5_SB_.kd
    .uniform_work_group_size: 1
    .uses_dynamic_stack: false
    .vgpr_count:     91
    .vgpr_spill_count: 0
    .wavefront_size: 32
    .workgroup_processor_mode: 1
  - .args:
      - .offset:         0
        .size:           8
        .value_kind:     by_value
      - .offset:         8
        .size:           8
        .value_kind:     by_value
      - .actual_access:  read_only
        .address_space:  global
        .offset:         16
        .size:           8
        .value_kind:     global_buffer
      - .actual_access:  read_only
        .address_space:  global
        .offset:         24
        .size:           8
        .value_kind:     global_buffer
      - .actual_access:  read_only
        .address_space:  global
        .offset:         32
        .size:           8
        .value_kind:     global_buffer
      - .actual_access:  read_only
        .address_space:  global
        .offset:         40
        .size:           8
        .value_kind:     global_buffer
      - .actual_access:  write_only
        .address_space:  global
        .offset:         48
        .size:           8
        .value_kind:     global_buffer
      - .actual_access:  read_only
        .address_space:  global
        .offset:         56
        .size:           8
        .value_kind:     global_buffer
      - .offset:         64
        .size:           4
        .value_kind:     hidden_block_count_x
      - .offset:         68
        .size:           4
        .value_kind:     hidden_block_count_y
      - .offset:         72
        .size:           4
        .value_kind:     hidden_block_count_z
      - .offset:         76
        .size:           2
        .value_kind:     hidden_group_size_x
      - .offset:         78
        .size:           2
        .value_kind:     hidden_group_size_y
      - .offset:         80
        .size:           2
        .value_kind:     hidden_group_size_z
      - .offset:         82
        .size:           2
        .value_kind:     hidden_remainder_x
      - .offset:         84
        .size:           2
        .value_kind:     hidden_remainder_y
      - .offset:         86
        .size:           2
        .value_kind:     hidden_remainder_z
      - .offset:         104
        .size:           8
        .value_kind:     hidden_global_offset_x
      - .offset:         112
        .size:           8
        .value_kind:     hidden_global_offset_y
      - .offset:         120
        .size:           8
        .value_kind:     hidden_global_offset_z
      - .offset:         128
        .size:           2
        .value_kind:     hidden_grid_dims
      - .offset:         184
        .size:           4
        .value_kind:     hidden_dynamic_lds_size
    .group_segment_fixed_size: 0
    .kernarg_segment_align: 8
    .kernarg_segment_size: 320
    .language:       OpenCL C
    .language_version:
      - 2
      - 0
    .max_flat_workgroup_size: 512
    .name:           _ZN2at6native12_GLOBAL__N_135GammaBetaBackwardCUDAKernelTemplateIN3c104HalfEfLj32ELj16ELj128ELb0ELb1ELb1EEEvllPKT_S7_PKT0_SA_PS5_SB_
    .private_segment_fixed_size: 0
    .sgpr_count:     24
    .sgpr_spill_count: 0
    .symbol:         _ZN2at6native12_GLOBAL__N_135GammaBetaBackwardCUDAKernelTemplateIN3c104HalfEfLj32ELj16ELj128ELb0ELb1ELb1EEEvllPKT_S7_PKT0_SA_PS5_SB_.kd
    .uniform_work_group_size: 1
    .uses_dynamic_stack: false
    .vgpr_count:     41
    .vgpr_spill_count: 0
    .wavefront_size: 32
    .workgroup_processor_mode: 1
  - .args:
      - .offset:         0
        .size:           8
        .value_kind:     by_value
      - .offset:         8
        .size:           8
        .value_kind:     by_value
      - .actual_access:  read_only
        .address_space:  global
        .offset:         16
        .size:           8
        .value_kind:     global_buffer
      - .actual_access:  read_only
        .address_space:  global
        .offset:         24
        .size:           8
        .value_kind:     global_buffer
      - .actual_access:  read_only
        .address_space:  global
        .offset:         32
        .size:           8
        .value_kind:     global_buffer
      - .actual_access:  read_only
        .address_space:  global
        .offset:         40
        .size:           8
        .value_kind:     global_buffer
      - .actual_access:  write_only
        .address_space:  global
        .offset:         48
        .size:           8
        .value_kind:     global_buffer
      - .actual_access:  read_only
        .address_space:  global
        .offset:         56
        .size:           8
        .value_kind:     global_buffer
      - .offset:         64
        .size:           4
        .value_kind:     hidden_block_count_x
      - .offset:         68
        .size:           4
        .value_kind:     hidden_block_count_y
      - .offset:         72
        .size:           4
        .value_kind:     hidden_block_count_z
      - .offset:         76
        .size:           2
        .value_kind:     hidden_group_size_x
      - .offset:         78
        .size:           2
        .value_kind:     hidden_group_size_y
      - .offset:         80
        .size:           2
        .value_kind:     hidden_group_size_z
      - .offset:         82
        .size:           2
        .value_kind:     hidden_remainder_x
      - .offset:         84
        .size:           2
        .value_kind:     hidden_remainder_y
      - .offset:         86
        .size:           2
        .value_kind:     hidden_remainder_z
      - .offset:         104
        .size:           8
        .value_kind:     hidden_global_offset_x
      - .offset:         112
        .size:           8
        .value_kind:     hidden_global_offset_y
      - .offset:         120
        .size:           8
        .value_kind:     hidden_global_offset_z
      - .offset:         128
        .size:           2
        .value_kind:     hidden_grid_dims
      - .offset:         184
        .size:           4
        .value_kind:     hidden_dynamic_lds_size
    .group_segment_fixed_size: 0
    .kernarg_segment_align: 8
    .kernarg_segment_size: 320
    .language:       OpenCL C
    .language_version:
      - 2
      - 0
    .max_flat_workgroup_size: 512
    .name:           _ZN2at6native12_GLOBAL__N_135GammaBetaBackwardCUDAKernelTemplateIN3c104HalfEfLj32ELj16ELj128ELb0ELb0ELb1EEEvllPKT_S7_PKT0_SA_PS5_SB_
    .private_segment_fixed_size: 0
    .sgpr_count:     32
    .sgpr_spill_count: 0
    .symbol:         _ZN2at6native12_GLOBAL__N_135GammaBetaBackwardCUDAKernelTemplateIN3c104HalfEfLj32ELj16ELj128ELb0ELb0ELb1EEEvllPKT_S7_PKT0_SA_PS5_SB_.kd
    .uniform_work_group_size: 1
    .uses_dynamic_stack: false
    .vgpr_count:     91
    .vgpr_spill_count: 0
    .wavefront_size: 32
    .workgroup_processor_mode: 1
  - .args:
      - .offset:         0
        .size:           8
        .value_kind:     by_value
      - .offset:         8
        .size:           8
        .value_kind:     by_value
      - .actual_access:  read_only
        .address_space:  global
        .offset:         16
        .size:           8
        .value_kind:     global_buffer
      - .actual_access:  read_only
        .address_space:  global
        .offset:         24
        .size:           8
        .value_kind:     global_buffer
      - .actual_access:  read_only
        .address_space:  global
        .offset:         32
        .size:           8
        .value_kind:     global_buffer
      - .actual_access:  read_only
        .address_space:  global
        .offset:         40
        .size:           8
        .value_kind:     global_buffer
      - .actual_access:  write_only
        .address_space:  global
        .offset:         48
        .size:           8
        .value_kind:     global_buffer
      - .actual_access:  read_only
        .address_space:  global
        .offset:         56
        .size:           8
        .value_kind:     global_buffer
      - .offset:         64
        .size:           4
        .value_kind:     hidden_block_count_x
      - .offset:         68
        .size:           4
        .value_kind:     hidden_block_count_y
      - .offset:         72
        .size:           4
        .value_kind:     hidden_block_count_z
      - .offset:         76
        .size:           2
        .value_kind:     hidden_group_size_x
      - .offset:         78
        .size:           2
        .value_kind:     hidden_group_size_y
      - .offset:         80
        .size:           2
        .value_kind:     hidden_group_size_z
      - .offset:         82
        .size:           2
        .value_kind:     hidden_remainder_x
      - .offset:         84
        .size:           2
        .value_kind:     hidden_remainder_y
      - .offset:         86
        .size:           2
        .value_kind:     hidden_remainder_z
      - .offset:         104
        .size:           8
        .value_kind:     hidden_global_offset_x
      - .offset:         112
        .size:           8
        .value_kind:     hidden_global_offset_y
      - .offset:         120
        .size:           8
        .value_kind:     hidden_global_offset_z
      - .offset:         128
        .size:           2
        .value_kind:     hidden_grid_dims
      - .offset:         184
        .size:           4
        .value_kind:     hidden_dynamic_lds_size
    .group_segment_fixed_size: 0
    .kernarg_segment_align: 8
    .kernarg_segment_size: 320
    .language:       OpenCL C
    .language_version:
      - 2
      - 0
    .max_flat_workgroup_size: 1024
    .name:           _ZN2at6native12_GLOBAL__N_135GammaBetaBackwardCUDAKernelTemplateIN3c104HalfEfLj32ELj32ELj256ELb0ELb1ELb1EEEvllPKT_S7_PKT0_SA_PS5_SB_
    .private_segment_fixed_size: 0
    .sgpr_count:     24
    .sgpr_spill_count: 0
    .symbol:         _ZN2at6native12_GLOBAL__N_135GammaBetaBackwardCUDAKernelTemplateIN3c104HalfEfLj32ELj32ELj256ELb0ELb1ELb1EEEvllPKT_S7_PKT0_SA_PS5_SB_.kd
    .uniform_work_group_size: 1
    .uses_dynamic_stack: false
    .vgpr_count:     41
    .vgpr_spill_count: 0
    .wavefront_size: 32
    .workgroup_processor_mode: 1
  - .args:
      - .offset:         0
        .size:           8
        .value_kind:     by_value
      - .offset:         8
        .size:           8
        .value_kind:     by_value
      - .actual_access:  read_only
        .address_space:  global
        .offset:         16
        .size:           8
        .value_kind:     global_buffer
      - .actual_access:  read_only
        .address_space:  global
        .offset:         24
        .size:           8
        .value_kind:     global_buffer
      - .actual_access:  read_only
        .address_space:  global
        .offset:         32
        .size:           8
        .value_kind:     global_buffer
      - .actual_access:  read_only
        .address_space:  global
        .offset:         40
        .size:           8
        .value_kind:     global_buffer
      - .actual_access:  write_only
        .address_space:  global
        .offset:         48
        .size:           8
        .value_kind:     global_buffer
      - .actual_access:  read_only
        .address_space:  global
        .offset:         56
        .size:           8
        .value_kind:     global_buffer
      - .offset:         64
        .size:           4
        .value_kind:     hidden_block_count_x
      - .offset:         68
        .size:           4
        .value_kind:     hidden_block_count_y
      - .offset:         72
        .size:           4
        .value_kind:     hidden_block_count_z
      - .offset:         76
        .size:           2
        .value_kind:     hidden_group_size_x
      - .offset:         78
        .size:           2
        .value_kind:     hidden_group_size_y
      - .offset:         80
        .size:           2
        .value_kind:     hidden_group_size_z
      - .offset:         82
        .size:           2
        .value_kind:     hidden_remainder_x
      - .offset:         84
        .size:           2
        .value_kind:     hidden_remainder_y
      - .offset:         86
        .size:           2
        .value_kind:     hidden_remainder_z
      - .offset:         104
        .size:           8
        .value_kind:     hidden_global_offset_x
      - .offset:         112
        .size:           8
        .value_kind:     hidden_global_offset_y
      - .offset:         120
        .size:           8
        .value_kind:     hidden_global_offset_z
      - .offset:         128
        .size:           2
        .value_kind:     hidden_grid_dims
      - .offset:         184
        .size:           4
        .value_kind:     hidden_dynamic_lds_size
    .group_segment_fixed_size: 0
    .kernarg_segment_align: 8
    .kernarg_segment_size: 320
    .language:       OpenCL C
    .language_version:
      - 2
      - 0
    .max_flat_workgroup_size: 1024
    .name:           _ZN2at6native12_GLOBAL__N_135GammaBetaBackwardCUDAKernelTemplateIN3c104HalfEfLj32ELj32ELj256ELb0ELb0ELb1EEEvllPKT_S7_PKT0_SA_PS5_SB_
    .private_segment_fixed_size: 0
    .sgpr_count:     32
    .sgpr_spill_count: 0
    .symbol:         _ZN2at6native12_GLOBAL__N_135GammaBetaBackwardCUDAKernelTemplateIN3c104HalfEfLj32ELj32ELj256ELb0ELb0ELb1EEEvllPKT_S7_PKT0_SA_PS5_SB_.kd
    .uniform_work_group_size: 1
    .uses_dynamic_stack: false
    .vgpr_count:     91
    .vgpr_spill_count: 0
    .wavefront_size: 32
    .workgroup_processor_mode: 1
  - .args:
      - .actual_access:  read_only
        .address_space:  global
        .offset:         0
        .size:           8
        .value_kind:     global_buffer
      - .actual_access:  read_only
        .address_space:  global
        .offset:         8
        .size:           8
        .value_kind:     global_buffer
      - .offset:         16
        .size:           8
        .value_kind:     by_value
      - .offset:         24
        .size:           8
        .value_kind:     by_value
      - .actual_access:  read_only
        .address_space:  global
        .offset:         32
        .size:           8
        .value_kind:     global_buffer
      - .actual_access:  read_only
        .address_space:  global
        .offset:         40
        .size:           8
        .value_kind:     global_buffer
      - .address_space:  global
        .offset:         48
        .size:           8
        .value_kind:     global_buffer
      - .address_space:  global
        .offset:         56
        .size:           8
        .value_kind:     global_buffer
      - .offset:         64
        .size:           4
        .value_kind:     hidden_block_count_x
      - .offset:         68
        .size:           4
        .value_kind:     hidden_block_count_y
      - .offset:         72
        .size:           4
        .value_kind:     hidden_block_count_z
      - .offset:         76
        .size:           2
        .value_kind:     hidden_group_size_x
      - .offset:         78
        .size:           2
        .value_kind:     hidden_group_size_y
      - .offset:         80
        .size:           2
        .value_kind:     hidden_group_size_z
      - .offset:         82
        .size:           2
        .value_kind:     hidden_remainder_x
      - .offset:         84
        .size:           2
        .value_kind:     hidden_remainder_y
      - .offset:         86
        .size:           2
        .value_kind:     hidden_remainder_z
      - .offset:         104
        .size:           8
        .value_kind:     hidden_global_offset_x
      - .offset:         112
        .size:           8
        .value_kind:     hidden_global_offset_y
      - .offset:         120
        .size:           8
        .value_kind:     hidden_global_offset_z
      - .offset:         128
        .size:           2
        .value_kind:     hidden_grid_dims
      - .offset:         184
        .size:           4
        .value_kind:     hidden_dynamic_lds_size
    .group_segment_fixed_size: 0
    .kernarg_segment_align: 8
    .kernarg_segment_size: 320
    .language:       OpenCL C
    .language_version:
      - 2
      - 0
    .max_flat_workgroup_size: 1024
    .name:           _ZN2at6native12_GLOBAL__N_118cuComputeGradInputIN3c108BFloat16EfLb1EEEvPKT_S7_llPKT0_SA_S7_PS5_
    .private_segment_fixed_size: 0
    .sgpr_count:     41
    .sgpr_spill_count: 0
    .symbol:         _ZN2at6native12_GLOBAL__N_118cuComputeGradInputIN3c108BFloat16EfLb1EEEvPKT_S7_llPKT0_SA_S7_PS5_.kd
    .uniform_work_group_size: 1
    .uses_dynamic_stack: false
    .vgpr_count:     26
    .vgpr_spill_count: 0
    .wavefront_size: 32
    .workgroup_processor_mode: 1
  - .args:
      - .actual_access:  read_only
        .address_space:  global
        .offset:         0
        .size:           8
        .value_kind:     global_buffer
      - .actual_access:  read_only
        .address_space:  global
        .offset:         8
        .size:           8
        .value_kind:     global_buffer
      - .actual_access:  read_only
        .address_space:  global
        .offset:         16
        .size:           8
        .value_kind:     global_buffer
      - .actual_access:  read_only
        .address_space:  global
        .offset:         24
        .size:           8
        .value_kind:     global_buffer
      - .actual_access:  read_only
        .address_space:  global
        .offset:         32
        .size:           8
        .value_kind:     global_buffer
      - .address_space:  global
        .offset:         40
        .size:           8
        .value_kind:     global_buffer
      - .offset:         48
        .size:           4
        .value_kind:     by_value
      - .offset:         56
        .size:           4
        .value_kind:     hidden_block_count_x
      - .offset:         60
        .size:           4
        .value_kind:     hidden_block_count_y
      - .offset:         64
        .size:           4
        .value_kind:     hidden_block_count_z
      - .offset:         68
        .size:           2
        .value_kind:     hidden_group_size_x
      - .offset:         70
        .size:           2
        .value_kind:     hidden_group_size_y
      - .offset:         72
        .size:           2
        .value_kind:     hidden_group_size_z
      - .offset:         74
        .size:           2
        .value_kind:     hidden_remainder_x
      - .offset:         76
        .size:           2
        .value_kind:     hidden_remainder_y
      - .offset:         78
        .size:           2
        .value_kind:     hidden_remainder_z
      - .offset:         96
        .size:           8
        .value_kind:     hidden_global_offset_x
      - .offset:         104
        .size:           8
        .value_kind:     hidden_global_offset_y
      - .offset:         112
        .size:           8
        .value_kind:     hidden_global_offset_z
      - .offset:         120
        .size:           2
        .value_kind:     hidden_grid_dims
      - .offset:         176
        .size:           4
        .value_kind:     hidden_dynamic_lds_size
    .group_segment_fixed_size: 0
    .kernarg_segment_align: 8
    .kernarg_segment_size: 312
    .language:       OpenCL C
    .language_version:
      - 2
      - 0
    .max_flat_workgroup_size: 1024
    .name:           _ZN2at6native12_GLOBAL__N_128layer_norm_grad_input_kernelIN3c108BFloat16EfLb1EEEvPKT_S7_PKT0_SA_S7_PS5_i
    .private_segment_fixed_size: 0
    .sgpr_count:     22
    .sgpr_spill_count: 0
    .symbol:         _ZN2at6native12_GLOBAL__N_128layer_norm_grad_input_kernelIN3c108BFloat16EfLb1EEEvPKT_S7_PKT0_SA_S7_PS5_i.kd
    .uniform_work_group_size: 1
    .uses_dynamic_stack: false
    .vgpr_count:     20
    .vgpr_spill_count: 0
    .wavefront_size: 32
    .workgroup_processor_mode: 1
  - .args:
      - .offset:         0
        .size:           8
        .value_kind:     by_value
      - .offset:         8
        .size:           8
        .value_kind:     by_value
      - .address_space:  global
        .offset:         16
        .size:           8
        .value_kind:     global_buffer
      - .address_space:  global
        .offset:         24
        .size:           8
        .value_kind:     global_buffer
      - .address_space:  global
        .offset:         32
        .size:           8
        .value_kind:     global_buffer
      - .address_space:  global
        .offset:         40
        .size:           8
        .value_kind:     global_buffer
      - .address_space:  global
        .offset:         48
        .size:           8
        .value_kind:     global_buffer
      - .address_space:  global
        .offset:         56
        .size:           8
        .value_kind:     global_buffer
      - .offset:         64
        .size:           4
        .value_kind:     hidden_block_count_x
      - .offset:         68
        .size:           4
        .value_kind:     hidden_block_count_y
      - .offset:         72
        .size:           4
        .value_kind:     hidden_block_count_z
      - .offset:         76
        .size:           2
        .value_kind:     hidden_group_size_x
      - .offset:         78
        .size:           2
        .value_kind:     hidden_group_size_y
      - .offset:         80
        .size:           2
        .value_kind:     hidden_group_size_z
      - .offset:         82
        .size:           2
        .value_kind:     hidden_remainder_x
      - .offset:         84
        .size:           2
        .value_kind:     hidden_remainder_y
      - .offset:         86
        .size:           2
        .value_kind:     hidden_remainder_z
      - .offset:         104
        .size:           8
        .value_kind:     hidden_global_offset_x
      - .offset:         112
        .size:           8
        .value_kind:     hidden_global_offset_y
      - .offset:         120
        .size:           8
        .value_kind:     hidden_global_offset_z
      - .offset:         128
        .size:           2
        .value_kind:     hidden_grid_dims
    .group_segment_fixed_size: 0
    .kernarg_segment_align: 8
    .kernarg_segment_size: 320
    .language:       OpenCL C
    .language_version:
      - 2
      - 0
    .max_flat_workgroup_size: 1024
    .name:           _ZN2at6native12_GLOBAL__N_133GammaBetaBackwardSimpleCUDAKernelIN3c108BFloat16EfLb1EEEvllPKT_S7_PKT0_SA_PS5_SB_
    .private_segment_fixed_size: 0
    .sgpr_count:     18
    .sgpr_spill_count: 0
    .symbol:         _ZN2at6native12_GLOBAL__N_133GammaBetaBackwardSimpleCUDAKernelIN3c108BFloat16EfLb1EEEvllPKT_S7_PKT0_SA_PS5_SB_.kd
    .uniform_work_group_size: 1
    .uses_dynamic_stack: false
    .vgpr_count:     10
    .vgpr_spill_count: 0
    .wavefront_size: 32
    .workgroup_processor_mode: 1
  - .args:
      - .offset:         0
        .size:           8
        .value_kind:     by_value
      - .offset:         8
        .size:           8
        .value_kind:     by_value
      - .actual_access:  read_only
        .address_space:  global
        .offset:         16
        .size:           8
        .value_kind:     global_buffer
      - .actual_access:  read_only
        .address_space:  global
        .offset:         24
        .size:           8
        .value_kind:     global_buffer
      - .actual_access:  read_only
        .address_space:  global
        .offset:         32
        .size:           8
        .value_kind:     global_buffer
      - .actual_access:  read_only
        .address_space:  global
        .offset:         40
        .size:           8
        .value_kind:     global_buffer
      - .actual_access:  write_only
        .address_space:  global
        .offset:         48
        .size:           8
        .value_kind:     global_buffer
      - .actual_access:  read_only
        .address_space:  global
        .offset:         56
        .size:           8
        .value_kind:     global_buffer
      - .offset:         64
        .size:           4
        .value_kind:     hidden_block_count_x
      - .offset:         68
        .size:           4
        .value_kind:     hidden_block_count_y
      - .offset:         72
        .size:           4
        .value_kind:     hidden_block_count_z
      - .offset:         76
        .size:           2
        .value_kind:     hidden_group_size_x
      - .offset:         78
        .size:           2
        .value_kind:     hidden_group_size_y
      - .offset:         80
        .size:           2
        .value_kind:     hidden_group_size_z
      - .offset:         82
        .size:           2
        .value_kind:     hidden_remainder_x
      - .offset:         84
        .size:           2
        .value_kind:     hidden_remainder_y
      - .offset:         86
        .size:           2
        .value_kind:     hidden_remainder_z
      - .offset:         104
        .size:           8
        .value_kind:     hidden_global_offset_x
      - .offset:         112
        .size:           8
        .value_kind:     hidden_global_offset_y
      - .offset:         120
        .size:           8
        .value_kind:     hidden_global_offset_z
      - .offset:         128
        .size:           2
        .value_kind:     hidden_grid_dims
    .group_segment_fixed_size: 0
    .kernarg_segment_align: 8
    .kernarg_segment_size: 320
    .language:       OpenCL C
    .language_version:
      - 2
      - 0
    .max_flat_workgroup_size: 64
    .name:           _ZN2at6native12_GLOBAL__N_135GammaBetaBackwardCUDAKernelTemplateIN3c108BFloat16EfLj64ELj1ELj32ELb1ELb1ELb1EEEvllPKT_S7_PKT0_SA_PS5_SB_
    .private_segment_fixed_size: 0
    .sgpr_count:     26
    .sgpr_spill_count: 0
    .symbol:         _ZN2at6native12_GLOBAL__N_135GammaBetaBackwardCUDAKernelTemplateIN3c108BFloat16EfLj64ELj1ELj32ELb1ELb1ELb1EEEvllPKT_S7_PKT0_SA_PS5_SB_.kd
    .uniform_work_group_size: 1
    .uses_dynamic_stack: false
    .vgpr_count:     63
    .vgpr_spill_count: 0
    .wavefront_size: 32
    .workgroup_processor_mode: 1
  - .args:
      - .offset:         0
        .size:           8
        .value_kind:     by_value
      - .offset:         8
        .size:           8
        .value_kind:     by_value
      - .actual_access:  read_only
        .address_space:  global
        .offset:         16
        .size:           8
        .value_kind:     global_buffer
      - .actual_access:  read_only
        .address_space:  global
        .offset:         24
        .size:           8
        .value_kind:     global_buffer
      - .actual_access:  read_only
        .address_space:  global
        .offset:         32
        .size:           8
        .value_kind:     global_buffer
      - .actual_access:  read_only
        .address_space:  global
        .offset:         40
        .size:           8
        .value_kind:     global_buffer
      - .actual_access:  write_only
        .address_space:  global
        .offset:         48
        .size:           8
        .value_kind:     global_buffer
      - .actual_access:  read_only
        .address_space:  global
        .offset:         56
        .size:           8
        .value_kind:     global_buffer
      - .offset:         64
        .size:           4
        .value_kind:     hidden_block_count_x
      - .offset:         68
        .size:           4
        .value_kind:     hidden_block_count_y
      - .offset:         72
        .size:           4
        .value_kind:     hidden_block_count_z
      - .offset:         76
        .size:           2
        .value_kind:     hidden_group_size_x
      - .offset:         78
        .size:           2
        .value_kind:     hidden_group_size_y
      - .offset:         80
        .size:           2
        .value_kind:     hidden_group_size_z
      - .offset:         82
        .size:           2
        .value_kind:     hidden_remainder_x
      - .offset:         84
        .size:           2
        .value_kind:     hidden_remainder_y
      - .offset:         86
        .size:           2
        .value_kind:     hidden_remainder_z
      - .offset:         104
        .size:           8
        .value_kind:     hidden_global_offset_x
      - .offset:         112
        .size:           8
        .value_kind:     hidden_global_offset_y
      - .offset:         120
        .size:           8
        .value_kind:     hidden_global_offset_z
      - .offset:         128
        .size:           2
        .value_kind:     hidden_grid_dims
    .group_segment_fixed_size: 0
    .kernarg_segment_align: 8
    .kernarg_segment_size: 320
    .language:       OpenCL C
    .language_version:
      - 2
      - 0
    .max_flat_workgroup_size: 64
    .name:           _ZN2at6native12_GLOBAL__N_135GammaBetaBackwardCUDAKernelTemplateIN3c108BFloat16EfLj64ELj1ELj32ELb1ELb0ELb1EEEvllPKT_S7_PKT0_SA_PS5_SB_
    .private_segment_fixed_size: 300
    .sgpr_count:     42
    .sgpr_spill_count: 0
    .symbol:         _ZN2at6native12_GLOBAL__N_135GammaBetaBackwardCUDAKernelTemplateIN3c108BFloat16EfLj64ELj1ELj32ELb1ELb0ELb1EEEvllPKT_S7_PKT0_SA_PS5_SB_.kd
    .uniform_work_group_size: 1
    .uses_dynamic_stack: false
    .vgpr_count:     256
    .vgpr_spill_count: 147
    .wavefront_size: 32
    .workgroup_processor_mode: 1
  - .args:
      - .offset:         0
        .size:           8
        .value_kind:     by_value
      - .offset:         8
        .size:           8
        .value_kind:     by_value
      - .actual_access:  read_only
        .address_space:  global
        .offset:         16
        .size:           8
        .value_kind:     global_buffer
      - .actual_access:  read_only
        .address_space:  global
        .offset:         24
        .size:           8
        .value_kind:     global_buffer
      - .actual_access:  read_only
        .address_space:  global
        .offset:         32
        .size:           8
        .value_kind:     global_buffer
      - .actual_access:  read_only
        .address_space:  global
        .offset:         40
        .size:           8
        .value_kind:     global_buffer
      - .actual_access:  write_only
        .address_space:  global
        .offset:         48
        .size:           8
        .value_kind:     global_buffer
      - .actual_access:  read_only
        .address_space:  global
        .offset:         56
        .size:           8
        .value_kind:     global_buffer
      - .offset:         64
        .size:           4
        .value_kind:     hidden_block_count_x
      - .offset:         68
        .size:           4
        .value_kind:     hidden_block_count_y
      - .offset:         72
        .size:           4
        .value_kind:     hidden_block_count_z
      - .offset:         76
        .size:           2
        .value_kind:     hidden_group_size_x
      - .offset:         78
        .size:           2
        .value_kind:     hidden_group_size_y
      - .offset:         80
        .size:           2
        .value_kind:     hidden_group_size_z
      - .offset:         82
        .size:           2
        .value_kind:     hidden_remainder_x
      - .offset:         84
        .size:           2
        .value_kind:     hidden_remainder_y
      - .offset:         86
        .size:           2
        .value_kind:     hidden_remainder_z
      - .offset:         104
        .size:           8
        .value_kind:     hidden_global_offset_x
      - .offset:         112
        .size:           8
        .value_kind:     hidden_global_offset_y
      - .offset:         120
        .size:           8
        .value_kind:     hidden_global_offset_z
      - .offset:         128
        .size:           2
        .value_kind:     hidden_grid_dims
    .group_segment_fixed_size: 0
    .kernarg_segment_align: 8
    .kernarg_segment_size: 320
    .language:       OpenCL C
    .language_version:
      - 2
      - 0
    .max_flat_workgroup_size: 64
    .name:           _ZN2at6native12_GLOBAL__N_135GammaBetaBackwardCUDAKernelTemplateIN3c108BFloat16EfLj64ELj1ELj8ELb1ELb1ELb1EEEvllPKT_S7_PKT0_SA_PS5_SB_
    .private_segment_fixed_size: 0
    .sgpr_count:     28
    .sgpr_spill_count: 0
    .symbol:         _ZN2at6native12_GLOBAL__N_135GammaBetaBackwardCUDAKernelTemplateIN3c108BFloat16EfLj64ELj1ELj8ELb1ELb1ELb1EEEvllPKT_S7_PKT0_SA_PS5_SB_.kd
    .uniform_work_group_size: 1
    .uses_dynamic_stack: false
    .vgpr_count:     40
    .vgpr_spill_count: 0
    .wavefront_size: 32
    .workgroup_processor_mode: 1
  - .args:
      - .offset:         0
        .size:           8
        .value_kind:     by_value
      - .offset:         8
        .size:           8
        .value_kind:     by_value
      - .actual_access:  read_only
        .address_space:  global
        .offset:         16
        .size:           8
        .value_kind:     global_buffer
      - .actual_access:  read_only
        .address_space:  global
        .offset:         24
        .size:           8
        .value_kind:     global_buffer
      - .actual_access:  read_only
        .address_space:  global
        .offset:         32
        .size:           8
        .value_kind:     global_buffer
      - .actual_access:  read_only
        .address_space:  global
        .offset:         40
        .size:           8
        .value_kind:     global_buffer
      - .actual_access:  write_only
        .address_space:  global
        .offset:         48
        .size:           8
        .value_kind:     global_buffer
      - .actual_access:  read_only
        .address_space:  global
        .offset:         56
        .size:           8
        .value_kind:     global_buffer
      - .offset:         64
        .size:           4
        .value_kind:     hidden_block_count_x
      - .offset:         68
        .size:           4
        .value_kind:     hidden_block_count_y
      - .offset:         72
        .size:           4
        .value_kind:     hidden_block_count_z
      - .offset:         76
        .size:           2
        .value_kind:     hidden_group_size_x
      - .offset:         78
        .size:           2
        .value_kind:     hidden_group_size_y
      - .offset:         80
        .size:           2
        .value_kind:     hidden_group_size_z
      - .offset:         82
        .size:           2
        .value_kind:     hidden_remainder_x
      - .offset:         84
        .size:           2
        .value_kind:     hidden_remainder_y
      - .offset:         86
        .size:           2
        .value_kind:     hidden_remainder_z
      - .offset:         104
        .size:           8
        .value_kind:     hidden_global_offset_x
      - .offset:         112
        .size:           8
        .value_kind:     hidden_global_offset_y
      - .offset:         120
        .size:           8
        .value_kind:     hidden_global_offset_z
      - .offset:         128
        .size:           2
        .value_kind:     hidden_grid_dims
    .group_segment_fixed_size: 0
    .kernarg_segment_align: 8
    .kernarg_segment_size: 320
    .language:       OpenCL C
    .language_version:
      - 2
      - 0
    .max_flat_workgroup_size: 64
    .name:           _ZN2at6native12_GLOBAL__N_135GammaBetaBackwardCUDAKernelTemplateIN3c108BFloat16EfLj64ELj1ELj8ELb1ELb0ELb1EEEvllPKT_S7_PKT0_SA_PS5_SB_
    .private_segment_fixed_size: 0
    .sgpr_count:     32
    .sgpr_spill_count: 0
    .symbol:         _ZN2at6native12_GLOBAL__N_135GammaBetaBackwardCUDAKernelTemplateIN3c108BFloat16EfLj64ELj1ELj8ELb1ELb0ELb1EEEvllPKT_S7_PKT0_SA_PS5_SB_.kd
    .uniform_work_group_size: 1
    .uses_dynamic_stack: false
    .vgpr_count:     92
    .vgpr_spill_count: 0
    .wavefront_size: 32
    .workgroup_processor_mode: 1
  - .args:
      - .offset:         0
        .size:           8
        .value_kind:     by_value
      - .offset:         8
        .size:           8
        .value_kind:     by_value
      - .actual_access:  read_only
        .address_space:  global
        .offset:         16
        .size:           8
        .value_kind:     global_buffer
      - .actual_access:  read_only
        .address_space:  global
        .offset:         24
        .size:           8
        .value_kind:     global_buffer
      - .actual_access:  read_only
        .address_space:  global
        .offset:         32
        .size:           8
        .value_kind:     global_buffer
      - .actual_access:  read_only
        .address_space:  global
        .offset:         40
        .size:           8
        .value_kind:     global_buffer
      - .actual_access:  write_only
        .address_space:  global
        .offset:         48
        .size:           8
        .value_kind:     global_buffer
      - .actual_access:  read_only
        .address_space:  global
        .offset:         56
        .size:           8
        .value_kind:     global_buffer
      - .offset:         64
        .size:           4
        .value_kind:     hidden_block_count_x
      - .offset:         68
        .size:           4
        .value_kind:     hidden_block_count_y
      - .offset:         72
        .size:           4
        .value_kind:     hidden_block_count_z
      - .offset:         76
        .size:           2
        .value_kind:     hidden_group_size_x
      - .offset:         78
        .size:           2
        .value_kind:     hidden_group_size_y
      - .offset:         80
        .size:           2
        .value_kind:     hidden_group_size_z
      - .offset:         82
        .size:           2
        .value_kind:     hidden_remainder_x
      - .offset:         84
        .size:           2
        .value_kind:     hidden_remainder_y
      - .offset:         86
        .size:           2
        .value_kind:     hidden_remainder_z
      - .offset:         104
        .size:           8
        .value_kind:     hidden_global_offset_x
      - .offset:         112
        .size:           8
        .value_kind:     hidden_global_offset_y
      - .offset:         120
        .size:           8
        .value_kind:     hidden_global_offset_z
      - .offset:         128
        .size:           2
        .value_kind:     hidden_grid_dims
      - .offset:         184
        .size:           4
        .value_kind:     hidden_dynamic_lds_size
    .group_segment_fixed_size: 0
    .kernarg_segment_align: 8
    .kernarg_segment_size: 320
    .language:       OpenCL C
    .language_version:
      - 2
      - 0
    .max_flat_workgroup_size: 512
    .name:           _ZN2at6native12_GLOBAL__N_135GammaBetaBackwardCUDAKernelTemplateIN3c108BFloat16EfLj64ELj8ELj64ELb0ELb1ELb1EEEvllPKT_S7_PKT0_SA_PS5_SB_
    .private_segment_fixed_size: 0
    .sgpr_count:     24
    .sgpr_spill_count: 0
    .symbol:         _ZN2at6native12_GLOBAL__N_135GammaBetaBackwardCUDAKernelTemplateIN3c108BFloat16EfLj64ELj8ELj64ELb0ELb1ELb1EEEvllPKT_S7_PKT0_SA_PS5_SB_.kd
    .uniform_work_group_size: 1
    .uses_dynamic_stack: false
    .vgpr_count:     40
    .vgpr_spill_count: 0
    .wavefront_size: 32
    .workgroup_processor_mode: 1
  - .args:
      - .offset:         0
        .size:           8
        .value_kind:     by_value
      - .offset:         8
        .size:           8
        .value_kind:     by_value
      - .actual_access:  read_only
        .address_space:  global
        .offset:         16
        .size:           8
        .value_kind:     global_buffer
      - .actual_access:  read_only
        .address_space:  global
        .offset:         24
        .size:           8
        .value_kind:     global_buffer
      - .actual_access:  read_only
        .address_space:  global
        .offset:         32
        .size:           8
        .value_kind:     global_buffer
      - .actual_access:  read_only
        .address_space:  global
        .offset:         40
        .size:           8
        .value_kind:     global_buffer
      - .actual_access:  write_only
        .address_space:  global
        .offset:         48
        .size:           8
        .value_kind:     global_buffer
      - .actual_access:  read_only
        .address_space:  global
        .offset:         56
        .size:           8
        .value_kind:     global_buffer
      - .offset:         64
        .size:           4
        .value_kind:     hidden_block_count_x
      - .offset:         68
        .size:           4
        .value_kind:     hidden_block_count_y
      - .offset:         72
        .size:           4
        .value_kind:     hidden_block_count_z
      - .offset:         76
        .size:           2
        .value_kind:     hidden_group_size_x
      - .offset:         78
        .size:           2
        .value_kind:     hidden_group_size_y
      - .offset:         80
        .size:           2
        .value_kind:     hidden_group_size_z
      - .offset:         82
        .size:           2
        .value_kind:     hidden_remainder_x
      - .offset:         84
        .size:           2
        .value_kind:     hidden_remainder_y
      - .offset:         86
        .size:           2
        .value_kind:     hidden_remainder_z
      - .offset:         104
        .size:           8
        .value_kind:     hidden_global_offset_x
      - .offset:         112
        .size:           8
        .value_kind:     hidden_global_offset_y
      - .offset:         120
        .size:           8
        .value_kind:     hidden_global_offset_z
      - .offset:         128
        .size:           2
        .value_kind:     hidden_grid_dims
      - .offset:         184
        .size:           4
        .value_kind:     hidden_dynamic_lds_size
    .group_segment_fixed_size: 0
    .kernarg_segment_align: 8
    .kernarg_segment_size: 320
    .language:       OpenCL C
    .language_version:
      - 2
      - 0
    .max_flat_workgroup_size: 512
    .name:           _ZN2at6native12_GLOBAL__N_135GammaBetaBackwardCUDAKernelTemplateIN3c108BFloat16EfLj64ELj8ELj64ELb0ELb0ELb1EEEvllPKT_S7_PKT0_SA_PS5_SB_
    .private_segment_fixed_size: 0
    .sgpr_count:     32
    .sgpr_spill_count: 0
    .symbol:         _ZN2at6native12_GLOBAL__N_135GammaBetaBackwardCUDAKernelTemplateIN3c108BFloat16EfLj64ELj8ELj64ELb0ELb0ELb1EEEvllPKT_S7_PKT0_SA_PS5_SB_.kd
    .uniform_work_group_size: 1
    .uses_dynamic_stack: false
    .vgpr_count:     91
    .vgpr_spill_count: 0
    .wavefront_size: 32
    .workgroup_processor_mode: 1
  - .args:
      - .offset:         0
        .size:           8
        .value_kind:     by_value
      - .offset:         8
        .size:           8
        .value_kind:     by_value
      - .actual_access:  read_only
        .address_space:  global
        .offset:         16
        .size:           8
        .value_kind:     global_buffer
      - .actual_access:  read_only
        .address_space:  global
        .offset:         24
        .size:           8
        .value_kind:     global_buffer
      - .actual_access:  read_only
        .address_space:  global
        .offset:         32
        .size:           8
        .value_kind:     global_buffer
      - .actual_access:  read_only
        .address_space:  global
        .offset:         40
        .size:           8
        .value_kind:     global_buffer
      - .actual_access:  write_only
        .address_space:  global
        .offset:         48
        .size:           8
        .value_kind:     global_buffer
      - .actual_access:  read_only
        .address_space:  global
        .offset:         56
        .size:           8
        .value_kind:     global_buffer
      - .offset:         64
        .size:           4
        .value_kind:     hidden_block_count_x
      - .offset:         68
        .size:           4
        .value_kind:     hidden_block_count_y
      - .offset:         72
        .size:           4
        .value_kind:     hidden_block_count_z
      - .offset:         76
        .size:           2
        .value_kind:     hidden_group_size_x
      - .offset:         78
        .size:           2
        .value_kind:     hidden_group_size_y
      - .offset:         80
        .size:           2
        .value_kind:     hidden_group_size_z
      - .offset:         82
        .size:           2
        .value_kind:     hidden_remainder_x
      - .offset:         84
        .size:           2
        .value_kind:     hidden_remainder_y
      - .offset:         86
        .size:           2
        .value_kind:     hidden_remainder_z
      - .offset:         104
        .size:           8
        .value_kind:     hidden_global_offset_x
      - .offset:         112
        .size:           8
        .value_kind:     hidden_global_offset_y
      - .offset:         120
        .size:           8
        .value_kind:     hidden_global_offset_z
      - .offset:         128
        .size:           2
        .value_kind:     hidden_grid_dims
      - .offset:         184
        .size:           4
        .value_kind:     hidden_dynamic_lds_size
    .group_segment_fixed_size: 0
    .kernarg_segment_align: 8
    .kernarg_segment_size: 320
    .language:       OpenCL C
    .language_version:
      - 2
      - 0
    .max_flat_workgroup_size: 1024
    .name:           _ZN2at6native12_GLOBAL__N_135GammaBetaBackwardCUDAKernelTemplateIN3c108BFloat16EfLj64ELj16ELj128ELb0ELb1ELb1EEEvllPKT_S7_PKT0_SA_PS5_SB_
    .private_segment_fixed_size: 0
    .sgpr_count:     24
    .sgpr_spill_count: 0
    .symbol:         _ZN2at6native12_GLOBAL__N_135GammaBetaBackwardCUDAKernelTemplateIN3c108BFloat16EfLj64ELj16ELj128ELb0ELb1ELb1EEEvllPKT_S7_PKT0_SA_PS5_SB_.kd
    .uniform_work_group_size: 1
    .uses_dynamic_stack: false
    .vgpr_count:     40
    .vgpr_spill_count: 0
    .wavefront_size: 32
    .workgroup_processor_mode: 1
  - .args:
      - .offset:         0
        .size:           8
        .value_kind:     by_value
      - .offset:         8
        .size:           8
        .value_kind:     by_value
      - .actual_access:  read_only
        .address_space:  global
        .offset:         16
        .size:           8
        .value_kind:     global_buffer
      - .actual_access:  read_only
        .address_space:  global
        .offset:         24
        .size:           8
        .value_kind:     global_buffer
      - .actual_access:  read_only
        .address_space:  global
        .offset:         32
        .size:           8
        .value_kind:     global_buffer
      - .actual_access:  read_only
        .address_space:  global
        .offset:         40
        .size:           8
        .value_kind:     global_buffer
      - .actual_access:  write_only
        .address_space:  global
        .offset:         48
        .size:           8
        .value_kind:     global_buffer
      - .actual_access:  read_only
        .address_space:  global
        .offset:         56
        .size:           8
        .value_kind:     global_buffer
      - .offset:         64
        .size:           4
        .value_kind:     hidden_block_count_x
      - .offset:         68
        .size:           4
        .value_kind:     hidden_block_count_y
      - .offset:         72
        .size:           4
        .value_kind:     hidden_block_count_z
      - .offset:         76
        .size:           2
        .value_kind:     hidden_group_size_x
      - .offset:         78
        .size:           2
        .value_kind:     hidden_group_size_y
      - .offset:         80
        .size:           2
        .value_kind:     hidden_group_size_z
      - .offset:         82
        .size:           2
        .value_kind:     hidden_remainder_x
      - .offset:         84
        .size:           2
        .value_kind:     hidden_remainder_y
      - .offset:         86
        .size:           2
        .value_kind:     hidden_remainder_z
      - .offset:         104
        .size:           8
        .value_kind:     hidden_global_offset_x
      - .offset:         112
        .size:           8
        .value_kind:     hidden_global_offset_y
      - .offset:         120
        .size:           8
        .value_kind:     hidden_global_offset_z
      - .offset:         128
        .size:           2
        .value_kind:     hidden_grid_dims
      - .offset:         184
        .size:           4
        .value_kind:     hidden_dynamic_lds_size
    .group_segment_fixed_size: 0
    .kernarg_segment_align: 8
    .kernarg_segment_size: 320
    .language:       OpenCL C
    .language_version:
      - 2
      - 0
    .max_flat_workgroup_size: 1024
    .name:           _ZN2at6native12_GLOBAL__N_135GammaBetaBackwardCUDAKernelTemplateIN3c108BFloat16EfLj64ELj16ELj128ELb0ELb0ELb1EEEvllPKT_S7_PKT0_SA_PS5_SB_
    .private_segment_fixed_size: 0
    .sgpr_count:     32
    .sgpr_spill_count: 0
    .symbol:         _ZN2at6native12_GLOBAL__N_135GammaBetaBackwardCUDAKernelTemplateIN3c108BFloat16EfLj64ELj16ELj128ELb0ELb0ELb1EEEvllPKT_S7_PKT0_SA_PS5_SB_.kd
    .uniform_work_group_size: 1
    .uses_dynamic_stack: false
    .vgpr_count:     91
    .vgpr_spill_count: 0
    .wavefront_size: 32
    .workgroup_processor_mode: 1
  - .args:
      - .offset:         0
        .size:           8
        .value_kind:     by_value
      - .offset:         8
        .size:           8
        .value_kind:     by_value
      - .actual_access:  read_only
        .address_space:  global
        .offset:         16
        .size:           8
        .value_kind:     global_buffer
      - .actual_access:  read_only
        .address_space:  global
        .offset:         24
        .size:           8
        .value_kind:     global_buffer
      - .actual_access:  read_only
        .address_space:  global
        .offset:         32
        .size:           8
        .value_kind:     global_buffer
      - .actual_access:  read_only
        .address_space:  global
        .offset:         40
        .size:           8
        .value_kind:     global_buffer
      - .actual_access:  write_only
        .address_space:  global
        .offset:         48
        .size:           8
        .value_kind:     global_buffer
      - .actual_access:  read_only
        .address_space:  global
        .offset:         56
        .size:           8
        .value_kind:     global_buffer
      - .offset:         64
        .size:           4
        .value_kind:     hidden_block_count_x
      - .offset:         68
        .size:           4
        .value_kind:     hidden_block_count_y
      - .offset:         72
        .size:           4
        .value_kind:     hidden_block_count_z
      - .offset:         76
        .size:           2
        .value_kind:     hidden_group_size_x
      - .offset:         78
        .size:           2
        .value_kind:     hidden_group_size_y
      - .offset:         80
        .size:           2
        .value_kind:     hidden_group_size_z
      - .offset:         82
        .size:           2
        .value_kind:     hidden_remainder_x
      - .offset:         84
        .size:           2
        .value_kind:     hidden_remainder_y
      - .offset:         86
        .size:           2
        .value_kind:     hidden_remainder_z
      - .offset:         104
        .size:           8
        .value_kind:     hidden_global_offset_x
      - .offset:         112
        .size:           8
        .value_kind:     hidden_global_offset_y
      - .offset:         120
        .size:           8
        .value_kind:     hidden_global_offset_z
      - .offset:         128
        .size:           2
        .value_kind:     hidden_grid_dims
      - .offset:         184
        .size:           4
        .value_kind:     hidden_dynamic_lds_size
    .group_segment_fixed_size: 0
    .kernarg_segment_align: 8
    .kernarg_segment_size: 320
    .language:       OpenCL C
    .language_version:
      - 2
      - 0
    .max_flat_workgroup_size: 1024
    .name:           _ZN2at6native12_GLOBAL__N_135GammaBetaBackwardCUDAKernelTemplateIN3c108BFloat16EfLj64ELj16ELj256ELb0ELb1ELb1EEEvllPKT_S7_PKT0_SA_PS5_SB_
    .private_segment_fixed_size: 0
    .sgpr_count:     24
    .sgpr_spill_count: 0
    .symbol:         _ZN2at6native12_GLOBAL__N_135GammaBetaBackwardCUDAKernelTemplateIN3c108BFloat16EfLj64ELj16ELj256ELb0ELb1ELb1EEEvllPKT_S7_PKT0_SA_PS5_SB_.kd
    .uniform_work_group_size: 1
    .uses_dynamic_stack: false
    .vgpr_count:     64
    .vgpr_spill_count: 0
    .wavefront_size: 32
    .workgroup_processor_mode: 1
  - .args:
      - .offset:         0
        .size:           8
        .value_kind:     by_value
      - .offset:         8
        .size:           8
        .value_kind:     by_value
      - .actual_access:  read_only
        .address_space:  global
        .offset:         16
        .size:           8
        .value_kind:     global_buffer
      - .actual_access:  read_only
        .address_space:  global
        .offset:         24
        .size:           8
        .value_kind:     global_buffer
      - .actual_access:  read_only
        .address_space:  global
        .offset:         32
        .size:           8
        .value_kind:     global_buffer
      - .actual_access:  read_only
        .address_space:  global
        .offset:         40
        .size:           8
        .value_kind:     global_buffer
      - .actual_access:  write_only
        .address_space:  global
        .offset:         48
        .size:           8
        .value_kind:     global_buffer
      - .actual_access:  read_only
        .address_space:  global
        .offset:         56
        .size:           8
        .value_kind:     global_buffer
      - .offset:         64
        .size:           4
        .value_kind:     hidden_block_count_x
      - .offset:         68
        .size:           4
        .value_kind:     hidden_block_count_y
      - .offset:         72
        .size:           4
        .value_kind:     hidden_block_count_z
      - .offset:         76
        .size:           2
        .value_kind:     hidden_group_size_x
      - .offset:         78
        .size:           2
        .value_kind:     hidden_group_size_y
      - .offset:         80
        .size:           2
        .value_kind:     hidden_group_size_z
      - .offset:         82
        .size:           2
        .value_kind:     hidden_remainder_x
      - .offset:         84
        .size:           2
        .value_kind:     hidden_remainder_y
      - .offset:         86
        .size:           2
        .value_kind:     hidden_remainder_z
      - .offset:         104
        .size:           8
        .value_kind:     hidden_global_offset_x
      - .offset:         112
        .size:           8
        .value_kind:     hidden_global_offset_y
      - .offset:         120
        .size:           8
        .value_kind:     hidden_global_offset_z
      - .offset:         128
        .size:           2
        .value_kind:     hidden_grid_dims
      - .offset:         184
        .size:           4
        .value_kind:     hidden_dynamic_lds_size
    .group_segment_fixed_size: 0
    .kernarg_segment_align: 8
    .kernarg_segment_size: 320
    .language:       OpenCL C
    .language_version:
      - 2
      - 0
    .max_flat_workgroup_size: 1024
    .name:           _ZN2at6native12_GLOBAL__N_135GammaBetaBackwardCUDAKernelTemplateIN3c108BFloat16EfLj64ELj16ELj256ELb0ELb0ELb1EEEvllPKT_S7_PKT0_SA_PS5_SB_
    .private_segment_fixed_size: 168
    .sgpr_count:     42
    .sgpr_spill_count: 0
    .symbol:         _ZN2at6native12_GLOBAL__N_135GammaBetaBackwardCUDAKernelTemplateIN3c108BFloat16EfLj64ELj16ELj256ELb0ELb0ELb1EEEvllPKT_S7_PKT0_SA_PS5_SB_.kd
    .uniform_work_group_size: 1
    .uses_dynamic_stack: false
    .vgpr_count:     128
    .vgpr_spill_count: 79
    .wavefront_size: 32
    .workgroup_processor_mode: 1
  - .args:
      - .offset:         0
        .size:           8
        .value_kind:     by_value
      - .offset:         8
        .size:           8
        .value_kind:     by_value
      - .actual_access:  read_only
        .address_space:  global
        .offset:         16
        .size:           8
        .value_kind:     global_buffer
      - .actual_access:  read_only
        .address_space:  global
        .offset:         24
        .size:           8
        .value_kind:     global_buffer
      - .actual_access:  read_only
        .address_space:  global
        .offset:         32
        .size:           8
        .value_kind:     global_buffer
      - .actual_access:  read_only
        .address_space:  global
        .offset:         40
        .size:           8
        .value_kind:     global_buffer
      - .actual_access:  write_only
        .address_space:  global
        .offset:         48
        .size:           8
        .value_kind:     global_buffer
      - .actual_access:  read_only
        .address_space:  global
        .offset:         56
        .size:           8
        .value_kind:     global_buffer
      - .offset:         64
        .size:           4
        .value_kind:     hidden_block_count_x
      - .offset:         68
        .size:           4
        .value_kind:     hidden_block_count_y
      - .offset:         72
        .size:           4
        .value_kind:     hidden_block_count_z
      - .offset:         76
        .size:           2
        .value_kind:     hidden_group_size_x
      - .offset:         78
        .size:           2
        .value_kind:     hidden_group_size_y
      - .offset:         80
        .size:           2
        .value_kind:     hidden_group_size_z
      - .offset:         82
        .size:           2
        .value_kind:     hidden_remainder_x
      - .offset:         84
        .size:           2
        .value_kind:     hidden_remainder_y
      - .offset:         86
        .size:           2
        .value_kind:     hidden_remainder_z
      - .offset:         104
        .size:           8
        .value_kind:     hidden_global_offset_x
      - .offset:         112
        .size:           8
        .value_kind:     hidden_global_offset_y
      - .offset:         120
        .size:           8
        .value_kind:     hidden_global_offset_z
      - .offset:         128
        .size:           2
        .value_kind:     hidden_grid_dims
    .group_segment_fixed_size: 0
    .kernarg_segment_align: 8
    .kernarg_segment_size: 320
    .language:       OpenCL C
    .language_version:
      - 2
      - 0
    .max_flat_workgroup_size: 32
    .name:           _ZN2at6native12_GLOBAL__N_135GammaBetaBackwardCUDAKernelTemplateIN3c108BFloat16EfLj32ELj1ELj32ELb1ELb1ELb1EEEvllPKT_S7_PKT0_SA_PS5_SB_
    .private_segment_fixed_size: 0
    .sgpr_count:     26
    .sgpr_spill_count: 0
    .symbol:         _ZN2at6native12_GLOBAL__N_135GammaBetaBackwardCUDAKernelTemplateIN3c108BFloat16EfLj32ELj1ELj32ELb1ELb1ELb1EEEvllPKT_S7_PKT0_SA_PS5_SB_.kd
    .uniform_work_group_size: 1
    .uses_dynamic_stack: false
    .vgpr_count:     63
    .vgpr_spill_count: 0
    .wavefront_size: 32
    .workgroup_processor_mode: 1
  - .args:
      - .offset:         0
        .size:           8
        .value_kind:     by_value
      - .offset:         8
        .size:           8
        .value_kind:     by_value
      - .actual_access:  read_only
        .address_space:  global
        .offset:         16
        .size:           8
        .value_kind:     global_buffer
      - .actual_access:  read_only
        .address_space:  global
        .offset:         24
        .size:           8
        .value_kind:     global_buffer
      - .actual_access:  read_only
        .address_space:  global
        .offset:         32
        .size:           8
        .value_kind:     global_buffer
      - .actual_access:  read_only
        .address_space:  global
        .offset:         40
        .size:           8
        .value_kind:     global_buffer
      - .actual_access:  write_only
        .address_space:  global
        .offset:         48
        .size:           8
        .value_kind:     global_buffer
      - .actual_access:  read_only
        .address_space:  global
        .offset:         56
        .size:           8
        .value_kind:     global_buffer
      - .offset:         64
        .size:           4
        .value_kind:     hidden_block_count_x
      - .offset:         68
        .size:           4
        .value_kind:     hidden_block_count_y
      - .offset:         72
        .size:           4
        .value_kind:     hidden_block_count_z
      - .offset:         76
        .size:           2
        .value_kind:     hidden_group_size_x
      - .offset:         78
        .size:           2
        .value_kind:     hidden_group_size_y
      - .offset:         80
        .size:           2
        .value_kind:     hidden_group_size_z
      - .offset:         82
        .size:           2
        .value_kind:     hidden_remainder_x
      - .offset:         84
        .size:           2
        .value_kind:     hidden_remainder_y
      - .offset:         86
        .size:           2
        .value_kind:     hidden_remainder_z
      - .offset:         104
        .size:           8
        .value_kind:     hidden_global_offset_x
      - .offset:         112
        .size:           8
        .value_kind:     hidden_global_offset_y
      - .offset:         120
        .size:           8
        .value_kind:     hidden_global_offset_z
      - .offset:         128
        .size:           2
        .value_kind:     hidden_grid_dims
    .group_segment_fixed_size: 0
    .kernarg_segment_align: 8
    .kernarg_segment_size: 320
    .language:       OpenCL C
    .language_version:
      - 2
      - 0
    .max_flat_workgroup_size: 32
    .name:           _ZN2at6native12_GLOBAL__N_135GammaBetaBackwardCUDAKernelTemplateIN3c108BFloat16EfLj32ELj1ELj32ELb1ELb0ELb1EEEvllPKT_S7_PKT0_SA_PS5_SB_
    .private_segment_fixed_size: 300
    .sgpr_count:     42
    .sgpr_spill_count: 0
    .symbol:         _ZN2at6native12_GLOBAL__N_135GammaBetaBackwardCUDAKernelTemplateIN3c108BFloat16EfLj32ELj1ELj32ELb1ELb0ELb1EEEvllPKT_S7_PKT0_SA_PS5_SB_.kd
    .uniform_work_group_size: 1
    .uses_dynamic_stack: false
    .vgpr_count:     256
    .vgpr_spill_count: 147
    .wavefront_size: 32
    .workgroup_processor_mode: 1
  - .args:
      - .offset:         0
        .size:           8
        .value_kind:     by_value
      - .offset:         8
        .size:           8
        .value_kind:     by_value
      - .actual_access:  read_only
        .address_space:  global
        .offset:         16
        .size:           8
        .value_kind:     global_buffer
      - .actual_access:  read_only
        .address_space:  global
        .offset:         24
        .size:           8
        .value_kind:     global_buffer
      - .actual_access:  read_only
        .address_space:  global
        .offset:         32
        .size:           8
        .value_kind:     global_buffer
      - .actual_access:  read_only
        .address_space:  global
        .offset:         40
        .size:           8
        .value_kind:     global_buffer
      - .actual_access:  write_only
        .address_space:  global
        .offset:         48
        .size:           8
        .value_kind:     global_buffer
      - .actual_access:  read_only
        .address_space:  global
        .offset:         56
        .size:           8
        .value_kind:     global_buffer
      - .offset:         64
        .size:           4
        .value_kind:     hidden_block_count_x
      - .offset:         68
        .size:           4
        .value_kind:     hidden_block_count_y
      - .offset:         72
        .size:           4
        .value_kind:     hidden_block_count_z
      - .offset:         76
        .size:           2
        .value_kind:     hidden_group_size_x
      - .offset:         78
        .size:           2
        .value_kind:     hidden_group_size_y
      - .offset:         80
        .size:           2
        .value_kind:     hidden_group_size_z
      - .offset:         82
        .size:           2
        .value_kind:     hidden_remainder_x
      - .offset:         84
        .size:           2
        .value_kind:     hidden_remainder_y
      - .offset:         86
        .size:           2
        .value_kind:     hidden_remainder_z
      - .offset:         104
        .size:           8
        .value_kind:     hidden_global_offset_x
      - .offset:         112
        .size:           8
        .value_kind:     hidden_global_offset_y
      - .offset:         120
        .size:           8
        .value_kind:     hidden_global_offset_z
      - .offset:         128
        .size:           2
        .value_kind:     hidden_grid_dims
    .group_segment_fixed_size: 0
    .kernarg_segment_align: 8
    .kernarg_segment_size: 320
    .language:       OpenCL C
    .language_version:
      - 2
      - 0
    .max_flat_workgroup_size: 32
    .name:           _ZN2at6native12_GLOBAL__N_135GammaBetaBackwardCUDAKernelTemplateIN3c108BFloat16EfLj32ELj1ELj8ELb1ELb1ELb1EEEvllPKT_S7_PKT0_SA_PS5_SB_
    .private_segment_fixed_size: 0
    .sgpr_count:     28
    .sgpr_spill_count: 0
    .symbol:         _ZN2at6native12_GLOBAL__N_135GammaBetaBackwardCUDAKernelTemplateIN3c108BFloat16EfLj32ELj1ELj8ELb1ELb1ELb1EEEvllPKT_S7_PKT0_SA_PS5_SB_.kd
    .uniform_work_group_size: 1
    .uses_dynamic_stack: false
    .vgpr_count:     40
    .vgpr_spill_count: 0
    .wavefront_size: 32
    .workgroup_processor_mode: 1
  - .args:
      - .offset:         0
        .size:           8
        .value_kind:     by_value
      - .offset:         8
        .size:           8
        .value_kind:     by_value
      - .actual_access:  read_only
        .address_space:  global
        .offset:         16
        .size:           8
        .value_kind:     global_buffer
      - .actual_access:  read_only
        .address_space:  global
        .offset:         24
        .size:           8
        .value_kind:     global_buffer
      - .actual_access:  read_only
        .address_space:  global
        .offset:         32
        .size:           8
        .value_kind:     global_buffer
      - .actual_access:  read_only
        .address_space:  global
        .offset:         40
        .size:           8
        .value_kind:     global_buffer
      - .actual_access:  write_only
        .address_space:  global
        .offset:         48
        .size:           8
        .value_kind:     global_buffer
      - .actual_access:  read_only
        .address_space:  global
        .offset:         56
        .size:           8
        .value_kind:     global_buffer
      - .offset:         64
        .size:           4
        .value_kind:     hidden_block_count_x
      - .offset:         68
        .size:           4
        .value_kind:     hidden_block_count_y
      - .offset:         72
        .size:           4
        .value_kind:     hidden_block_count_z
      - .offset:         76
        .size:           2
        .value_kind:     hidden_group_size_x
      - .offset:         78
        .size:           2
        .value_kind:     hidden_group_size_y
      - .offset:         80
        .size:           2
        .value_kind:     hidden_group_size_z
      - .offset:         82
        .size:           2
        .value_kind:     hidden_remainder_x
      - .offset:         84
        .size:           2
        .value_kind:     hidden_remainder_y
      - .offset:         86
        .size:           2
        .value_kind:     hidden_remainder_z
      - .offset:         104
        .size:           8
        .value_kind:     hidden_global_offset_x
      - .offset:         112
        .size:           8
        .value_kind:     hidden_global_offset_y
      - .offset:         120
        .size:           8
        .value_kind:     hidden_global_offset_z
      - .offset:         128
        .size:           2
        .value_kind:     hidden_grid_dims
    .group_segment_fixed_size: 0
    .kernarg_segment_align: 8
    .kernarg_segment_size: 320
    .language:       OpenCL C
    .language_version:
      - 2
      - 0
    .max_flat_workgroup_size: 32
    .name:           _ZN2at6native12_GLOBAL__N_135GammaBetaBackwardCUDAKernelTemplateIN3c108BFloat16EfLj32ELj1ELj8ELb1ELb0ELb1EEEvllPKT_S7_PKT0_SA_PS5_SB_
    .private_segment_fixed_size: 0
    .sgpr_count:     32
    .sgpr_spill_count: 0
    .symbol:         _ZN2at6native12_GLOBAL__N_135GammaBetaBackwardCUDAKernelTemplateIN3c108BFloat16EfLj32ELj1ELj8ELb1ELb0ELb1EEEvllPKT_S7_PKT0_SA_PS5_SB_.kd
    .uniform_work_group_size: 1
    .uses_dynamic_stack: false
    .vgpr_count:     92
    .vgpr_spill_count: 0
    .wavefront_size: 32
    .workgroup_processor_mode: 1
  - .args:
      - .offset:         0
        .size:           8
        .value_kind:     by_value
      - .offset:         8
        .size:           8
        .value_kind:     by_value
      - .actual_access:  read_only
        .address_space:  global
        .offset:         16
        .size:           8
        .value_kind:     global_buffer
      - .actual_access:  read_only
        .address_space:  global
        .offset:         24
        .size:           8
        .value_kind:     global_buffer
      - .actual_access:  read_only
        .address_space:  global
        .offset:         32
        .size:           8
        .value_kind:     global_buffer
      - .actual_access:  read_only
        .address_space:  global
        .offset:         40
        .size:           8
        .value_kind:     global_buffer
      - .actual_access:  write_only
        .address_space:  global
        .offset:         48
        .size:           8
        .value_kind:     global_buffer
      - .actual_access:  read_only
        .address_space:  global
        .offset:         56
        .size:           8
        .value_kind:     global_buffer
      - .offset:         64
        .size:           4
        .value_kind:     hidden_block_count_x
      - .offset:         68
        .size:           4
        .value_kind:     hidden_block_count_y
      - .offset:         72
        .size:           4
        .value_kind:     hidden_block_count_z
      - .offset:         76
        .size:           2
        .value_kind:     hidden_group_size_x
      - .offset:         78
        .size:           2
        .value_kind:     hidden_group_size_y
      - .offset:         80
        .size:           2
        .value_kind:     hidden_group_size_z
      - .offset:         82
        .size:           2
        .value_kind:     hidden_remainder_x
      - .offset:         84
        .size:           2
        .value_kind:     hidden_remainder_y
      - .offset:         86
        .size:           2
        .value_kind:     hidden_remainder_z
      - .offset:         104
        .size:           8
        .value_kind:     hidden_global_offset_x
      - .offset:         112
        .size:           8
        .value_kind:     hidden_global_offset_y
      - .offset:         120
        .size:           8
        .value_kind:     hidden_global_offset_z
      - .offset:         128
        .size:           2
        .value_kind:     hidden_grid_dims
      - .offset:         184
        .size:           4
        .value_kind:     hidden_dynamic_lds_size
    .group_segment_fixed_size: 0
    .kernarg_segment_align: 8
    .kernarg_segment_size: 320
    .language:       OpenCL C
    .language_version:
      - 2
      - 0
    .max_flat_workgroup_size: 256
    .name:           _ZN2at6native12_GLOBAL__N_135GammaBetaBackwardCUDAKernelTemplateIN3c108BFloat16EfLj32ELj8ELj64ELb0ELb1ELb1EEEvllPKT_S7_PKT0_SA_PS5_SB_
    .private_segment_fixed_size: 0
    .sgpr_count:     24
    .sgpr_spill_count: 0
    .symbol:         _ZN2at6native12_GLOBAL__N_135GammaBetaBackwardCUDAKernelTemplateIN3c108BFloat16EfLj32ELj8ELj64ELb0ELb1ELb1EEEvllPKT_S7_PKT0_SA_PS5_SB_.kd
    .uniform_work_group_size: 1
    .uses_dynamic_stack: false
    .vgpr_count:     40
    .vgpr_spill_count: 0
    .wavefront_size: 32
    .workgroup_processor_mode: 1
  - .args:
      - .offset:         0
        .size:           8
        .value_kind:     by_value
      - .offset:         8
        .size:           8
        .value_kind:     by_value
      - .actual_access:  read_only
        .address_space:  global
        .offset:         16
        .size:           8
        .value_kind:     global_buffer
      - .actual_access:  read_only
        .address_space:  global
        .offset:         24
        .size:           8
        .value_kind:     global_buffer
      - .actual_access:  read_only
        .address_space:  global
        .offset:         32
        .size:           8
        .value_kind:     global_buffer
      - .actual_access:  read_only
        .address_space:  global
        .offset:         40
        .size:           8
        .value_kind:     global_buffer
      - .actual_access:  write_only
        .address_space:  global
        .offset:         48
        .size:           8
        .value_kind:     global_buffer
      - .actual_access:  read_only
        .address_space:  global
        .offset:         56
        .size:           8
        .value_kind:     global_buffer
      - .offset:         64
        .size:           4
        .value_kind:     hidden_block_count_x
      - .offset:         68
        .size:           4
        .value_kind:     hidden_block_count_y
      - .offset:         72
        .size:           4
        .value_kind:     hidden_block_count_z
      - .offset:         76
        .size:           2
        .value_kind:     hidden_group_size_x
      - .offset:         78
        .size:           2
        .value_kind:     hidden_group_size_y
      - .offset:         80
        .size:           2
        .value_kind:     hidden_group_size_z
      - .offset:         82
        .size:           2
        .value_kind:     hidden_remainder_x
      - .offset:         84
        .size:           2
        .value_kind:     hidden_remainder_y
      - .offset:         86
        .size:           2
        .value_kind:     hidden_remainder_z
      - .offset:         104
        .size:           8
        .value_kind:     hidden_global_offset_x
      - .offset:         112
        .size:           8
        .value_kind:     hidden_global_offset_y
      - .offset:         120
        .size:           8
        .value_kind:     hidden_global_offset_z
      - .offset:         128
        .size:           2
        .value_kind:     hidden_grid_dims
      - .offset:         184
        .size:           4
        .value_kind:     hidden_dynamic_lds_size
    .group_segment_fixed_size: 0
    .kernarg_segment_align: 8
    .kernarg_segment_size: 320
    .language:       OpenCL C
    .language_version:
      - 2
      - 0
    .max_flat_workgroup_size: 256
    .name:           _ZN2at6native12_GLOBAL__N_135GammaBetaBackwardCUDAKernelTemplateIN3c108BFloat16EfLj32ELj8ELj64ELb0ELb0ELb1EEEvllPKT_S7_PKT0_SA_PS5_SB_
    .private_segment_fixed_size: 0
    .sgpr_count:     32
    .sgpr_spill_count: 0
    .symbol:         _ZN2at6native12_GLOBAL__N_135GammaBetaBackwardCUDAKernelTemplateIN3c108BFloat16EfLj32ELj8ELj64ELb0ELb0ELb1EEEvllPKT_S7_PKT0_SA_PS5_SB_.kd
    .uniform_work_group_size: 1
    .uses_dynamic_stack: false
    .vgpr_count:     91
    .vgpr_spill_count: 0
    .wavefront_size: 32
    .workgroup_processor_mode: 1
  - .args:
      - .offset:         0
        .size:           8
        .value_kind:     by_value
      - .offset:         8
        .size:           8
        .value_kind:     by_value
      - .actual_access:  read_only
        .address_space:  global
        .offset:         16
        .size:           8
        .value_kind:     global_buffer
      - .actual_access:  read_only
        .address_space:  global
        .offset:         24
        .size:           8
        .value_kind:     global_buffer
      - .actual_access:  read_only
        .address_space:  global
        .offset:         32
        .size:           8
        .value_kind:     global_buffer
      - .actual_access:  read_only
        .address_space:  global
        .offset:         40
        .size:           8
        .value_kind:     global_buffer
      - .actual_access:  write_only
        .address_space:  global
        .offset:         48
        .size:           8
        .value_kind:     global_buffer
      - .actual_access:  read_only
        .address_space:  global
        .offset:         56
        .size:           8
        .value_kind:     global_buffer
      - .offset:         64
        .size:           4
        .value_kind:     hidden_block_count_x
      - .offset:         68
        .size:           4
        .value_kind:     hidden_block_count_y
      - .offset:         72
        .size:           4
        .value_kind:     hidden_block_count_z
      - .offset:         76
        .size:           2
        .value_kind:     hidden_group_size_x
      - .offset:         78
        .size:           2
        .value_kind:     hidden_group_size_y
      - .offset:         80
        .size:           2
        .value_kind:     hidden_group_size_z
      - .offset:         82
        .size:           2
        .value_kind:     hidden_remainder_x
      - .offset:         84
        .size:           2
        .value_kind:     hidden_remainder_y
      - .offset:         86
        .size:           2
        .value_kind:     hidden_remainder_z
      - .offset:         104
        .size:           8
        .value_kind:     hidden_global_offset_x
      - .offset:         112
        .size:           8
        .value_kind:     hidden_global_offset_y
      - .offset:         120
        .size:           8
        .value_kind:     hidden_global_offset_z
      - .offset:         128
        .size:           2
        .value_kind:     hidden_grid_dims
      - .offset:         184
        .size:           4
        .value_kind:     hidden_dynamic_lds_size
    .group_segment_fixed_size: 0
    .kernarg_segment_align: 8
    .kernarg_segment_size: 320
    .language:       OpenCL C
    .language_version:
      - 2
      - 0
    .max_flat_workgroup_size: 512
    .name:           _ZN2at6native12_GLOBAL__N_135GammaBetaBackwardCUDAKernelTemplateIN3c108BFloat16EfLj32ELj16ELj128ELb0ELb1ELb1EEEvllPKT_S7_PKT0_SA_PS5_SB_
    .private_segment_fixed_size: 0
    .sgpr_count:     24
    .sgpr_spill_count: 0
    .symbol:         _ZN2at6native12_GLOBAL__N_135GammaBetaBackwardCUDAKernelTemplateIN3c108BFloat16EfLj32ELj16ELj128ELb0ELb1ELb1EEEvllPKT_S7_PKT0_SA_PS5_SB_.kd
    .uniform_work_group_size: 1
    .uses_dynamic_stack: false
    .vgpr_count:     40
    .vgpr_spill_count: 0
    .wavefront_size: 32
    .workgroup_processor_mode: 1
  - .args:
      - .offset:         0
        .size:           8
        .value_kind:     by_value
      - .offset:         8
        .size:           8
        .value_kind:     by_value
      - .actual_access:  read_only
        .address_space:  global
        .offset:         16
        .size:           8
        .value_kind:     global_buffer
      - .actual_access:  read_only
        .address_space:  global
        .offset:         24
        .size:           8
        .value_kind:     global_buffer
      - .actual_access:  read_only
        .address_space:  global
        .offset:         32
        .size:           8
        .value_kind:     global_buffer
      - .actual_access:  read_only
        .address_space:  global
        .offset:         40
        .size:           8
        .value_kind:     global_buffer
      - .actual_access:  write_only
        .address_space:  global
        .offset:         48
        .size:           8
        .value_kind:     global_buffer
      - .actual_access:  read_only
        .address_space:  global
        .offset:         56
        .size:           8
        .value_kind:     global_buffer
      - .offset:         64
        .size:           4
        .value_kind:     hidden_block_count_x
      - .offset:         68
        .size:           4
        .value_kind:     hidden_block_count_y
      - .offset:         72
        .size:           4
        .value_kind:     hidden_block_count_z
      - .offset:         76
        .size:           2
        .value_kind:     hidden_group_size_x
      - .offset:         78
        .size:           2
        .value_kind:     hidden_group_size_y
      - .offset:         80
        .size:           2
        .value_kind:     hidden_group_size_z
      - .offset:         82
        .size:           2
        .value_kind:     hidden_remainder_x
      - .offset:         84
        .size:           2
        .value_kind:     hidden_remainder_y
      - .offset:         86
        .size:           2
        .value_kind:     hidden_remainder_z
      - .offset:         104
        .size:           8
        .value_kind:     hidden_global_offset_x
      - .offset:         112
        .size:           8
        .value_kind:     hidden_global_offset_y
      - .offset:         120
        .size:           8
        .value_kind:     hidden_global_offset_z
      - .offset:         128
        .size:           2
        .value_kind:     hidden_grid_dims
      - .offset:         184
        .size:           4
        .value_kind:     hidden_dynamic_lds_size
    .group_segment_fixed_size: 0
    .kernarg_segment_align: 8
    .kernarg_segment_size: 320
    .language:       OpenCL C
    .language_version:
      - 2
      - 0
    .max_flat_workgroup_size: 512
    .name:           _ZN2at6native12_GLOBAL__N_135GammaBetaBackwardCUDAKernelTemplateIN3c108BFloat16EfLj32ELj16ELj128ELb0ELb0ELb1EEEvllPKT_S7_PKT0_SA_PS5_SB_
    .private_segment_fixed_size: 0
    .sgpr_count:     32
    .sgpr_spill_count: 0
    .symbol:         _ZN2at6native12_GLOBAL__N_135GammaBetaBackwardCUDAKernelTemplateIN3c108BFloat16EfLj32ELj16ELj128ELb0ELb0ELb1EEEvllPKT_S7_PKT0_SA_PS5_SB_.kd
    .uniform_work_group_size: 1
    .uses_dynamic_stack: false
    .vgpr_count:     91
    .vgpr_spill_count: 0
    .wavefront_size: 32
    .workgroup_processor_mode: 1
  - .args:
      - .offset:         0
        .size:           8
        .value_kind:     by_value
      - .offset:         8
        .size:           8
        .value_kind:     by_value
      - .actual_access:  read_only
        .address_space:  global
        .offset:         16
        .size:           8
        .value_kind:     global_buffer
      - .actual_access:  read_only
        .address_space:  global
        .offset:         24
        .size:           8
        .value_kind:     global_buffer
      - .actual_access:  read_only
        .address_space:  global
        .offset:         32
        .size:           8
        .value_kind:     global_buffer
      - .actual_access:  read_only
        .address_space:  global
        .offset:         40
        .size:           8
        .value_kind:     global_buffer
      - .actual_access:  write_only
        .address_space:  global
        .offset:         48
        .size:           8
        .value_kind:     global_buffer
      - .actual_access:  read_only
        .address_space:  global
        .offset:         56
        .size:           8
        .value_kind:     global_buffer
      - .offset:         64
        .size:           4
        .value_kind:     hidden_block_count_x
      - .offset:         68
        .size:           4
        .value_kind:     hidden_block_count_y
      - .offset:         72
        .size:           4
        .value_kind:     hidden_block_count_z
      - .offset:         76
        .size:           2
        .value_kind:     hidden_group_size_x
      - .offset:         78
        .size:           2
        .value_kind:     hidden_group_size_y
      - .offset:         80
        .size:           2
        .value_kind:     hidden_group_size_z
      - .offset:         82
        .size:           2
        .value_kind:     hidden_remainder_x
      - .offset:         84
        .size:           2
        .value_kind:     hidden_remainder_y
      - .offset:         86
        .size:           2
        .value_kind:     hidden_remainder_z
      - .offset:         104
        .size:           8
        .value_kind:     hidden_global_offset_x
      - .offset:         112
        .size:           8
        .value_kind:     hidden_global_offset_y
      - .offset:         120
        .size:           8
        .value_kind:     hidden_global_offset_z
      - .offset:         128
        .size:           2
        .value_kind:     hidden_grid_dims
      - .offset:         184
        .size:           4
        .value_kind:     hidden_dynamic_lds_size
    .group_segment_fixed_size: 0
    .kernarg_segment_align: 8
    .kernarg_segment_size: 320
    .language:       OpenCL C
    .language_version:
      - 2
      - 0
    .max_flat_workgroup_size: 1024
    .name:           _ZN2at6native12_GLOBAL__N_135GammaBetaBackwardCUDAKernelTemplateIN3c108BFloat16EfLj32ELj32ELj256ELb0ELb1ELb1EEEvllPKT_S7_PKT0_SA_PS5_SB_
    .private_segment_fixed_size: 0
    .sgpr_count:     24
    .sgpr_spill_count: 0
    .symbol:         _ZN2at6native12_GLOBAL__N_135GammaBetaBackwardCUDAKernelTemplateIN3c108BFloat16EfLj32ELj32ELj256ELb0ELb1ELb1EEEvllPKT_S7_PKT0_SA_PS5_SB_.kd
    .uniform_work_group_size: 1
    .uses_dynamic_stack: false
    .vgpr_count:     40
    .vgpr_spill_count: 0
    .wavefront_size: 32
    .workgroup_processor_mode: 1
  - .args:
      - .offset:         0
        .size:           8
        .value_kind:     by_value
      - .offset:         8
        .size:           8
        .value_kind:     by_value
      - .actual_access:  read_only
        .address_space:  global
        .offset:         16
        .size:           8
        .value_kind:     global_buffer
      - .actual_access:  read_only
        .address_space:  global
        .offset:         24
        .size:           8
        .value_kind:     global_buffer
      - .actual_access:  read_only
        .address_space:  global
        .offset:         32
        .size:           8
        .value_kind:     global_buffer
      - .actual_access:  read_only
        .address_space:  global
        .offset:         40
        .size:           8
        .value_kind:     global_buffer
      - .actual_access:  write_only
        .address_space:  global
        .offset:         48
        .size:           8
        .value_kind:     global_buffer
      - .actual_access:  read_only
        .address_space:  global
        .offset:         56
        .size:           8
        .value_kind:     global_buffer
      - .offset:         64
        .size:           4
        .value_kind:     hidden_block_count_x
      - .offset:         68
        .size:           4
        .value_kind:     hidden_block_count_y
      - .offset:         72
        .size:           4
        .value_kind:     hidden_block_count_z
      - .offset:         76
        .size:           2
        .value_kind:     hidden_group_size_x
      - .offset:         78
        .size:           2
        .value_kind:     hidden_group_size_y
      - .offset:         80
        .size:           2
        .value_kind:     hidden_group_size_z
      - .offset:         82
        .size:           2
        .value_kind:     hidden_remainder_x
      - .offset:         84
        .size:           2
        .value_kind:     hidden_remainder_y
      - .offset:         86
        .size:           2
        .value_kind:     hidden_remainder_z
      - .offset:         104
        .size:           8
        .value_kind:     hidden_global_offset_x
      - .offset:         112
        .size:           8
        .value_kind:     hidden_global_offset_y
      - .offset:         120
        .size:           8
        .value_kind:     hidden_global_offset_z
      - .offset:         128
        .size:           2
        .value_kind:     hidden_grid_dims
      - .offset:         184
        .size:           4
        .value_kind:     hidden_dynamic_lds_size
    .group_segment_fixed_size: 0
    .kernarg_segment_align: 8
    .kernarg_segment_size: 320
    .language:       OpenCL C
    .language_version:
      - 2
      - 0
    .max_flat_workgroup_size: 1024
    .name:           _ZN2at6native12_GLOBAL__N_135GammaBetaBackwardCUDAKernelTemplateIN3c108BFloat16EfLj32ELj32ELj256ELb0ELb0ELb1EEEvllPKT_S7_PKT0_SA_PS5_SB_
    .private_segment_fixed_size: 0
    .sgpr_count:     32
    .sgpr_spill_count: 0
    .symbol:         _ZN2at6native12_GLOBAL__N_135GammaBetaBackwardCUDAKernelTemplateIN3c108BFloat16EfLj32ELj32ELj256ELb0ELb0ELb1EEEvllPKT_S7_PKT0_SA_PS5_SB_.kd
    .uniform_work_group_size: 1
    .uses_dynamic_stack: false
    .vgpr_count:     91
    .vgpr_spill_count: 0
    .wavefront_size: 32
    .workgroup_processor_mode: 1
amdhsa.target:   amdgcn-amd-amdhsa--gfx1030
amdhsa.version:
  - 1
  - 2
...

	.end_amdgpu_metadata
